;; amdgpu-corpus repo=pytorch/pytorch kind=compiled arch=gfx1030 opt=O3
	.amdgcn_target "amdgcn-amd-amdhsa--gfx1030"
	.amdhsa_code_object_version 6
	.section	.text._ZN2at6native12_GLOBAL__N_16kernel17lstm_cell_forwardIddiLi1EEEvNS_4cuda6detail10TensorInfoIT_T1_EES9_S9_S9_S9_S9_S9_S9_S8_S8_,"axG",@progbits,_ZN2at6native12_GLOBAL__N_16kernel17lstm_cell_forwardIddiLi1EEEvNS_4cuda6detail10TensorInfoIT_T1_EES9_S9_S9_S9_S9_S9_S9_S8_S8_,comdat
	.globl	_ZN2at6native12_GLOBAL__N_16kernel17lstm_cell_forwardIddiLi1EEEvNS_4cuda6detail10TensorInfoIT_T1_EES9_S9_S9_S9_S9_S9_S9_S8_S8_ ; -- Begin function _ZN2at6native12_GLOBAL__N_16kernel17lstm_cell_forwardIddiLi1EEEvNS_4cuda6detail10TensorInfoIT_T1_EES9_S9_S9_S9_S9_S9_S9_S8_S8_
	.p2align	8
	.type	_ZN2at6native12_GLOBAL__N_16kernel17lstm_cell_forwardIddiLi1EEEvNS_4cuda6detail10TensorInfoIT_T1_EES9_S9_S9_S9_S9_S9_S9_S8_S8_,@function
_ZN2at6native12_GLOBAL__N_16kernel17lstm_cell_forwardIddiLi1EEEvNS_4cuda6detail10TensorInfoIT_T1_EES9_S9_S9_S9_S9_S9_S9_S8_S8_: ; @_ZN2at6native12_GLOBAL__N_16kernel17lstm_cell_forwardIddiLi1EEEvNS_4cuda6detail10TensorInfoIT_T1_EES9_S9_S9_S9_S9_S9_S9_S8_S8_
; %bb.0:
	s_clause 0x1
	s_load_dword s2, s[4:5], 0x6d4
	s_load_dwordx2 s[8:9], s[4:5], 0x6c0
	s_add_u32 s0, s4, 0x6c8
	s_addc_u32 s1, s5, 0
	s_mov_b32 s3, exec_lo
	s_waitcnt lgkmcnt(0)
	s_and_b32 s2, s2, 0xffff
	v_mad_u64_u32 v[0:1], null, s6, s2, v[0:1]
	v_cmpx_gt_i32_e64 s9, v0
	s_cbranch_execz .LBB0_6
; %bb.1:
	s_clause 0xf
	s_load_dwordx2 s[6:7], s[4:5], 0x1b0
	s_load_dwordx2 s[10:11], s[4:5], 0x0
	s_load_dword s3, s[4:5], 0x6c
	s_load_dwordx2 s[12:13], s[4:5], 0xd8
	s_load_dword s33, s[4:5], 0x144
	s_load_dword s58, s[4:5], 0x21c
	s_load_dwordx2 s[14:15], s[4:5], 0x288
	s_load_dword s59, s[4:5], 0x2f4
	s_load_dwordx2 s[16:17], s[4:5], 0x360
	;; [unrolled: 2-line block ×5, first 2 shown]
	s_load_dword s60, s[4:5], 0x654
	s_load_dword s65, s[0:1], 0x0
	s_mov_b32 s26, 0xfefa3000
	s_mov_b32 s27, 0xbfe62e42
	;; [unrolled: 1-line block ×3, first 2 shown]
	s_waitcnt lgkmcnt(0)
	s_cmp_lg_u64 s[6:7], 0
	s_mov_b32 s24, 0x652b82fe
	s_cselect_b32 s63, -1, 0
	s_abs_i32 s64, s8
	s_mov_b32 s30, 0x3b39803f
	v_cvt_f32_u32_e32 v1, s64
	s_sub_i32 s0, 0, s64
	s_mov_b32 s34, 0xfca7ab0c
	s_mov_b32 s36, 0x6a5dcb37
	;; [unrolled: 1-line block ×3, first 2 shown]
	v_rcp_iflag_f32_e32 v1, v1
	v_mul_lo_u32 v3, v0, s53
	s_mov_b32 s40, 0x7c89e6b0
	v_mul_lo_u32 v5, v0, s54
	s_mov_b32 s42, 0x14761f6e
	s_mov_b32 s44, 0x1852b7b0
	s_mul_i32 s65, s65, s2
	s_mov_b32 s46, 0x11122322
	s_mov_b32 s48, 0x555502a1
	;; [unrolled: 1-line block ×3, first 2 shown]
	v_mul_f32_e32 v1, 0x4f7ffffe, v1
	s_mul_i32 s68, s65, s52
	s_mul_i32 s69, s65, s53
	;; [unrolled: 1-line block ×3, first 2 shown]
	s_mov_b32 s54, 0xf278e000
	v_cvt_u32_f32_e32 v2, v1
	v_mul_lo_u32 v1, v0, s52
	s_mov_b32 s52, 11
	s_mov_b32 s56, 0xf97b57a0
	;; [unrolled: 1-line block ×3, first 2 shown]
	v_mul_lo_u32 v4, s0, v2
	s_mul_i32 s62, s8, 3
	s_mov_b32 s5, 0xbff71547
	s_mov_b32 s25, 0x3ff71547
	;; [unrolled: 1-line block ×6, first 2 shown]
	v_mul_hi_u32 v4, v2, v4
	s_mov_b32 s39, 0x3ec71dee
	s_mov_b32 s41, 0x3efa0199
	;; [unrolled: 1-line block ×7, first 2 shown]
	v_add_nc_u32_e32 v44, v2, v4
	s_mov_b32 s29, s27
	s_ashr_i32 s66, s8, 31
	s_sub_i32 s67, 0, s8
	s_mov_b32 s53, 0x3fe00000
	s_mov_b32 s55, 0x3d53de6a
	;; [unrolled: 1-line block ×3, first 2 shown]
	s_branch .LBB0_4
.LBB0_2:                                ;   in Loop: Header=BB0_4 Depth=1
	v_sub_nc_u32_e32 v4, v4, v16
	v_mad_u64_u32 v[16:17], null, s67, v17, v[0:1]
	v_mul_lo_u32 v8, s8, v4
	v_add_nc_u32_e32 v18, 2, v4
	v_add_nc_u32_e32 v4, 3, v4
	v_mul_lo_u32 v17, v16, s58
	v_mad_u64_u32 v[32:33], null, s8, v18, v[0:1]
	v_add3_u32 v8, v8, s8, v0
	v_mad_u64_u32 v[33:34], null, s8, v4, v[0:1]
	v_mul_lo_u32 v34, v16, s59
	v_ashrrev_i32_e32 v18, 31, v17
	v_mul_lo_u32 v36, v8, s58
	v_mul_lo_u32 v16, v32, s58
	;; [unrolled: 1-line block ×5, first 2 shown]
	v_lshlrev_b64 v[18:19], 3, v[17:18]
	v_ashrrev_i32_e32 v35, 31, v34
	v_ashrrev_i32_e32 v37, 31, v36
	;; [unrolled: 1-line block ×4, first 2 shown]
	v_add_co_u32 v18, vcc_lo, s6, v18
	v_ashrrev_i32_e32 v39, 31, v38
	v_lshlrev_b64 v[36:37], 3, v[36:37]
	v_lshlrev_b64 v[16:17], 3, v[16:17]
	v_add_co_ci_u32_e64 v19, null, s7, v19, vcc_lo
	v_lshlrev_b64 v[38:39], 3, v[38:39]
	v_lshlrev_b64 v[34:35], 3, v[34:35]
	v_add_co_u32 v36, vcc_lo, s6, v36
	v_add_co_ci_u32_e64 v37, null, s7, v37, vcc_lo
	v_add_co_u32 v16, vcc_lo, s6, v16
	v_add_co_ci_u32_e64 v17, null, s7, v17, vcc_lo
	v_add_co_u32 v45, vcc_lo, s6, v38
	v_mul_lo_u32 v38, v33, s59
	v_ashrrev_i32_e32 v33, 31, v32
	v_add_co_ci_u32_e64 v46, null, s7, v39, vcc_lo
	v_lshlrev_b64 v[40:41], 3, v[40:41]
	v_add_co_u32 v47, vcc_lo, s14, v34
	v_lshlrev_b64 v[32:33], 3, v[32:33]
	v_ashrrev_i32_e32 v39, 31, v38
	v_add_co_ci_u32_e64 v48, null, s15, v35, vcc_lo
	v_add_co_u32 v40, vcc_lo, s14, v40
	v_lshlrev_b64 v[34:35], 3, v[38:39]
	v_add_co_ci_u32_e64 v41, null, s15, v41, vcc_lo
	v_add_co_u32 v49, vcc_lo, s14, v32
	v_add_co_ci_u32_e64 v50, null, s15, v33, vcc_lo
	v_add_co_u32 v51, vcc_lo, s14, v34
	v_add_co_ci_u32_e64 v52, null, s15, v35, vcc_lo
	s_clause 0x3
	global_load_dwordx2 v[38:39], v[18:19], off
	global_load_dwordx2 v[34:35], v[36:37], off
	;; [unrolled: 1-line block ×4, first 2 shown]
	s_clause 0x3
	global_load_dwordx2 v[36:37], v[47:48], off
	global_load_dwordx2 v[32:33], v[40:41], off
	;; [unrolled: 1-line block ×4, first 2 shown]
.LBB0_3:                                ;   in Loop: Header=BB0_4 Depth=1
	s_waitcnt vmcnt(2)
	v_add_f64 v[28:29], v[28:29], v[30:31]
	v_add_f64 v[24:25], v[24:25], v[26:27]
	;; [unrolled: 1-line block ×3, first 2 shown]
	s_waitcnt vmcnt(1)
	v_add_f64 v[10:11], v[10:11], v[12:13]
	v_add_nc_u32_e32 v0, s65, v0
	v_add_nc_u32_e32 v1, s68, v1
	v_add_f64 v[28:29], v[28:29], v[42:43]
	v_add_f64 v[24:25], v[24:25], v[38:39]
	v_add_f64 v[20:21], v[20:21], v[34:35]
	v_add_f64 v[10:11], v[10:11], v[18:19]
	v_add_f64 v[28:29], v[40:41], v[28:29]
	v_add_f64 v[24:25], v[36:37], v[24:25]
	v_add_f64 v[20:21], v[32:33], v[20:21]
	s_waitcnt vmcnt(0)
	v_add_f64 v[10:11], v[16:17], v[10:11]
	v_mul_f64 v[30:31], |v[28:29]|, s[24:25]
	v_mul_f64 v[22:23], v[24:25], s[4:5]
	v_cmp_nlt_f64_e64 s1, 0x4090cc00, v[24:25]
	v_cmp_ngt_f64_e64 s2, 0xc0900000, v[20:21]
	v_rndne_f64_e32 v[30:31], v[30:31]
	v_rndne_f64_e32 v[22:23], v[22:23]
	v_fma_f64 v[40:41], v[30:31], s[26:27], |v[28:29]|
	v_mul_f64 v[42:43], v[30:31], s[54:55]
	v_cvt_i32_f64_e32 v4, v[30:31]
	v_fma_f64 v[32:33], v[22:23], s[28:29], -v[24:25]
	v_add_f64 v[45:46], v[40:41], 0
	v_fma_f64 v[32:33], v[22:23], s[30:31], v[32:33]
	v_add_f64 v[47:48], v[45:46], -v[42:43]
	v_add_f64 v[40:41], v[40:41], -v[45:46]
	;; [unrolled: 1-line block ×3, first 2 shown]
	v_add_f64 v[40:41], v[40:41], 0
	v_add_f64 v[42:43], v[45:46], -v[42:43]
	v_add_f64 v[40:41], v[40:41], v[42:43]
	v_mul_f64 v[42:43], v[30:31], s[56:57]
	v_add_f64 v[45:46], v[47:48], v[40:41]
	v_add_f64 v[49:50], v[45:46], -v[42:43]
	v_add_f64 v[47:48], v[47:48], -v[45:46]
	;; [unrolled: 1-line block ×3, first 2 shown]
	v_add_f64 v[40:41], v[40:41], v[47:48]
	v_add_f64 v[42:43], v[45:46], -v[42:43]
	v_add_f64 v[40:41], v[40:41], v[42:43]
	v_add_f64 v[42:43], v[49:50], v[40:41]
	v_fma_f64 v[45:46], v[42:43], s[36:37], s[34:35]
	v_add_f64 v[47:48], v[49:50], -v[42:43]
	v_mul_f64 v[49:50], v[42:43], v[42:43]
	v_fma_f64 v[45:46], v[42:43], v[45:46], s[38:39]
	v_add_f64 v[40:41], v[40:41], v[47:48]
	v_fma_f64 v[47:48], v[42:43], v[42:43], -v[49:50]
	v_fma_f64 v[45:46], v[42:43], v[45:46], s[40:41]
	v_add_f64 v[51:52], v[40:41], v[40:41]
	v_fma_f64 v[45:46], v[42:43], v[45:46], s[42:43]
	v_fma_f64 v[47:48], v[42:43], v[51:52], v[47:48]
	;; [unrolled: 1-line block ×3, first 2 shown]
	v_add_f64 v[51:52], v[49:50], v[47:48]
	v_fma_f64 v[45:46], v[42:43], v[45:46], s[46:47]
	v_add_f64 v[49:50], v[51:52], -v[49:50]
	v_fma_f64 v[45:46], v[42:43], v[45:46], s[48:49]
	v_add_f64 v[47:48], v[47:48], -v[49:50]
	v_fma_f64 v[45:46], v[42:43], v[45:46], s[50:51]
	v_fma_f64 v[45:46], v[42:43], v[45:46], s[52:53]
	v_mul_f64 v[53:54], v[51:52], v[45:46]
	v_fma_f64 v[49:50], v[51:52], v[45:46], -v[53:54]
	v_fma_f64 v[45:46], v[47:48], v[45:46], v[49:50]
	v_add_f64 v[47:48], v[53:54], v[45:46]
	v_add_f64 v[49:50], v[42:43], v[47:48]
	v_add_f64 v[51:52], v[47:48], -v[53:54]
	v_add_f64 v[42:43], v[49:50], -v[42:43]
	;; [unrolled: 1-line block ×4, first 2 shown]
	v_add_f64 v[40:41], v[40:41], v[45:46]
	v_add_f64 v[40:41], v[40:41], v[42:43]
	v_add_f64 v[42:43], v[49:50], v[40:41]
	v_add_f64 v[45:46], v[42:43], 1.0
	v_add_f64 v[47:48], v[42:43], -v[49:50]
	v_add_f64 v[49:50], v[45:46], -1.0
	v_add_f64 v[40:41], v[40:41], -v[47:48]
	v_add_f64 v[42:43], v[42:43], -v[49:50]
	v_add_f64 v[40:41], v[40:41], v[42:43]
	v_add_f64 v[30:31], v[45:46], v[40:41]
	v_ldexp_f64 v[42:43], v[30:31], v4
	v_add_f64 v[30:31], v[30:31], -v[45:46]
	v_rcp_f64_e32 v[47:48], v[42:43]
	v_add_f64 v[30:31], v[40:41], -v[30:31]
	v_ldexp_f64 v[30:31], v[30:31], v4
	v_fma_f64 v[49:50], -v[42:43], v[47:48], 1.0
	v_cvt_i32_f64_e32 v4, v[22:23]
	v_fma_f64 v[47:48], v[49:50], v[47:48], v[47:48]
	v_fma_f64 v[49:50], -v[42:43], v[47:48], 1.0
	v_fma_f64 v[45:46], v[49:50], v[47:48], v[47:48]
	v_mul_f64 v[40:41], v[42:43], v[45:46]
	v_fma_f64 v[47:48], v[45:46], v[42:43], -v[40:41]
	v_fma_f64 v[47:48], v[45:46], v[30:31], v[47:48]
	v_add_f64 v[49:50], v[40:41], v[47:48]
	v_add_f64 v[51:52], -v[49:50], 1.0
	v_add_f64 v[40:41], v[49:50], -v[40:41]
	v_add_f64 v[53:54], -v[51:52], 1.0
	v_add_f64 v[40:41], v[40:41], -v[47:48]
	v_add_f64 v[47:48], v[53:54], -v[49:50]
	v_add_f64 v[40:41], v[40:41], v[47:48]
	v_add_f64 v[47:48], v[51:52], v[40:41]
	v_mul_f64 v[49:50], v[45:46], v[47:48]
	v_add_f64 v[34:35], v[51:52], -v[47:48]
	v_mul_f64 v[53:54], v[42:43], v[49:50]
	v_add_f64 v[34:35], v[40:41], v[34:35]
	v_fma_f64 v[26:27], v[49:50], v[42:43], -v[53:54]
	v_fma_f64 v[26:27], v[49:50], v[30:31], v[26:27]
	v_add_f64 v[36:37], v[53:54], v[26:27]
	v_add_f64 v[38:39], v[47:48], -v[36:37]
	v_add_f64 v[40:41], v[36:37], -v[53:54]
	v_add_f64 v[47:48], v[47:48], -v[38:39]
	v_add_f64 v[26:27], v[40:41], -v[26:27]
	v_fma_f64 v[40:41], v[32:33], s[36:37], s[34:35]
	v_add_f64 v[36:37], v[47:48], -v[36:37]
	v_mul_f64 v[47:48], v[20:21], s[4:5]
	v_fma_f64 v[40:41], v[32:33], v[40:41], s[38:39]
	v_add_f64 v[34:35], v[34:35], v[36:37]
	v_rndne_f64_e32 v[36:37], v[47:48]
	v_add_f64 v[47:48], v[45:46], v[49:50]
	v_add_f64 v[26:27], v[26:27], v[34:35]
	v_fma_f64 v[34:35], v[36:37], s[28:29], -v[20:21]
	v_add_f64 v[51:52], v[47:48], -v[45:46]
	v_add_f64 v[26:27], v[38:39], v[26:27]
	v_fma_f64 v[34:35], v[36:37], s[30:31], v[34:35]
	v_fma_f64 v[38:39], v[32:33], v[40:41], s[40:41]
	v_add_f64 v[40:41], v[49:50], -v[51:52]
	v_mul_f64 v[26:27], v[45:46], v[26:27]
	v_fma_f64 v[45:46], v[34:35], s[36:37], s[34:35]
	v_fma_f64 v[38:39], v[32:33], v[38:39], s[42:43]
	v_add_f64 v[26:27], v[40:41], v[26:27]
	v_fma_f64 v[40:41], v[34:35], v[45:46], s[38:39]
	v_fma_f64 v[38:39], v[32:33], v[38:39], s[44:45]
	v_add_f64 v[45:46], v[47:48], v[26:27]
	;; [unrolled: 3-line block ×3, first 2 shown]
	v_add_f64 v[47:48], v[45:46], -v[47:48]
	v_fma_f64 v[40:41], v[34:35], v[40:41], s[42:43]
	v_fma_f64 v[38:39], v[32:33], v[38:39], s[48:49]
	v_add_f64 v[53:54], v[42:43], -v[45:46]
	v_add_f64 v[51:52], v[49:50], -v[42:43]
	v_add_f64 v[26:27], v[26:27], -v[47:48]
	v_fma_f64 v[40:41], v[34:35], v[40:41], s[44:45]
	v_fma_f64 v[38:39], v[32:33], v[38:39], s[50:51]
	v_add_f64 v[47:48], v[45:46], -v[51:52]
	v_add_f64 v[51:52], v[30:31], v[26:27]
	v_fma_f64 v[40:41], v[34:35], v[40:41], s[46:47]
	v_fma_f64 v[38:39], v[32:33], v[38:39], s[52:53]
	v_add_f64 v[47:48], v[51:52], v[47:48]
	v_fma_f64 v[40:41], v[34:35], v[40:41], s[48:49]
	v_fma_f64 v[38:39], v[32:33], v[38:39], 1.0
	v_add_f64 v[51:52], v[49:50], v[47:48]
	v_fma_f64 v[40:41], v[34:35], v[40:41], s[50:51]
	v_fma_f64 v[22:23], v[32:33], v[38:39], 1.0
	v_add_f64 v[38:39], v[42:43], -v[53:54]
	v_rcp_f64_e32 v[32:33], v[51:52]
	v_fma_f64 v[40:41], v[34:35], v[40:41], s[52:53]
	v_ldexp_f64 v[22:23], v[22:23], v4
	v_add_f64 v[38:39], v[38:39], -v[45:46]
	v_cvt_i32_f64_e32 v4, v[36:37]
	v_add_f64 v[49:50], v[51:52], -v[49:50]
	v_fma_f64 v[40:41], v[34:35], v[40:41], 1.0
	v_fma_f64 v[42:43], -v[51:52], v[32:33], 1.0
	v_add_f64 v[22:23], v[22:23], 1.0
	v_add_f64 v[30:31], v[30:31], v[38:39]
	v_add_f64 v[47:48], v[47:48], -v[49:50]
	v_fma_f64 v[34:35], v[34:35], v[40:41], 1.0
	v_fma_f64 v[32:33], v[42:43], v[32:33], v[32:33]
	v_div_scale_f64 v[36:37], null, v[22:23], v[22:23], 1.0
	v_add_f64 v[26:27], v[30:31], -v[26:27]
	v_ldexp_f64 v[34:35], v[34:35], v4
	v_fma_f64 v[30:31], -v[51:52], v[32:33], 1.0
	v_rcp_f64_e32 v[38:39], v[36:37]
	v_add_f64 v[40:41], v[53:54], v[26:27]
	v_fma_f64 v[30:31], v[30:31], v[32:33], v[32:33]
	v_add_f64 v[32:33], v[34:35], 1.0
	v_fma_f64 v[34:35], -v[36:37], v[38:39], 1.0
	v_add_f64 v[53:54], v[40:41], -v[53:54]
	v_mul_f64 v[42:43], v[40:41], v[30:31]
	v_div_scale_f64 v[45:46], null, v[32:33], v[32:33], 1.0
	v_fma_f64 v[34:35], v[38:39], v[34:35], v[38:39]
	v_add_f64 v[26:27], v[26:27], -v[53:54]
	v_mul_f64 v[38:39], v[51:52], v[42:43]
	v_rcp_f64_e32 v[49:50], v[45:46]
	v_fma_f64 v[51:52], v[42:43], v[51:52], -v[38:39]
	v_fma_f64 v[47:48], v[42:43], v[47:48], v[51:52]
	v_fma_f64 v[51:52], -v[45:46], v[49:50], 1.0
	v_fma_f64 v[49:50], v[49:50], v[51:52], v[49:50]
	v_add_f64 v[51:52], v[38:39], v[47:48]
	v_fma_f64 v[53:54], -v[45:46], v[49:50], 1.0
	v_add_f64 v[38:39], v[51:52], -v[38:39]
	v_fma_f64 v[49:50], v[49:50], v[53:54], v[49:50]
	v_add_f64 v[38:39], v[47:48], -v[38:39]
	v_add_f64 v[47:48], v[40:41], -v[51:52]
	;; [unrolled: 1-line block ×4, first 2 shown]
	v_fma_f64 v[51:52], -v[36:37], v[34:35], 1.0
	v_add_f64 v[38:39], v[40:41], -v[38:39]
	v_div_scale_f64 v[40:41], vcc_lo, 1.0, v[22:23], 1.0
	v_fma_f64 v[34:35], v[34:35], v[51:52], v[34:35]
	v_div_scale_f64 v[51:52], s0, 1.0, v[32:33], 1.0
	v_add_f64 v[26:27], v[26:27], v[38:39]
	v_mul_f64 v[38:39], v[40:41], v[34:35]
	v_mul_f64 v[53:54], v[51:52], v[49:50]
	v_add_f64 v[26:27], v[47:48], v[26:27]
	v_fma_f64 v[36:37], -v[36:37], v[38:39], v[40:41]
	v_fma_f64 v[40:41], -v[45:46], v[53:54], v[51:52]
	v_mul_f64 v[26:27], v[30:31], v[26:27]
	v_div_fmas_f64 v[30:31], v[36:37], v[34:35], v[38:39]
	s_mov_b32 vcc_lo, s0
	v_cmp_ngt_f64_e64 s0, 0xc0900000, v[24:25]
	v_div_fmas_f64 v[34:35], v[40:41], v[49:50], v[53:54]
	v_cmp_nlt_f64_e64 vcc_lo, 0x40331000, |v[28:29]|
	v_and_b32_e32 v24, 0x7fffffff, v29
	v_add_f64 v[26:27], v[42:43], v[26:27]
	v_div_fixup_f64 v[22:23], v[30:31], v[22:23], 1.0
	v_div_fixup_f64 v[30:31], v[34:35], v[32:33], 1.0
	v_cndmask_b32_e32 v4, 0x3ff00000, v27, vcc_lo
	v_cndmask_b32_e32 v8, 0, v26, vcc_lo
	v_cmp_gt_f64_e64 vcc_lo, 0x3e400000, |v[28:29]|
	v_cndmask_b32_e64 v26, 0, v23, s0
	s_and_b32 s0, s1, s0
	v_cndmask_b32_e64 v27, 0, v31, s2
	v_cndmask_b32_e32 v4, v4, v24, vcc_lo
	v_cndmask_b32_e32 v23, v8, v28, vcc_lo
	v_cmp_nlt_f64_e32 vcc_lo, 0x4090cc00, v[20:21]
	v_cndmask_b32_e64 v21, 0x3ff00000, v26, s1
	v_cndmask_b32_e64 v20, 0, v22, s0
	v_bfi_b32 v24, 0x7fffffff, v4, v29
	v_cmp_ngt_f64_e64 s0, 0xc0900000, v[10:11]
	v_cmp_nlt_f64_e64 s1, 0x4090cc00, v[10:11]
	v_mul_lo_u32 v8, v6, s60
	v_ashrrev_i32_e32 v6, 31, v5
	v_mul_f64 v[25:26], v[20:21], v[23:24]
	v_cndmask_b32_e32 v28, 0x3ff00000, v27, vcc_lo
	s_and_b32 vcc_lo, vcc_lo, s2
	v_cmp_le_i32_e64 s2, s9, v0
	v_cndmask_b32_e32 v27, 0, v30, vcc_lo
	v_fma_f64 v[14:15], v[14:15], v[27:28], v[25:26]
	v_mul_f64 v[25:26], |v[14:15]|, s[24:25]
	v_rndne_f64_e32 v[25:26], v[25:26]
	v_fma_f64 v[29:30], v[25:26], s[26:27], |v[14:15]|
	v_mul_f64 v[31:32], v[25:26], s[54:55]
	v_cvt_i32_f64_e32 v4, v[25:26]
	v_add_f64 v[33:34], v[29:30], 0
	v_add_f64 v[35:36], v[33:34], -v[31:32]
	v_add_f64 v[29:30], v[29:30], -v[33:34]
	v_add_f64 v[33:34], v[33:34], -v[35:36]
	v_add_f64 v[29:30], v[29:30], 0
	v_add_f64 v[31:32], v[33:34], -v[31:32]
	v_add_f64 v[29:30], v[29:30], v[31:32]
	v_mul_f64 v[31:32], v[25:26], s[56:57]
	v_add_f64 v[33:34], v[35:36], v[29:30]
	v_add_f64 v[37:38], v[33:34], -v[31:32]
	v_add_f64 v[35:36], v[35:36], -v[33:34]
	;; [unrolled: 1-line block ×3, first 2 shown]
	v_add_f64 v[29:30], v[29:30], v[35:36]
	v_add_f64 v[31:32], v[33:34], -v[31:32]
	v_add_f64 v[29:30], v[29:30], v[31:32]
	v_add_f64 v[31:32], v[37:38], v[29:30]
	v_fma_f64 v[33:34], v[31:32], s[36:37], s[34:35]
	v_add_f64 v[35:36], v[37:38], -v[31:32]
	v_mul_f64 v[37:38], v[31:32], v[31:32]
	v_fma_f64 v[33:34], v[31:32], v[33:34], s[38:39]
	v_add_f64 v[29:30], v[29:30], v[35:36]
	v_fma_f64 v[35:36], v[31:32], v[31:32], -v[37:38]
	v_fma_f64 v[33:34], v[31:32], v[33:34], s[40:41]
	v_add_f64 v[39:40], v[29:30], v[29:30]
	v_fma_f64 v[33:34], v[31:32], v[33:34], s[42:43]
	v_fma_f64 v[35:36], v[31:32], v[39:40], v[35:36]
	;; [unrolled: 1-line block ×3, first 2 shown]
	v_add_f64 v[39:40], v[37:38], v[35:36]
	v_fma_f64 v[33:34], v[31:32], v[33:34], s[46:47]
	v_add_f64 v[37:38], v[39:40], -v[37:38]
	v_fma_f64 v[33:34], v[31:32], v[33:34], s[48:49]
	v_add_f64 v[35:36], v[35:36], -v[37:38]
	v_fma_f64 v[33:34], v[31:32], v[33:34], s[50:51]
	v_fma_f64 v[33:34], v[31:32], v[33:34], s[52:53]
	v_mul_f64 v[41:42], v[39:40], v[33:34]
	v_fma_f64 v[37:38], v[39:40], v[33:34], -v[41:42]
	v_fma_f64 v[33:34], v[35:36], v[33:34], v[37:38]
	v_add_f64 v[35:36], v[41:42], v[33:34]
	v_add_f64 v[37:38], v[31:32], v[35:36]
	v_add_f64 v[39:40], v[35:36], -v[41:42]
	v_add_f64 v[31:32], v[37:38], -v[31:32]
	;; [unrolled: 1-line block ×4, first 2 shown]
	v_add_f64 v[29:30], v[29:30], v[33:34]
	v_add_f64 v[29:30], v[29:30], v[31:32]
	v_add_f64 v[31:32], v[37:38], v[29:30]
	v_add_f64 v[33:34], v[31:32], 1.0
	v_add_f64 v[35:36], v[31:32], -v[37:38]
	v_add_f64 v[37:38], v[33:34], -1.0
	v_add_f64 v[29:30], v[29:30], -v[35:36]
	v_add_f64 v[31:32], v[31:32], -v[37:38]
	v_add_f64 v[29:30], v[29:30], v[31:32]
	v_add_f64 v[25:26], v[33:34], v[29:30]
	v_ldexp_f64 v[31:32], v[25:26], v4
	v_add_f64 v[25:26], v[25:26], -v[33:34]
	v_rcp_f64_e32 v[35:36], v[31:32]
	v_add_f64 v[25:26], v[29:30], -v[25:26]
	v_ldexp_f64 v[25:26], v[25:26], v4
	v_fma_f64 v[37:38], -v[31:32], v[35:36], 1.0
	v_fma_f64 v[35:36], v[37:38], v[35:36], v[35:36]
	v_fma_f64 v[37:38], -v[31:32], v[35:36], 1.0
	v_fma_f64 v[33:34], v[37:38], v[35:36], v[35:36]
	v_mul_f64 v[29:30], v[31:32], v[33:34]
	v_fma_f64 v[35:36], v[33:34], v[31:32], -v[29:30]
	v_fma_f64 v[35:36], v[33:34], v[25:26], v[35:36]
	v_add_f64 v[37:38], v[29:30], v[35:36]
	v_add_f64 v[39:40], -v[37:38], 1.0
	v_add_f64 v[29:30], v[37:38], -v[29:30]
	v_add_f64 v[41:42], -v[39:40], 1.0
	v_add_f64 v[29:30], v[29:30], -v[35:36]
	v_add_f64 v[35:36], v[41:42], -v[37:38]
	v_add_f64 v[29:30], v[29:30], v[35:36]
	v_add_f64 v[35:36], v[39:40], v[29:30]
	v_mul_f64 v[37:38], v[33:34], v[35:36]
	v_add_f64 v[39:40], v[39:40], -v[35:36]
	v_mul_f64 v[41:42], v[31:32], v[37:38]
	v_add_f64 v[29:30], v[29:30], v[39:40]
	v_add_f64 v[18:19], v[33:34], v[37:38]
	v_fma_f64 v[45:46], v[37:38], v[31:32], -v[41:42]
	v_add_f64 v[16:17], v[18:19], -v[33:34]
	v_fma_f64 v[45:46], v[37:38], v[25:26], v[45:46]
	v_add_f64 v[16:17], v[37:38], -v[16:17]
	v_add_f64 v[47:48], v[41:42], v[45:46]
	v_add_f64 v[49:50], v[35:36], -v[47:48]
	v_add_f64 v[39:40], v[47:48], -v[41:42]
	;; [unrolled: 1-line block ×5, first 2 shown]
	v_add_f64 v[29:30], v[29:30], v[35:36]
	v_add_f64 v[12:13], v[12:13], v[29:30]
	v_mul_f64 v[29:30], v[10:11], s[4:5]
	v_add_f64 v[12:13], v[49:50], v[12:13]
	v_rndne_f64_e32 v[29:30], v[29:30]
	v_mul_f64 v[12:13], v[33:34], v[12:13]
	v_cvt_i32_f64_e32 v4, v[29:30]
	v_add_f64 v[12:13], v[16:17], v[12:13]
	v_fma_f64 v[16:17], v[29:30], s[28:29], -v[10:11]
	v_mul_lo_u32 v10, v2, s60
	v_and_b32_e32 v2, 0x7fffffff, v15
	v_ashrrev_i32_e32 v11, 31, v10
	v_lshlrev_b64 v[10:11], 3, v[10:11]
	v_add_f64 v[33:34], v[18:19], v[12:13]
	v_fma_f64 v[16:17], v[29:30], s[30:31], v[16:17]
	v_add_f64 v[35:36], v[31:32], v[33:34]
	v_add_f64 v[18:19], v[33:34], -v[18:19]
	v_fma_f64 v[37:38], v[16:17], s[36:37], s[34:35]
	v_add_f64 v[41:42], v[31:32], -v[33:34]
	v_add_f64 v[39:40], v[35:36], -v[31:32]
	;; [unrolled: 1-line block ×3, first 2 shown]
	v_fma_f64 v[18:19], v[16:17], v[37:38], s[38:39]
	v_add_f64 v[31:32], v[31:32], -v[41:42]
	v_add_f64 v[37:38], v[33:34], -v[39:40]
	v_add_f64 v[39:40], v[25:26], v[12:13]
	v_fma_f64 v[18:19], v[16:17], v[18:19], s[40:41]
	v_add_f64 v[31:32], v[31:32], -v[33:34]
	v_add_f64 v[37:38], v[39:40], v[37:38]
	v_fma_f64 v[18:19], v[16:17], v[18:19], s[42:43]
	v_add_f64 v[25:26], v[25:26], v[31:32]
	v_add_f64 v[39:40], v[35:36], v[37:38]
	v_fma_f64 v[18:19], v[16:17], v[18:19], s[44:45]
	v_add_f64 v[12:13], v[25:26], -v[12:13]
	v_rcp_f64_e32 v[45:46], v[39:40]
	v_fma_f64 v[18:19], v[16:17], v[18:19], s[46:47]
	v_fma_f64 v[18:19], v[16:17], v[18:19], s[48:49]
	v_fma_f64 v[33:34], -v[39:40], v[45:46], 1.0
	v_fma_f64 v[18:19], v[16:17], v[18:19], s[50:51]
	v_fma_f64 v[31:32], v[33:34], v[45:46], v[45:46]
	v_add_f64 v[33:34], v[41:42], v[12:13]
	v_fma_f64 v[18:19], v[16:17], v[18:19], s[52:53]
	v_fma_f64 v[25:26], -v[39:40], v[31:32], 1.0
	v_fma_f64 v[18:19], v[16:17], v[18:19], 1.0
	v_fma_f64 v[25:26], v[25:26], v[31:32], v[31:32]
	v_fma_f64 v[16:17], v[16:17], v[18:19], 1.0
	v_mul_f64 v[31:32], v[33:34], v[25:26]
	v_add_f64 v[18:19], v[39:40], -v[35:36]
	v_ldexp_f64 v[16:17], v[16:17], v4
	v_mul_f64 v[29:30], v[39:40], v[31:32]
	v_add_f64 v[18:19], v[37:38], -v[18:19]
	v_ashrrev_i32_e32 v4, 31, v3
	v_add_f64 v[16:17], v[16:17], 1.0
	v_fma_f64 v[35:36], v[31:32], v[39:40], -v[29:30]
	v_fma_f64 v[18:19], v[31:32], v[18:19], v[35:36]
	v_div_scale_f64 v[35:36], null, v[16:17], v[16:17], 1.0
	v_add_f64 v[37:38], v[29:30], v[18:19]
	v_rcp_f64_e32 v[39:40], v[35:36]
	v_add_f64 v[45:46], v[33:34], -v[37:38]
	v_add_f64 v[29:30], v[37:38], -v[29:30]
	v_fma_f64 v[47:48], -v[35:36], v[39:40], 1.0
	v_add_f64 v[49:50], v[33:34], -v[45:46]
	v_add_f64 v[33:34], v[33:34], -v[41:42]
	;; [unrolled: 1-line block ×3, first 2 shown]
	v_fma_f64 v[39:40], v[39:40], v[47:48], v[39:40]
	v_add_f64 v[29:30], v[49:50], -v[37:38]
	v_add_f64 v[12:13], v[12:13], -v[33:34]
	v_fma_f64 v[37:38], -v[35:36], v[39:40], 1.0
	v_add_f64 v[18:19], v[29:30], -v[18:19]
	v_div_scale_f64 v[29:30], vcc_lo, 1.0, v[16:17], 1.0
	v_fma_f64 v[33:34], v[39:40], v[37:38], v[39:40]
	v_add_f64 v[12:13], v[12:13], v[18:19]
	v_mul_f64 v[18:19], v[29:30], v[33:34]
	v_add_f64 v[12:13], v[45:46], v[12:13]
	v_fma_f64 v[29:30], -v[35:36], v[18:19], v[29:30]
	v_mul_f64 v[12:13], v[25:26], v[12:13]
	v_lshlrev_b64 v[25:26], 3, v[3:4]
	v_add_nc_u32_e32 v3, s69, v3
	v_div_fmas_f64 v[18:19], v[29:30], v[33:34], v[18:19]
	v_cmp_nlt_f64_e64 vcc_lo, 0x40331000, |v[14:15]|
	v_add_f64 v[12:13], v[31:32], v[12:13]
	v_div_fixup_f64 v[16:17], v[18:19], v[16:17], 1.0
	v_cndmask_b32_e32 v18, 0x3ff00000, v13, vcc_lo
	v_cndmask_b32_e32 v19, 0, v12, vcc_lo
	v_cmp_gt_f64_e64 vcc_lo, 0x3e400000, |v[14:15]|
	v_cndmask_b32_e64 v22, 0, v17, s0
	v_mul_lo_u32 v12, v9, s60
	v_mul_lo_u32 v17, v7, s60
	v_ashrrev_i32_e32 v9, 31, v8
	v_lshlrev_b64 v[6:7], 3, v[5:6]
	v_cndmask_b32_e64 v32, 0x3ff00000, v22, s1
	v_add_nc_u32_e32 v5, s70, v5
	v_lshlrev_b64 v[8:9], 3, v[8:9]
	v_ashrrev_i32_e32 v13, 31, v12
	v_lshlrev_b64 v[12:13], 3, v[12:13]
	v_cndmask_b32_e32 v2, v18, v2, vcc_lo
	v_cndmask_b32_e32 v29, v19, v14, vcc_lo
	s_and_b32 vcc_lo, s1, s0
	v_ashrrev_i32_e32 v18, 31, v17
	v_cndmask_b32_e32 v31, 0, v16, vcc_lo
	v_bfi_b32 v30, 0x7fffffff, v2, v15
	v_add_co_u32 v25, vcc_lo, s18, v25
	v_add_co_ci_u32_e64 v26, null, s19, v26, vcc_lo
	v_mul_f64 v[29:30], v[31:32], v[29:30]
	v_add_co_u32 v6, vcc_lo, s20, v6
	v_add_co_ci_u32_e64 v7, null, s21, v7, vcc_lo
	v_lshlrev_b64 v[16:17], 3, v[17:18]
	v_add_co_u32 v8, vcc_lo, s22, v8
	v_add_co_ci_u32_e64 v9, null, s23, v9, vcc_lo
	v_add_co_u32 v10, vcc_lo, s22, v10
	v_add_co_ci_u32_e64 v11, null, s23, v11, vcc_lo
	;; [unrolled: 2-line block ×3, first 2 shown]
	v_add_co_u32 v16, vcc_lo, s22, v16
	s_or_b32 s61, s2, s61
	v_add_co_ci_u32_e64 v17, null, s23, v17, vcc_lo
	global_store_dwordx2 v[25:26], v[29:30], off
	global_store_dwordx2 v[6:7], v[14:15], off
	global_store_dwordx2 v[8:9], v[20:21], off
	global_store_dwordx2 v[10:11], v[27:28], off
	global_store_dwordx2 v[12:13], v[23:24], off
	global_store_dwordx2 v[16:17], v[31:32], off
	s_andn2_b32 exec_lo, exec_lo, s61
	s_cbranch_execz .LBB0_6
.LBB0_4:                                ; =>This Inner Loop Header: Depth=1
	v_sub_nc_u32_e32 v2, 0, v0
	v_max_i32_e32 v2, v0, v2
	v_mul_hi_u32 v4, v2, v44
	v_mul_lo_u32 v6, v4, s64
	v_sub_nc_u32_e32 v2, v2, v6
	v_add_nc_u32_e32 v6, 1, v4
	v_subrev_nc_u32_e32 v7, s64, v2
	v_cmp_le_u32_e32 vcc_lo, s64, v2
	v_cndmask_b32_e32 v6, v4, v6, vcc_lo
	v_cndmask_b32_e32 v2, v2, v7, vcc_lo
	v_ashrrev_i32_e32 v4, 31, v0
	v_add_nc_u32_e32 v7, 1, v6
	v_cmp_le_u32_e32 vcc_lo, s64, v2
	v_xor_b32_e32 v4, s66, v4
	v_cndmask_b32_e32 v2, v6, v7, vcc_lo
	v_mul_i32_i24_e32 v8, 3, v4
	v_xor_b32_e32 v16, v2, v4
	v_ashrrev_i32_e32 v2, 31, v1
	v_sub_nc_u32_e32 v17, v16, v4
	v_lshl_add_u32 v9, v16, 1, v16
	v_lshlrev_b64 v[11:12], 3, v[1:2]
	v_mad_u64_u32 v[6:7], null, s62, v17, v[0:1]
	v_sub_nc_u32_e32 v7, v9, v8
	v_add_co_u32 v32, vcc_lo, s16, v11
	v_add_co_ci_u32_e64 v33, null, s17, v12, vcc_lo
	v_mul_lo_u32 v2, s8, v7
	v_add_nc_u32_e32 v8, 2, v7
	v_add_nc_u32_e32 v7, 3, v7
	v_mul_lo_u32 v13, v6, s3
	v_mul_lo_u32 v18, v6, s33
	v_mad_u64_u32 v[9:10], null, s8, v8, v[0:1]
	v_add3_u32 v2, v2, s8, v0
	v_mad_u64_u32 v[7:8], null, s8, v7, v[0:1]
	v_ashrrev_i32_e32 v14, 31, v13
	v_ashrrev_i32_e32 v19, 31, v18
	v_mul_lo_u32 v10, v2, s3
	v_mul_lo_u32 v12, v9, s3
	;; [unrolled: 1-line block ×5, first 2 shown]
	v_lshlrev_b64 v[14:15], 3, v[13:14]
	v_mul_lo_u32 v26, v7, s33
	v_lshlrev_b64 v[18:19], 3, v[18:19]
	v_ashrrev_i32_e32 v11, 31, v10
	v_ashrrev_i32_e32 v13, 31, v12
	;; [unrolled: 1-line block ×3, first 2 shown]
	v_add_co_u32 v14, vcc_lo, s10, v14
	v_ashrrev_i32_e32 v21, 31, v20
	v_lshlrev_b64 v[10:11], 3, v[10:11]
	v_lshlrev_b64 v[12:13], 3, v[12:13]
	v_ashrrev_i32_e32 v25, 31, v24
	v_add_co_ci_u32_e64 v15, null, s11, v15, vcc_lo
	v_add_co_u32 v18, vcc_lo, s12, v18
	v_lshlrev_b64 v[20:21], 3, v[20:21]
	v_ashrrev_i32_e32 v27, 31, v26
	v_add_co_ci_u32_e64 v19, null, s13, v19, vcc_lo
	v_lshlrev_b64 v[22:23], 3, v[22:23]
	v_add_co_u32 v10, vcc_lo, s10, v10
	v_lshlrev_b64 v[24:25], 3, v[24:25]
	v_add_co_ci_u32_e64 v11, null, s11, v11, vcc_lo
	v_add_co_u32 v12, vcc_lo, s10, v12
	v_lshlrev_b64 v[26:27], 3, v[26:27]
	v_add_co_ci_u32_e64 v13, null, s11, v13, vcc_lo
	v_add_co_u32 v30, vcc_lo, s10, v20
	v_add_co_ci_u32_e64 v31, null, s11, v21, vcc_lo
	v_add_co_u32 v22, vcc_lo, s12, v22
	;; [unrolled: 2-line block ×4, first 2 shown]
	v_add_co_ci_u32_e64 v37, null, s13, v27, vcc_lo
	s_clause 0x3
	global_load_dwordx2 v[24:25], v[14:15], off
	global_load_dwordx2 v[20:21], v[10:11], off
	;; [unrolled: 1-line block ×4, first 2 shown]
	s_clause 0x3
	global_load_dwordx2 v[26:27], v[18:19], off
	global_load_dwordx2 v[22:23], v[22:23], off
	;; [unrolled: 1-line block ×5, first 2 shown]
	s_andn2_b32 vcc_lo, exec_lo, s63
	s_cbranch_vccz .LBB0_2
; %bb.5:                                ;   in Loop: Header=BB0_4 Depth=1
	v_mov_b32_e32 v32, 0
	v_mov_b32_e32 v40, 0
	;; [unrolled: 1-line block ×16, first 2 shown]
	s_branch .LBB0_3
.LBB0_6:
	s_endpgm
	.section	.rodata,"a",@progbits
	.p2align	6, 0x0
	.amdhsa_kernel _ZN2at6native12_GLOBAL__N_16kernel17lstm_cell_forwardIddiLi1EEEvNS_4cuda6detail10TensorInfoIT_T1_EES9_S9_S9_S9_S9_S9_S9_S8_S8_
		.amdhsa_group_segment_fixed_size 0
		.amdhsa_private_segment_fixed_size 0
		.amdhsa_kernarg_size 1992
		.amdhsa_user_sgpr_count 6
		.amdhsa_user_sgpr_private_segment_buffer 1
		.amdhsa_user_sgpr_dispatch_ptr 0
		.amdhsa_user_sgpr_queue_ptr 0
		.amdhsa_user_sgpr_kernarg_segment_ptr 1
		.amdhsa_user_sgpr_dispatch_id 0
		.amdhsa_user_sgpr_flat_scratch_init 0
		.amdhsa_user_sgpr_private_segment_size 0
		.amdhsa_wavefront_size32 1
		.amdhsa_uses_dynamic_stack 0
		.amdhsa_system_sgpr_private_segment_wavefront_offset 0
		.amdhsa_system_sgpr_workgroup_id_x 1
		.amdhsa_system_sgpr_workgroup_id_y 0
		.amdhsa_system_sgpr_workgroup_id_z 0
		.amdhsa_system_sgpr_workgroup_info 0
		.amdhsa_system_vgpr_workitem_id 0
		.amdhsa_next_free_vgpr 55
		.amdhsa_next_free_sgpr 71
		.amdhsa_reserve_vcc 1
		.amdhsa_reserve_flat_scratch 0
		.amdhsa_float_round_mode_32 0
		.amdhsa_float_round_mode_16_64 0
		.amdhsa_float_denorm_mode_32 3
		.amdhsa_float_denorm_mode_16_64 3
		.amdhsa_dx10_clamp 1
		.amdhsa_ieee_mode 1
		.amdhsa_fp16_overflow 0
		.amdhsa_workgroup_processor_mode 1
		.amdhsa_memory_ordered 1
		.amdhsa_forward_progress 1
		.amdhsa_shared_vgpr_count 0
		.amdhsa_exception_fp_ieee_invalid_op 0
		.amdhsa_exception_fp_denorm_src 0
		.amdhsa_exception_fp_ieee_div_zero 0
		.amdhsa_exception_fp_ieee_overflow 0
		.amdhsa_exception_fp_ieee_underflow 0
		.amdhsa_exception_fp_ieee_inexact 0
		.amdhsa_exception_int_div_zero 0
	.end_amdhsa_kernel
	.section	.text._ZN2at6native12_GLOBAL__N_16kernel17lstm_cell_forwardIddiLi1EEEvNS_4cuda6detail10TensorInfoIT_T1_EES9_S9_S9_S9_S9_S9_S9_S8_S8_,"axG",@progbits,_ZN2at6native12_GLOBAL__N_16kernel17lstm_cell_forwardIddiLi1EEEvNS_4cuda6detail10TensorInfoIT_T1_EES9_S9_S9_S9_S9_S9_S9_S8_S8_,comdat
.Lfunc_end0:
	.size	_ZN2at6native12_GLOBAL__N_16kernel17lstm_cell_forwardIddiLi1EEEvNS_4cuda6detail10TensorInfoIT_T1_EES9_S9_S9_S9_S9_S9_S9_S8_S8_, .Lfunc_end0-_ZN2at6native12_GLOBAL__N_16kernel17lstm_cell_forwardIddiLi1EEEvNS_4cuda6detail10TensorInfoIT_T1_EES9_S9_S9_S9_S9_S9_S9_S8_S8_
                                        ; -- End function
	.set _ZN2at6native12_GLOBAL__N_16kernel17lstm_cell_forwardIddiLi1EEEvNS_4cuda6detail10TensorInfoIT_T1_EES9_S9_S9_S9_S9_S9_S9_S8_S8_.num_vgpr, 55
	.set _ZN2at6native12_GLOBAL__N_16kernel17lstm_cell_forwardIddiLi1EEEvNS_4cuda6detail10TensorInfoIT_T1_EES9_S9_S9_S9_S9_S9_S9_S8_S8_.num_agpr, 0
	.set _ZN2at6native12_GLOBAL__N_16kernel17lstm_cell_forwardIddiLi1EEEvNS_4cuda6detail10TensorInfoIT_T1_EES9_S9_S9_S9_S9_S9_S9_S8_S8_.numbered_sgpr, 71
	.set _ZN2at6native12_GLOBAL__N_16kernel17lstm_cell_forwardIddiLi1EEEvNS_4cuda6detail10TensorInfoIT_T1_EES9_S9_S9_S9_S9_S9_S9_S8_S8_.num_named_barrier, 0
	.set _ZN2at6native12_GLOBAL__N_16kernel17lstm_cell_forwardIddiLi1EEEvNS_4cuda6detail10TensorInfoIT_T1_EES9_S9_S9_S9_S9_S9_S9_S8_S8_.private_seg_size, 0
	.set _ZN2at6native12_GLOBAL__N_16kernel17lstm_cell_forwardIddiLi1EEEvNS_4cuda6detail10TensorInfoIT_T1_EES9_S9_S9_S9_S9_S9_S9_S8_S8_.uses_vcc, 1
	.set _ZN2at6native12_GLOBAL__N_16kernel17lstm_cell_forwardIddiLi1EEEvNS_4cuda6detail10TensorInfoIT_T1_EES9_S9_S9_S9_S9_S9_S9_S8_S8_.uses_flat_scratch, 0
	.set _ZN2at6native12_GLOBAL__N_16kernel17lstm_cell_forwardIddiLi1EEEvNS_4cuda6detail10TensorInfoIT_T1_EES9_S9_S9_S9_S9_S9_S9_S8_S8_.has_dyn_sized_stack, 0
	.set _ZN2at6native12_GLOBAL__N_16kernel17lstm_cell_forwardIddiLi1EEEvNS_4cuda6detail10TensorInfoIT_T1_EES9_S9_S9_S9_S9_S9_S9_S8_S8_.has_recursion, 0
	.set _ZN2at6native12_GLOBAL__N_16kernel17lstm_cell_forwardIddiLi1EEEvNS_4cuda6detail10TensorInfoIT_T1_EES9_S9_S9_S9_S9_S9_S9_S8_S8_.has_indirect_call, 0
	.section	.AMDGPU.csdata,"",@progbits
; Kernel info:
; codeLenInByte = 5140
; TotalNumSgprs: 73
; NumVgprs: 55
; ScratchSize: 0
; MemoryBound: 0
; FloatMode: 240
; IeeeMode: 1
; LDSByteSize: 0 bytes/workgroup (compile time only)
; SGPRBlocks: 0
; VGPRBlocks: 6
; NumSGPRsForWavesPerEU: 73
; NumVGPRsForWavesPerEU: 55
; Occupancy: 16
; WaveLimiterHint : 1
; COMPUTE_PGM_RSRC2:SCRATCH_EN: 0
; COMPUTE_PGM_RSRC2:USER_SGPR: 6
; COMPUTE_PGM_RSRC2:TRAP_HANDLER: 0
; COMPUTE_PGM_RSRC2:TGID_X_EN: 1
; COMPUTE_PGM_RSRC2:TGID_Y_EN: 0
; COMPUTE_PGM_RSRC2:TGID_Z_EN: 0
; COMPUTE_PGM_RSRC2:TIDIG_COMP_CNT: 0
	.section	.text._ZN2at6native12_GLOBAL__N_16kernel17lstm_cell_forwardIddiLi2EEEvNS_4cuda6detail10TensorInfoIT_T1_EES9_S9_S9_S9_S9_S9_S9_S8_S8_,"axG",@progbits,_ZN2at6native12_GLOBAL__N_16kernel17lstm_cell_forwardIddiLi2EEEvNS_4cuda6detail10TensorInfoIT_T1_EES9_S9_S9_S9_S9_S9_S9_S8_S8_,comdat
	.globl	_ZN2at6native12_GLOBAL__N_16kernel17lstm_cell_forwardIddiLi2EEEvNS_4cuda6detail10TensorInfoIT_T1_EES9_S9_S9_S9_S9_S9_S9_S8_S8_ ; -- Begin function _ZN2at6native12_GLOBAL__N_16kernel17lstm_cell_forwardIddiLi2EEEvNS_4cuda6detail10TensorInfoIT_T1_EES9_S9_S9_S9_S9_S9_S9_S8_S8_
	.p2align	8
	.type	_ZN2at6native12_GLOBAL__N_16kernel17lstm_cell_forwardIddiLi2EEEvNS_4cuda6detail10TensorInfoIT_T1_EES9_S9_S9_S9_S9_S9_S9_S8_S8_,@function
_ZN2at6native12_GLOBAL__N_16kernel17lstm_cell_forwardIddiLi2EEEvNS_4cuda6detail10TensorInfoIT_T1_EES9_S9_S9_S9_S9_S9_S9_S8_S8_: ; @_ZN2at6native12_GLOBAL__N_16kernel17lstm_cell_forwardIddiLi2EEEvNS_4cuda6detail10TensorInfoIT_T1_EES9_S9_S9_S9_S9_S9_S9_S8_S8_
; %bb.0:
	s_clause 0x1
	s_load_dword s2, s[4:5], 0x6d4
	s_load_dwordx2 s[8:9], s[4:5], 0x6c0
	s_add_u32 s0, s4, 0x6c8
	s_addc_u32 s1, s5, 0
	s_mov_b32 s3, exec_lo
	s_waitcnt lgkmcnt(0)
	s_and_b32 s2, s2, 0xffff
	v_mad_u64_u32 v[0:1], null, s6, s2, v[0:1]
	v_cmpx_gt_i32_e64 s9, v0
	s_cbranch_execz .LBB1_6
; %bb.1:
	s_clause 0x7
	s_load_dwordx2 s[6:7], s[4:5], 0x1b0
	s_load_dwordx2 s[10:11], s[4:5], 0x0
	s_load_dword s33, s[4:5], 0xc
	s_load_dwordx2 s[12:13], s[4:5], 0x6c
	s_load_dwordx2 s[14:15], s[4:5], 0xd8
	s_load_dword s72, s[4:5], 0xe4
	s_load_dwordx2 s[16:17], s[4:5], 0x144
	s_load_dword s73, s[4:5], 0x21c
	s_load_dword s80, s[0:1], 0x0
	s_clause 0xd
	s_load_dwordx2 s[18:19], s[4:5], 0x288
	s_load_dword s74, s[4:5], 0x2f4
	s_load_dwordx2 s[20:21], s[4:5], 0x360
	s_load_dword s0, s[4:5], 0x36c
	s_load_dword s1, s[4:5], 0x444
	;; [unrolled: 1-line block ×4, first 2 shown]
	s_load_dwordx2 s[22:23], s[4:5], 0x3cc
	s_load_dwordx2 s[24:25], s[4:5], 0x438
	;; [unrolled: 1-line block ×7, first 2 shown]
	s_mov_b32 s38, 0x652b82fe
	s_mov_b32 s40, 0xfefa39ef
	s_waitcnt lgkmcnt(0)
	s_cmp_lg_u64 s[6:7], 0
	s_mov_b32 s42, 0x3b39803f
	s_cselect_b32 s76, -1, 0
	s_abs_i32 s77, s8
	s_abs_i32 s79, s33
	v_cvt_f32_u32_e32 v1, s77
	v_cvt_f32_u32_e32 v2, s79
	s_abs_i32 s82, s72
	s_mul_i32 s80, s80, s2
	v_cvt_f32_u32_e32 v3, s82
	v_rcp_iflag_f32_e32 v1, v1
	v_rcp_iflag_f32_e32 v2, v2
	s_sub_i32 s2, 0, s77
	s_abs_i32 s84, s0
	s_abs_i32 s83, s75
	v_rcp_iflag_f32_e32 v3, v3
	s_abs_i32 s85, s1
	s_abs_i32 s86, s3
	v_cvt_f32_u32_e32 v4, s83
	v_cvt_f32_u32_e32 v5, s84
	v_mul_f32_e32 v1, 0x4f7ffffe, v1
	v_cvt_f32_u32_e32 v6, s85
	v_cvt_f32_u32_e32 v8, s86
	v_rcp_iflag_f32_e32 v4, v4
	v_rcp_iflag_f32_e32 v5, v5
	v_cvt_u32_f32_e32 v1, v1
	v_mul_f32_e32 v2, 0x4f7ffffe, v2
	v_rcp_iflag_f32_e32 v6, v6
	v_rcp_iflag_f32_e32 v8, v8
	v_mul_f32_e32 v3, 0x4f7ffffe, v3
	v_mul_lo_u32 v7, s2, v1
	v_cvt_u32_f32_e32 v2, v2
	s_sub_i32 s2, 0, s79
	v_mul_f32_e32 v4, 0x4f7ffffe, v4
	v_cvt_u32_f32_e32 v3, v3
	s_sub_i32 s4, 0, s83
	v_mul_lo_u32 v9, s2, v2
	s_sub_i32 s2, 0, s82
	v_mul_hi_u32 v7, v1, v7
	v_mul_f32_e32 v8, 0x4f7ffffe, v8
	v_cvt_u32_f32_e32 v4, v4
	s_mov_b32 s44, 0xfca7ab0c
	s_mov_b32 s46, 0x6a5dcb37
	;; [unrolled: 1-line block ×3, first 2 shown]
	v_cvt_u32_f32_e32 v8, v8
	v_mul_hi_u32 v9, v2, v9
	v_add_nc_u32_e32 v36, v1, v7
	v_mul_f32_e32 v1, 0x4f7ffffe, v5
	v_mul_f32_e32 v5, 0x4f7ffffe, v6
	v_mul_lo_u32 v6, s2, v3
	s_sub_i32 s2, 0, s84
	v_mul_lo_u32 v7, s4, v4
	v_cvt_u32_f32_e32 v1, v1
	v_cvt_u32_f32_e32 v5, v5
	s_sub_i32 s4, 0, s85
	v_add_nc_u32_e32 v37, v2, v9
	s_mov_b32 s50, 0x7c89e6b0
	v_mul_lo_u32 v10, s2, v1
	s_sub_i32 s2, 0, s86
	v_mul_lo_u32 v11, s4, v5
	v_mul_hi_u32 v6, v3, v6
	v_mul_lo_u32 v12, s2, v8
	v_mul_hi_u32 v7, v4, v7
	s_mov_b32 s52, 0x14761f6e
	s_mov_b32 s54, 0x1852b7b0
	v_mul_hi_u32 v2, v1, v10
	s_mov_b32 s56, 0x11122322
	v_mul_hi_u32 v9, v5, v11
	v_add_nc_u32_e32 v38, v3, v6
	v_mul_hi_u32 v3, v8, v12
	v_add_nc_u32_e32 v39, v4, v7
	s_mov_b32 s58, 0x555502a1
	s_mov_b32 s60, 0x55555511
	v_add_nc_u32_e32 v40, v1, v2
	s_mov_b32 s62, 11
	v_add_nc_u32_e32 v41, v5, v9
	;; [unrolled: 2-line block ×3, first 2 shown]
	s_mov_b32 s70, 0xf97b57a0
	s_mov_b32 s78, 0
	s_ashr_i32 s81, s8, 31
	s_ashr_i32 s87, s33, 31
	;; [unrolled: 1-line block ×7, first 2 shown]
	s_mul_i32 s93, s8, 3
	s_sub_i32 s94, 0, s8
	s_sub_i32 s95, 0, s0
	;; [unrolled: 1-line block ×4, first 2 shown]
	s_mov_b32 s39, 0xbff71547
	s_mov_b32 s41, 0xbfe62e42
	;; [unrolled: 1-line block ×17, first 2 shown]
	s_branch .LBB1_4
.LBB1_2:                                ;   in Loop: Header=BB1_4 Depth=1
	v_sub_nc_u32_e32 v9, v6, v7
	v_mad_u64_u32 v[6:7], null, s94, v8, v[0:1]
	v_mul_lo_u32 v8, s8, v9
	v_add_nc_u32_e32 v20, 2, v9
	v_add_nc_u32_e32 v9, 3, v9
	v_mul_lo_u32 v7, v6, s73
	v_mad_u64_u32 v[20:21], null, s8, v20, v[0:1]
	v_add3_u32 v27, v8, s8, v0
	v_mad_u64_u32 v[21:22], null, s8, v9, v[0:1]
	v_mul_lo_u32 v22, v6, s74
	v_ashrrev_i32_e32 v8, 31, v7
	v_mul_lo_u32 v24, v27, s73
	v_mul_lo_u32 v6, v20, s73
	;; [unrolled: 1-line block ×5, first 2 shown]
	v_lshlrev_b64 v[8:9], 3, v[7:8]
	v_ashrrev_i32_e32 v23, 31, v22
	v_ashrrev_i32_e32 v25, 31, v24
	;; [unrolled: 1-line block ×4, first 2 shown]
	v_add_co_u32 v8, vcc_lo, s6, v8
	v_ashrrev_i32_e32 v27, 31, v26
	v_lshlrev_b64 v[24:25], 3, v[24:25]
	v_lshlrev_b64 v[6:7], 3, v[6:7]
	v_add_co_ci_u32_e64 v9, null, s7, v9, vcc_lo
	v_lshlrev_b64 v[26:27], 3, v[26:27]
	v_lshlrev_b64 v[22:23], 3, v[22:23]
	v_add_co_u32 v24, vcc_lo, s6, v24
	v_add_co_ci_u32_e64 v25, null, s7, v25, vcc_lo
	v_add_co_u32 v6, vcc_lo, s6, v6
	v_add_co_ci_u32_e64 v7, null, s7, v7, vcc_lo
	v_add_co_u32 v56, vcc_lo, s6, v26
	v_mul_lo_u32 v26, v21, s74
	v_ashrrev_i32_e32 v21, 31, v20
	v_add_co_ci_u32_e64 v57, null, s7, v27, vcc_lo
	v_lshlrev_b64 v[32:33], 3, v[32:33]
	v_add_co_u32 v22, vcc_lo, s18, v22
	v_lshlrev_b64 v[20:21], 3, v[20:21]
	v_ashrrev_i32_e32 v27, 31, v26
	v_add_co_ci_u32_e64 v23, null, s19, v23, vcc_lo
	v_add_co_u32 v32, vcc_lo, s18, v32
	v_lshlrev_b64 v[26:27], 3, v[26:27]
	v_add_co_ci_u32_e64 v33, null, s19, v33, vcc_lo
	v_add_co_u32 v58, vcc_lo, s18, v20
	v_add_co_ci_u32_e64 v59, null, s19, v21, vcc_lo
	v_add_co_u32 v60, vcc_lo, s18, v26
	v_add_co_ci_u32_e64 v61, null, s19, v27, vcc_lo
	s_clause 0x3
	global_load_dwordx2 v[26:27], v[8:9], off
	global_load_dwordx2 v[24:25], v[24:25], off
	;; [unrolled: 1-line block ×4, first 2 shown]
	s_clause 0x3
	global_load_dwordx2 v[22:23], v[22:23], off
	global_load_dwordx2 v[20:21], v[32:33], off
	;; [unrolled: 1-line block ×4, first 2 shown]
.LBB1_3:                                ;   in Loop: Header=BB1_4 Depth=1
	s_waitcnt vmcnt(2)
	v_add_f64 v[28:29], v[28:29], v[30:31]
	s_mov_b32 s64, s38
	s_mov_b32 s67, s41
	v_add_f64 v[14:15], v[14:15], v[18:19]
	v_add_f64 v[12:13], v[12:13], v[16:17]
	s_waitcnt vmcnt(1)
	v_add_f64 v[2:3], v[2:3], v[4:5]
	v_add_f64 v[28:29], v[28:29], v[34:35]
	;; [unrolled: 1-line block ×8, first 2 shown]
	s_waitcnt vmcnt(0)
	v_add_f64 v[2:3], v[6:7], v[2:3]
	v_mul_f64 v[30:31], |v[28:29]|, s[64:65]
	v_cmp_gt_f64_e64 s2, 0x3e400000, |v[28:29]|
	v_cmp_nlt_f64_e64 s1, 0x4090cc00, v[14:15]
	v_mul_f64 v[24:25], v[12:13], s[38:39]
	v_cmp_ngt_f64_e64 s3, 0xc0900000, v[12:13]
	v_cmp_nlt_f64_e64 s4, 0x4090cc00, v[12:13]
	v_rndne_f64_e32 v[30:31], v[30:31]
	v_rndne_f64_e32 v[24:25], v[24:25]
	v_fma_f64 v[32:33], v[30:31], s[66:67], |v[28:29]|
	v_mul_f64 v[34:35], v[30:31], s[68:69]
	v_add_f64 v[56:57], v[32:33], 0
	v_add_f64 v[58:59], v[56:57], -v[34:35]
	v_add_f64 v[32:33], v[32:33], -v[56:57]
	v_add_f64 v[56:57], v[56:57], -v[58:59]
	v_add_f64 v[32:33], v[32:33], 0
	v_add_f64 v[34:35], v[56:57], -v[34:35]
	v_add_f64 v[32:33], v[32:33], v[34:35]
	v_mul_f64 v[34:35], v[30:31], s[70:71]
	v_add_f64 v[56:57], v[58:59], v[32:33]
	v_add_f64 v[60:61], v[56:57], -v[34:35]
	v_add_f64 v[58:59], v[58:59], -v[56:57]
	;; [unrolled: 1-line block ×3, first 2 shown]
	v_add_f64 v[32:33], v[32:33], v[58:59]
	v_add_f64 v[34:35], v[56:57], -v[34:35]
	v_add_f64 v[32:33], v[32:33], v[34:35]
	v_add_f64 v[34:35], v[60:61], v[32:33]
	v_fma_f64 v[56:57], v[34:35], s[46:47], s[44:45]
	v_add_f64 v[58:59], v[60:61], -v[34:35]
	v_mul_f64 v[60:61], v[34:35], v[34:35]
	v_fma_f64 v[56:57], v[34:35], v[56:57], s[48:49]
	v_add_f64 v[32:33], v[32:33], v[58:59]
	v_fma_f64 v[58:59], v[34:35], v[34:35], -v[60:61]
	v_fma_f64 v[56:57], v[34:35], v[56:57], s[50:51]
	v_add_f64 v[62:63], v[32:33], v[32:33]
	v_fma_f64 v[56:57], v[34:35], v[56:57], s[52:53]
	v_fma_f64 v[58:59], v[34:35], v[62:63], v[58:59]
	;; [unrolled: 1-line block ×3, first 2 shown]
	v_add_f64 v[62:63], v[60:61], v[58:59]
	v_fma_f64 v[56:57], v[34:35], v[56:57], s[56:57]
	v_add_f64 v[60:61], v[62:63], -v[60:61]
	v_fma_f64 v[56:57], v[34:35], v[56:57], s[58:59]
	v_add_f64 v[58:59], v[58:59], -v[60:61]
	v_fma_f64 v[56:57], v[34:35], v[56:57], s[60:61]
	v_fma_f64 v[56:57], v[34:35], v[56:57], s[62:63]
	v_mul_f64 v[64:65], v[62:63], v[56:57]
	v_fma_f64 v[60:61], v[62:63], v[56:57], -v[64:65]
	v_fma_f64 v[56:57], v[58:59], v[56:57], v[60:61]
	v_add_f64 v[58:59], v[64:65], v[56:57]
	v_add_f64 v[60:61], v[34:35], v[58:59]
	v_add_f64 v[62:63], v[58:59], -v[64:65]
	v_add_f64 v[34:35], v[60:61], -v[34:35]
	;; [unrolled: 1-line block ×3, first 2 shown]
	v_cvt_i32_f64_e32 v62, v[30:31]
	v_add_f64 v[34:35], v[58:59], -v[34:35]
	v_add_f64 v[32:33], v[32:33], v[56:57]
	v_add_f64 v[32:33], v[32:33], v[34:35]
	;; [unrolled: 1-line block ×3, first 2 shown]
	v_add_f64 v[56:57], v[34:35], 1.0
	v_add_f64 v[58:59], v[34:35], -v[60:61]
	v_add_f64 v[60:61], v[56:57], -1.0
	v_add_f64 v[32:33], v[32:33], -v[58:59]
	v_add_f64 v[34:35], v[34:35], -v[60:61]
	v_add_f64 v[32:33], v[32:33], v[34:35]
	v_add_f64 v[30:31], v[56:57], v[32:33]
	v_ldexp_f64 v[34:35], v[30:31], v62
	v_add_f64 v[30:31], v[30:31], -v[56:57]
	v_rcp_f64_e32 v[58:59], v[34:35]
	v_add_f64 v[30:31], v[32:33], -v[30:31]
	v_ldexp_f64 v[30:31], v[30:31], v62
	v_fma_f64 v[60:61], -v[34:35], v[58:59], 1.0
	v_fma_f64 v[58:59], v[60:61], v[58:59], v[58:59]
	v_fma_f64 v[60:61], -v[34:35], v[58:59], 1.0
	v_fma_f64 v[56:57], v[60:61], v[58:59], v[58:59]
	v_mul_f64 v[32:33], v[34:35], v[56:57]
	v_fma_f64 v[58:59], v[56:57], v[34:35], -v[32:33]
	v_fma_f64 v[58:59], v[56:57], v[30:31], v[58:59]
	v_add_f64 v[60:61], v[32:33], v[58:59]
	v_add_f64 v[62:63], -v[60:61], 1.0
	v_add_f64 v[32:33], v[60:61], -v[32:33]
	v_add_f64 v[64:65], -v[62:63], 1.0
	v_add_f64 v[32:33], v[32:33], -v[58:59]
	v_add_f64 v[58:59], v[64:65], -v[60:61]
	v_add_f64 v[32:33], v[32:33], v[58:59]
	v_add_f64 v[58:59], v[62:63], v[32:33]
	v_mul_f64 v[60:61], v[56:57], v[58:59]
	v_add_f64 v[62:63], v[62:63], -v[58:59]
	v_mul_f64 v[64:65], v[34:35], v[60:61]
	v_add_f64 v[18:19], v[32:33], v[62:63]
	v_add_f64 v[22:23], v[56:57], v[60:61]
	v_fma_f64 v[66:67], v[60:61], v[34:35], -v[64:65]
	v_add_f64 v[20:21], v[22:23], -v[56:57]
	v_fma_f64 v[66:67], v[60:61], v[30:31], v[66:67]
	v_add_f64 v[20:21], v[60:61], -v[20:21]
	v_add_f64 v[68:69], v[64:65], v[66:67]
	v_add_f64 v[70:71], v[58:59], -v[68:69]
	v_add_f64 v[32:33], v[68:69], -v[64:65]
	;; [unrolled: 1-line block ×5, first 2 shown]
	v_add_f64 v[18:19], v[18:19], v[58:59]
	v_add_f64 v[16:17], v[16:17], v[18:19]
	v_mul_f64 v[18:19], v[14:15], s[38:39]
	v_add_f64 v[16:17], v[70:71], v[16:17]
	v_rndne_f64_e32 v[18:19], v[18:19]
	v_mul_f64 v[16:17], v[56:57], v[16:17]
	v_fma_f64 v[26:27], v[18:19], s[40:41], -v[14:15]
	v_add_f64 v[16:17], v[20:21], v[16:17]
	v_fma_f64 v[20:21], v[24:25], s[40:41], -v[12:13]
	v_fma_f64 v[26:27], v[18:19], s[42:43], v[26:27]
	v_add_f64 v[32:33], v[22:23], v[16:17]
	v_fma_f64 v[20:21], v[24:25], s[42:43], v[20:21]
	v_fma_f64 v[56:57], v[26:27], s[46:47], s[44:45]
	v_add_f64 v[58:59], v[34:35], v[32:33]
	v_add_f64 v[22:23], v[32:33], -v[22:23]
	v_fma_f64 v[60:61], v[20:21], s[46:47], s[44:45]
	v_fma_f64 v[56:57], v[26:27], v[56:57], s[48:49]
	v_add_f64 v[64:65], v[34:35], -v[32:33]
	v_add_f64 v[62:63], v[58:59], -v[34:35]
	;; [unrolled: 1-line block ×3, first 2 shown]
	v_fma_f64 v[22:23], v[20:21], v[60:61], s[48:49]
	v_fma_f64 v[56:57], v[26:27], v[56:57], s[50:51]
	v_add_f64 v[34:35], v[34:35], -v[64:65]
	v_add_f64 v[60:61], v[32:33], -v[62:63]
	v_add_f64 v[62:63], v[30:31], v[16:17]
	v_fma_f64 v[22:23], v[20:21], v[22:23], s[50:51]
	v_fma_f64 v[56:57], v[26:27], v[56:57], s[52:53]
	v_add_f64 v[32:33], v[34:35], -v[32:33]
	v_add_f64 v[60:61], v[62:63], v[60:61]
	v_fma_f64 v[22:23], v[20:21], v[22:23], s[52:53]
	v_fma_f64 v[56:57], v[26:27], v[56:57], s[54:55]
	v_add_f64 v[30:31], v[30:31], v[32:33]
	v_add_f64 v[62:63], v[58:59], v[60:61]
	v_fma_f64 v[22:23], v[20:21], v[22:23], s[54:55]
	v_fma_f64 v[56:57], v[26:27], v[56:57], s[56:57]
	v_add_f64 v[16:17], v[30:31], -v[16:17]
	v_rcp_f64_e32 v[66:67], v[62:63]
	v_fma_f64 v[22:23], v[20:21], v[22:23], s[56:57]
	v_fma_f64 v[56:57], v[26:27], v[56:57], s[58:59]
	;; [unrolled: 1-line block ×3, first 2 shown]
	v_fma_f64 v[34:35], -v[62:63], v[66:67], 1.0
	v_fma_f64 v[56:57], v[26:27], v[56:57], s[60:61]
	v_fma_f64 v[22:23], v[20:21], v[22:23], s[60:61]
	;; [unrolled: 1-line block ×4, first 2 shown]
	v_add_f64 v[56:57], v[64:65], v[16:17]
	v_fma_f64 v[22:23], v[20:21], v[22:23], s[62:63]
	v_fma_f64 v[30:31], -v[62:63], v[32:33], 1.0
	v_fma_f64 v[34:35], v[26:27], v[34:35], 1.0
	v_fma_f64 v[22:23], v[20:21], v[22:23], 1.0
	v_fma_f64 v[30:31], v[30:31], v[32:33], v[32:33]
	v_cvt_i32_f64_e32 v32, v[18:19]
	v_fma_f64 v[18:19], v[26:27], v[34:35], 1.0
	v_cvt_i32_f64_e32 v33, v[24:25]
	v_fma_f64 v[20:21], v[20:21], v[22:23], 1.0
	v_mul_f64 v[26:27], v[56:57], v[30:31]
	v_add_f64 v[22:23], v[62:63], -v[58:59]
	v_ldexp_f64 v[18:19], v[18:19], v32
	v_ldexp_f64 v[20:21], v[20:21], v33
	v_mul_f64 v[24:25], v[62:63], v[26:27]
	v_add_f64 v[22:23], v[60:61], -v[22:23]
	v_add_f64 v[18:19], v[18:19], 1.0
	v_add_f64 v[20:21], v[20:21], 1.0
	v_fma_f64 v[32:33], v[26:27], v[62:63], -v[24:25]
	v_div_scale_f64 v[34:35], null, v[18:19], v[18:19], 1.0
	v_fma_f64 v[22:23], v[26:27], v[22:23], v[32:33]
	v_div_scale_f64 v[32:33], null, v[20:21], v[20:21], 1.0
	v_rcp_f64_e32 v[58:59], v[34:35]
	v_add_f64 v[60:61], v[24:25], v[22:23]
	v_rcp_f64_e32 v[62:63], v[32:33]
	v_fma_f64 v[66:67], -v[34:35], v[58:59], 1.0
	v_add_f64 v[68:69], v[56:57], -v[60:61]
	v_add_f64 v[24:25], v[60:61], -v[24:25]
	v_fma_f64 v[70:71], -v[32:33], v[62:63], 1.0
	v_fma_f64 v[58:59], v[58:59], v[66:67], v[58:59]
	v_add_f64 v[66:67], v[56:57], -v[68:69]
	v_add_f64 v[56:57], v[56:57], -v[64:65]
	;; [unrolled: 1-line block ×3, first 2 shown]
	v_fma_f64 v[62:63], v[62:63], v[70:71], v[62:63]
	v_div_scale_f64 v[64:65], vcc_lo, 1.0, v[18:19], 1.0
	v_fma_f64 v[70:71], -v[34:35], v[58:59], 1.0
	v_add_f64 v[24:25], v[66:67], -v[60:61]
	v_add_f64 v[16:17], v[16:17], -v[56:57]
	v_fma_f64 v[60:61], -v[32:33], v[62:63], 1.0
	v_fma_f64 v[58:59], v[58:59], v[70:71], v[58:59]
	v_add_f64 v[22:23], v[24:25], -v[22:23]
	v_div_scale_f64 v[24:25], s0, 1.0, v[20:21], 1.0
	v_fma_f64 v[56:57], v[62:63], v[60:61], v[62:63]
	v_mul_hi_u32 v62, v54, v39
	v_mul_f64 v[60:61], v[64:65], v[58:59]
	v_add_f64 v[16:17], v[16:17], v[22:23]
	v_mul_f64 v[22:23], v[24:25], v[56:57]
	v_fma_f64 v[34:35], -v[34:35], v[60:61], v[64:65]
	v_mul_lo_u32 v65, v62, s83
	v_sub_nc_u32_e32 v54, v54, v65
	v_add_f64 v[16:17], v[68:69], v[16:17]
	v_fma_f64 v[24:25], -v[32:33], v[22:23], v[24:25]
	v_div_fmas_f64 v[32:33], v[34:35], v[58:59], v[60:61]
	s_mov_b32 vcc_lo, s0
	v_cmp_ngt_f64_e64 s0, 0xc0900000, v[14:15]
	v_and_b32_e32 v14, 0x7fffffff, v29
	v_mul_hi_u32 v60, v48, v39
	v_mul_hi_u32 v61, v51, v39
	v_mul_lo_u32 v63, v60, s83
	v_mul_lo_u32 v64, v61, s83
	v_add_nc_u32_e32 v68, 1, v61
	v_mul_f64 v[16:17], v[30:31], v[16:17]
	v_div_fmas_f64 v[22:23], v[24:25], v[56:57], v[22:23]
	v_cmp_nlt_f64_e64 vcc_lo, 0x40331000, |v[28:29]|
	v_sub_nc_u32_e32 v48, v48, v63
	v_div_fixup_f64 v[18:19], v[32:33], v[18:19], 1.0
	v_sub_nc_u32_e32 v51, v51, v64
	v_add_f64 v[16:17], v[26:27], v[16:17]
	v_div_fixup_f64 v[20:21], v[22:23], v[20:21], 1.0
	v_cndmask_b32_e64 v19, 0, v19, s0
	v_cndmask_b32_e64 v13, 0x3ff00000, v19, s1
	v_cndmask_b32_e32 v15, 0x3ff00000, v17, vcc_lo
	v_cndmask_b32_e32 v16, 0, v16, vcc_lo
	s_and_b32 vcc_lo, s1, s0
	v_cndmask_b32_e64 v17, 0, v21, s3
	v_cndmask_b32_e32 v12, 0, v18, vcc_lo
	v_cndmask_b32_e64 v14, v15, v14, s2
	s_and_b32 vcc_lo, s4, s3
	v_cmp_le_u32_e64 s0, s83, v48
	v_cndmask_b32_e64 v17, 0x3ff00000, v17, s4
	v_cmp_le_u32_e64 s1, s83, v51
	v_bfi_b32 v15, 0x7fffffff, v14, v29
	v_cndmask_b32_e64 v14, v16, v28, s2
	v_cndmask_b32_e32 v16, 0, v20, vcc_lo
	v_cmp_le_u32_e64 s2, s83, v54
	v_mul_f64 v[18:19], v[12:13], v[14:15]
	v_fma_f64 v[10:11], v[10:11], v[16:17], v[18:19]
	v_mul_f64 v[18:19], |v[10:11]|, s[64:65]
	v_rndne_f64_e32 v[18:19], v[18:19]
	v_fma_f64 v[20:21], v[18:19], s[66:67], |v[10:11]|
	v_mul_f64 v[22:23], v[18:19], s[68:69]
	v_add_f64 v[24:25], v[20:21], 0
	v_add_f64 v[26:27], v[24:25], -v[22:23]
	v_add_f64 v[20:21], v[20:21], -v[24:25]
	;; [unrolled: 1-line block ×3, first 2 shown]
	v_add_f64 v[20:21], v[20:21], 0
	v_add_f64 v[22:23], v[24:25], -v[22:23]
	v_add_f64 v[20:21], v[20:21], v[22:23]
	v_mul_f64 v[22:23], v[18:19], s[70:71]
	v_add_f64 v[24:25], v[26:27], v[20:21]
	v_add_f64 v[28:29], v[24:25], -v[22:23]
	v_add_f64 v[26:27], v[26:27], -v[24:25]
	;; [unrolled: 1-line block ×3, first 2 shown]
	v_add_f64 v[20:21], v[20:21], v[26:27]
	v_add_f64 v[22:23], v[24:25], -v[22:23]
	v_add_f64 v[20:21], v[20:21], v[22:23]
	v_add_f64 v[22:23], v[28:29], v[20:21]
	v_fma_f64 v[24:25], v[22:23], s[46:47], s[44:45]
	v_add_f64 v[26:27], v[28:29], -v[22:23]
	v_mul_f64 v[28:29], v[22:23], v[22:23]
	v_fma_f64 v[24:25], v[22:23], v[24:25], s[48:49]
	v_add_f64 v[20:21], v[20:21], v[26:27]
	v_fma_f64 v[26:27], v[22:23], v[22:23], -v[28:29]
	v_fma_f64 v[24:25], v[22:23], v[24:25], s[50:51]
	v_add_f64 v[30:31], v[20:21], v[20:21]
	v_fma_f64 v[24:25], v[22:23], v[24:25], s[52:53]
	v_fma_f64 v[26:27], v[22:23], v[30:31], v[26:27]
	;; [unrolled: 1-line block ×3, first 2 shown]
	v_add_f64 v[30:31], v[28:29], v[26:27]
	v_fma_f64 v[24:25], v[22:23], v[24:25], s[56:57]
	v_add_f64 v[28:29], v[30:31], -v[28:29]
	v_fma_f64 v[24:25], v[22:23], v[24:25], s[58:59]
	v_add_f64 v[26:27], v[26:27], -v[28:29]
	v_fma_f64 v[24:25], v[22:23], v[24:25], s[60:61]
	v_fma_f64 v[24:25], v[22:23], v[24:25], s[62:63]
	v_mul_f64 v[32:33], v[30:31], v[24:25]
	v_fma_f64 v[28:29], v[30:31], v[24:25], -v[32:33]
	v_fma_f64 v[24:25], v[26:27], v[24:25], v[28:29]
	v_add_f64 v[26:27], v[32:33], v[24:25]
	v_add_f64 v[28:29], v[22:23], v[26:27]
	v_add_f64 v[30:31], v[26:27], -v[32:33]
	v_add_f64 v[22:23], v[28:29], -v[22:23]
	;; [unrolled: 1-line block ×3, first 2 shown]
	v_cvt_i32_f64_e32 v30, v[18:19]
	v_add_f64 v[22:23], v[26:27], -v[22:23]
	v_add_f64 v[20:21], v[20:21], v[24:25]
	v_add_f64 v[20:21], v[20:21], v[22:23]
	;; [unrolled: 1-line block ×3, first 2 shown]
	v_add_f64 v[24:25], v[22:23], 1.0
	v_add_f64 v[26:27], v[22:23], -v[28:29]
	v_add_f64 v[28:29], v[24:25], -1.0
	v_add_f64 v[20:21], v[20:21], -v[26:27]
	v_add_f64 v[22:23], v[22:23], -v[28:29]
	v_add_f64 v[20:21], v[20:21], v[22:23]
	v_add_f64 v[18:19], v[24:25], v[20:21]
	v_ldexp_f64 v[22:23], v[18:19], v30
	v_add_f64 v[18:19], v[18:19], -v[24:25]
	v_rcp_f64_e32 v[26:27], v[22:23]
	v_add_f64 v[18:19], v[20:21], -v[18:19]
	v_ldexp_f64 v[18:19], v[18:19], v30
	v_fma_f64 v[28:29], -v[22:23], v[26:27], 1.0
	v_fma_f64 v[26:27], v[28:29], v[26:27], v[26:27]
	v_fma_f64 v[28:29], -v[22:23], v[26:27], 1.0
	v_fma_f64 v[24:25], v[28:29], v[26:27], v[26:27]
	v_mul_f64 v[20:21], v[22:23], v[24:25]
	v_fma_f64 v[26:27], v[24:25], v[22:23], -v[20:21]
	v_fma_f64 v[26:27], v[24:25], v[18:19], v[26:27]
	v_add_f64 v[28:29], v[20:21], v[26:27]
	v_add_f64 v[30:31], -v[28:29], 1.0
	v_add_f64 v[20:21], v[28:29], -v[20:21]
	v_add_f64 v[32:33], -v[30:31], 1.0
	v_add_f64 v[20:21], v[20:21], -v[26:27]
	v_add_f64 v[26:27], v[32:33], -v[28:29]
	v_add_f64 v[20:21], v[20:21], v[26:27]
	v_add_f64 v[26:27], v[30:31], v[20:21]
	v_mul_f64 v[28:29], v[24:25], v[26:27]
	v_add_f64 v[30:31], v[30:31], -v[26:27]
	v_mul_f64 v[32:33], v[22:23], v[28:29]
	v_add_f64 v[4:5], v[20:21], v[30:31]
	v_add_f64 v[6:7], v[24:25], v[28:29]
	v_fma_f64 v[34:35], v[28:29], v[22:23], -v[32:33]
	v_fma_f64 v[34:35], v[28:29], v[18:19], v[34:35]
	v_add_f64 v[56:57], v[32:33], v[34:35]
	v_add_f64 v[58:59], v[26:27], -v[56:57]
	v_add_f64 v[20:21], v[56:57], -v[32:33]
	;; [unrolled: 1-line block ×7, first 2 shown]
	v_add_f64 v[4:5], v[4:5], v[26:27]
	v_add_f64 v[4:5], v[8:9], v[4:5]
	v_mul_f64 v[8:9], v[2:3], s[38:39]
	v_add_f64 v[4:5], v[58:59], v[4:5]
	v_rndne_f64_e32 v[8:9], v[8:9]
	v_mul_f64 v[4:5], v[24:25], v[4:5]
	v_fma_f64 v[24:25], v[8:9], s[40:41], -v[2:3]
	v_add_f64 v[4:5], v[20:21], v[4:5]
	v_fma_f64 v[20:21], v[8:9], s[42:43], v[24:25]
	v_add_f64 v[24:25], v[6:7], v[4:5]
	v_fma_f64 v[26:27], v[20:21], s[46:47], s[44:45]
	v_add_f64 v[28:29], v[22:23], v[24:25]
	v_add_f64 v[6:7], v[24:25], -v[6:7]
	v_fma_f64 v[26:27], v[20:21], v[26:27], s[48:49]
	v_add_f64 v[32:33], v[22:23], -v[24:25]
	v_add_f64 v[30:31], v[28:29], -v[22:23]
	;; [unrolled: 1-line block ×3, first 2 shown]
	v_fma_f64 v[6:7], v[20:21], v[26:27], s[50:51]
	v_add_f64 v[22:23], v[22:23], -v[32:33]
	v_add_f64 v[26:27], v[24:25], -v[30:31]
	v_add_f64 v[30:31], v[18:19], v[4:5]
	v_fma_f64 v[6:7], v[20:21], v[6:7], s[52:53]
	v_add_f64 v[22:23], v[22:23], -v[24:25]
	v_add_f64 v[26:27], v[30:31], v[26:27]
	v_fma_f64 v[6:7], v[20:21], v[6:7], s[54:55]
	v_add_f64 v[18:19], v[18:19], v[22:23]
	v_add_f64 v[30:31], v[28:29], v[26:27]
	v_fma_f64 v[6:7], v[20:21], v[6:7], s[56:57]
	v_add_f64 v[4:5], v[18:19], -v[4:5]
	v_rcp_f64_e32 v[34:35], v[30:31]
	v_fma_f64 v[6:7], v[20:21], v[6:7], s[58:59]
	v_fma_f64 v[6:7], v[20:21], v[6:7], s[60:61]
	v_fma_f64 v[24:25], -v[30:31], v[34:35], 1.0
	v_fma_f64 v[6:7], v[20:21], v[6:7], s[62:63]
	v_fma_f64 v[22:23], v[24:25], v[34:35], v[34:35]
	v_add_f64 v[24:25], v[32:33], v[4:5]
	v_fma_f64 v[6:7], v[20:21], v[6:7], 1.0
	v_fma_f64 v[18:19], -v[30:31], v[22:23], 1.0
	v_fma_f64 v[6:7], v[20:21], v[6:7], 1.0
	v_fma_f64 v[18:19], v[18:19], v[22:23], v[22:23]
	v_cvt_i32_f64_e32 v22, v[8:9]
	v_add_f64 v[20:21], v[30:31], -v[28:29]
	v_mul_f64 v[8:9], v[24:25], v[18:19]
	v_ldexp_f64 v[6:7], v[6:7], v22
	v_add_f64 v[20:21], v[26:27], -v[20:21]
	v_mul_f64 v[22:23], v[30:31], v[8:9]
	v_add_f64 v[6:7], v[6:7], 1.0
	v_fma_f64 v[26:27], v[8:9], v[30:31], -v[22:23]
	v_div_scale_f64 v[28:29], null, v[6:7], v[6:7], 1.0
	v_fma_f64 v[20:21], v[8:9], v[20:21], v[26:27]
	v_rcp_f64_e32 v[26:27], v[28:29]
	v_add_f64 v[30:31], v[22:23], v[20:21]
	v_fma_f64 v[34:35], -v[28:29], v[26:27], 1.0
	v_add_f64 v[56:57], v[24:25], -v[30:31]
	v_add_f64 v[22:23], v[30:31], -v[22:23]
	v_fma_f64 v[26:27], v[26:27], v[34:35], v[26:27]
	v_add_f64 v[34:35], v[24:25], -v[56:57]
	v_add_f64 v[24:25], v[24:25], -v[32:33]
	;; [unrolled: 1-line block ×3, first 2 shown]
	v_fma_f64 v[58:59], -v[28:29], v[26:27], 1.0
	v_mul_hi_u32 v33, v46, v41
	v_mul_hi_u32 v32, v55, v39
	v_mul_lo_u32 v67, v33, s85
	v_mul_lo_u32 v66, v32, s83
	v_sub_nc_u32_e32 v63, v46, v67
	v_sub_nc_u32_e32 v55, v55, v66
	v_add_f64 v[22:23], v[34:35], -v[30:31]
	v_add_f64 v[4:5], v[4:5], -v[24:25]
	v_div_scale_f64 v[30:31], vcc_lo, 1.0, v[6:7], 1.0
	v_fma_f64 v[26:27], v[26:27], v[58:59], v[26:27]
	v_mul_hi_u32 v34, v46, v42
	v_add_nc_u32_e32 v59, 1, v60
	v_add_nc_u32_e32 v24, 1, v32
	v_cmp_le_u32_e64 s3, s83, v55
	v_add_nc_u32_e32 v25, 1, v33
	v_cmp_le_u32_e64 s4, s85, v63
	v_xor_b32_e32 v35, s89, v49
	v_xor_b32_e32 v49, s89, v50
	v_mul_lo_u32 v58, v34, s86
	v_add_nc_u32_e32 v69, 1, v34
	v_cndmask_b32_e64 v24, v32, v24, s3
	v_cndmask_b32_e64 v25, v33, v25, s4
	v_subrev_nc_u32_e32 v33, s83, v54
	v_xor_b32_e32 v50, s89, v52
	v_xor_b32_e32 v52, s89, v53
	;; [unrolled: 1-line block ×3, first 2 shown]
	v_sub_nc_u32_e32 v46, v46, v58
	v_add_f64 v[20:21], v[22:23], -v[20:21]
	v_add_nc_u32_e32 v22, 1, v62
	v_cndmask_b32_e64 v58, v60, v59, s0
	v_cndmask_b32_e64 v59, v61, v68, s1
	v_cmp_le_u32_e64 s5, s86, v46
	v_subrev_nc_u32_e32 v61, s85, v63
	v_cndmask_b32_e64 v60, v62, v22, s2
	v_mul_f64 v[22:23], v[30:31], v[26:27]
	v_subrev_nc_u32_e32 v62, s86, v46
	v_cndmask_b32_e64 v32, v34, v69, s5
	v_subrev_nc_u32_e32 v34, s83, v55
	v_cndmask_b32_e64 v33, v54, v33, s2
	v_cndmask_b32_e64 v54, v63, v61, s4
	v_add_nc_u32_e32 v61, 1, v59
	v_cndmask_b32_e64 v46, v46, v62, s5
	v_cndmask_b32_e64 v34, v55, v34, s3
	v_add_nc_u32_e32 v55, 1, v58
	v_add_nc_u32_e32 v62, 1, v60
	v_xor_b32_e32 v47, s92, v47
	v_cmp_gt_f64_e64 s2, 0x3e400000, |v[10:11]|
	v_add_f64 v[4:5], v[4:5], v[20:21]
	v_subrev_nc_u32_e32 v20, s83, v48
	v_subrev_nc_u32_e32 v21, s83, v51
	v_cndmask_b32_e64 v48, v48, v20, s0
	v_cndmask_b32_e64 v51, v51, v21, s1
	v_fma_f64 v[20:21], -v[28:29], v[22:23], v[30:31]
	v_add_nc_u32_e32 v28, 1, v24
	v_add_nc_u32_e32 v29, 1, v25
	v_cmp_le_u32_e64 s0, s83, v48
	v_add_nc_u32_e32 v30, 1, v32
	v_cmp_nlt_f64_e64 s1, 0x4090cc00, v[2:3]
	v_cndmask_b32_e64 v31, v58, v55, s0
	v_cmp_le_u32_e64 s0, s83, v51
	v_add_f64 v[4:5], v[56:57], v[4:5]
	v_cndmask_b32_e64 v48, v59, v61, s0
	v_cmp_le_u32_e64 s0, s83, v33
	v_cndmask_b32_e64 v33, v60, v62, s0
	v_cmp_le_u32_e64 s0, s83, v34
	v_div_fmas_f64 v[20:21], v[20:21], v[26:27], v[22:23]
	v_cmp_ngt_f64_e32 vcc_lo, 0xc0900000, v[2:3]
	v_and_b32_e32 v3, 0x7fffffff, v11
	v_cndmask_b32_e64 v24, v24, v28, s0
	v_cmp_le_u32_e64 s0, s85, v54
	v_xor_b32_e32 v22, v24, v52
	v_cndmask_b32_e64 v25, v25, v29, s0
	v_cmp_le_u32_e64 s0, s86, v46
	v_xor_b32_e32 v29, v31, v35
	v_mul_f64 v[4:5], v[18:19], v[4:5]
	v_xor_b32_e32 v31, v33, v50
	v_xor_b32_e32 v23, v25, v53
	v_cndmask_b32_e64 v28, v32, v30, s0
	v_xor_b32_e32 v30, v48, v49
	v_sub_nc_u32_e32 v25, v29, v35
	v_sub_nc_u32_e32 v27, v31, v50
	v_sub_nc_u32_e32 v29, v23, v53
	v_xor_b32_e32 v24, v28, v47
	v_sub_nc_u32_e32 v26, v30, v49
	v_mul_lo_u32 v30, v25, s75
	v_sub_nc_u32_e32 v28, v22, v52
	v_mad_u64_u32 v[18:19], null, s96, v29, v[0:1]
	v_mul_lo_u32 v31, v26, s75
	v_sub_nc_u32_e32 v24, v24, v47
	v_cmp_nlt_f64_e64 s0, 0x40331000, |v[10:11]|
	v_mul_lo_u32 v32, v27, s75
	v_mul_lo_u32 v19, v28, s75
	v_div_fixup_f64 v[6:7], v[20:21], v[6:7], 1.0
	v_mad_u64_u32 v[22:23], null, s97, v24, v[0:1]
	v_add_f64 v[4:5], v[8:9], v[4:5]
	v_sub_nc_u32_e32 v23, v43, v30
	v_sub_nc_u32_e32 v30, v1, v31
	v_mul_lo_u32 v1, v18, s27
	v_sub_nc_u32_e32 v20, v45, v32
	v_sub_nc_u32_e32 v21, v44, v19
	v_mul_lo_u32 v18, v22, s31
	v_add_nc_u32_e32 v22, v0, v23
	v_add_nc_u32_e32 v23, v0, v30
	;; [unrolled: 1-line block ×3, first 2 shown]
	v_mad_u64_u32 v[8:9], null, v29, s26, v[1:2]
	v_add_nc_u32_e32 v9, v0, v21
	v_mul_lo_u32 v1, v22, s37
	v_mul_lo_u32 v20, v23, s37
	;; [unrolled: 1-line block ×3, first 2 shown]
	v_mad_u64_u32 v[18:19], null, v24, s30, v[18:19]
	v_mul_lo_u32 v22, v9, s37
	v_ashrrev_i32_e32 v9, 31, v8
	v_cndmask_b32_e32 v29, 0, v7, vcc_lo
	v_cndmask_b32_e64 v5, 0x3ff00000, v5, s0
	s_and_b32 vcc_lo, s1, vcc_lo
	v_mad_u64_u32 v[23:24], null, v26, s36, v[20:21]
	v_lshlrev_b64 v[7:8], 3, v[8:9]
	v_cndmask_b32_e64 v5, v5, v3, s2
	v_cndmask_b32_e64 v9, 0, v4, s0
	v_mad_u64_u32 v[1:2], null, v25, s36, v[1:2]
	v_cndmask_b32_e64 v4, 0x3ff00000, v29, s1
	v_cndmask_b32_e32 v3, 0, v6, vcc_lo
	v_bfi_b32 v6, 0x7fffffff, v5, v11
	v_cndmask_b32_e64 v5, v9, v10, s2
	v_mad_u64_u32 v[20:21], null, v27, s36, v[21:22]
	v_ashrrev_i32_e32 v19, 31, v18
	v_mad_u64_u32 v[25:26], null, v28, s36, v[22:23]
	v_mul_f64 v[5:6], v[3:4], v[5:6]
	v_ashrrev_i32_e32 v2, 31, v1
	v_ashrrev_i32_e32 v24, 31, v23
	v_lshlrev_b64 v[18:19], 3, v[18:19]
	v_ashrrev_i32_e32 v21, 31, v20
	v_add_nc_u32_e32 v0, s80, v0
	v_lshlrev_b64 v[1:2], 3, v[1:2]
	v_ashrrev_i32_e32 v26, 31, v25
	v_add_co_u32 v7, vcc_lo, s24, v7
	v_lshlrev_b64 v[22:23], 3, v[23:24]
	v_add_co_ci_u32_e64 v8, null, s25, v8, vcc_lo
	v_add_co_u32 v18, vcc_lo, s28, v18
	v_lshlrev_b64 v[20:21], 3, v[20:21]
	v_add_co_ci_u32_e64 v19, null, s29, v19, vcc_lo
	v_lshlrev_b64 v[24:25], 3, v[25:26]
	v_add_co_u32 v1, vcc_lo, s34, v1
	v_cmp_le_i32_e64 s3, s9, v0
	v_add_co_ci_u32_e64 v2, null, s35, v2, vcc_lo
	v_add_co_u32 v22, vcc_lo, s34, v22
	v_add_co_ci_u32_e64 v23, null, s35, v23, vcc_lo
	v_add_co_u32 v20, vcc_lo, s34, v20
	;; [unrolled: 2-line block ×3, first 2 shown]
	s_or_b32 s78, s3, s78
	v_add_co_ci_u32_e64 v25, null, s35, v25, vcc_lo
	global_store_dwordx2 v[7:8], v[5:6], off
	global_store_dwordx2 v[18:19], v[10:11], off
	;; [unrolled: 1-line block ×6, first 2 shown]
	s_andn2_b32 exec_lo, exec_lo, s78
	s_cbranch_execz .LBB1_6
.LBB1_4:                                ; =>This Inner Loop Header: Depth=1
	v_sub_nc_u32_e32 v1, 0, v0
	v_ashrrev_i32_e32 v47, 31, v0
	v_max_i32_e32 v46, v0, v1
	v_xor_b32_e32 v6, s81, v47
	v_mul_hi_u32 v1, v46, v36
	v_mul_lo_u32 v2, v1, s77
	v_add_nc_u32_e32 v3, 1, v1
	v_sub_nc_u32_e32 v2, v46, v2
	v_subrev_nc_u32_e32 v4, s77, v2
	v_cmp_le_u32_e32 vcc_lo, s77, v2
	v_cndmask_b32_e32 v1, v1, v3, vcc_lo
	v_cndmask_b32_e32 v2, v2, v4, vcc_lo
	v_add_nc_u32_e32 v3, 1, v1
	v_cmp_le_u32_e32 vcc_lo, s77, v2
	v_cndmask_b32_e32 v1, v1, v3, vcc_lo
	v_xor_b32_e32 v7, v1, v6
	v_mul_i32_i24_e32 v1, 3, v6
	v_sub_nc_u32_e32 v8, v7, v6
	v_lshl_add_u32 v2, v7, 1, v7
	v_mul_lo_u32 v43, s93, v8
	v_sub_nc_u32_e32 v3, v2, v1
	v_mad_u64_u32 v[1:2], null, s8, v3, s[8:9]
	v_add_nc_u32_e32 v2, 2, v3
	v_add_nc_u32_e32 v4, v0, v43
	;; [unrolled: 1-line block ×3, first 2 shown]
	v_mul_lo_u32 v45, s8, v2
	v_ashrrev_i32_e32 v49, 31, v4
	v_mul_lo_u32 v44, s8, v3
	v_add_nc_u32_e32 v2, v0, v1
	v_add3_u32 v4, v49, v43, v0
	v_xor_b32_e32 v3, s87, v49
	v_ashrrev_i32_e32 v50, 31, v2
	v_add_nc_u32_e32 v2, v0, v45
	v_add_nc_u32_e32 v5, v0, v44
	v_xor_b32_e32 v48, v4, v49
	v_xor_b32_e32 v9, s88, v49
	v_add3_u32 v10, v50, v1, v0
	v_ashrrev_i32_e32 v52, 31, v2
	v_ashrrev_i32_e32 v53, 31, v5
	v_mul_hi_u32 v2, v48, v37
	v_mul_hi_u32 v14, v48, v38
	v_xor_b32_e32 v51, v10, v50
	v_add3_u32 v10, v52, v45, v0
	v_add3_u32 v12, v53, v44, v0
	v_xor_b32_e32 v4, s87, v50
	v_xor_b32_e32 v5, s87, v52
	v_mul_hi_u32 v16, v51, v37
	v_xor_b32_e32 v54, v10, v52
	v_xor_b32_e32 v55, v12, v53
	v_mul_lo_u32 v12, v2, s79
	v_mul_lo_u32 v18, v14, s82
	v_add_nc_u32_e32 v17, 1, v2
	v_mul_hi_u32 v20, v54, v37
	v_add_nc_u32_e32 v19, 1, v14
	v_mul_lo_u32 v24, v16, s79
	v_mul_hi_u32 v21, v55, v37
	v_add_nc_u32_e32 v25, 1, v16
	v_sub_nc_u32_e32 v12, v48, v12
	v_sub_nc_u32_e32 v18, v48, v18
	v_mul_hi_u32 v10, v51, v38
	v_mul_lo_u32 v28, v20, s79
	v_add_nc_u32_e32 v29, 1, v20
	v_cmp_le_u32_e32 vcc_lo, s79, v12
	v_sub_nc_u32_e32 v24, v51, v24
	v_cmp_le_u32_e64 s0, s82, v18
	v_mul_lo_u32 v30, v21, s79
	v_add_nc_u32_e32 v31, 1, v21
	v_cndmask_b32_e32 v2, v2, v17, vcc_lo
	v_subrev_nc_u32_e32 v17, s79, v12
	v_cndmask_b32_e64 v14, v14, v19, s0
	v_subrev_nc_u32_e32 v19, s82, v18
	v_sub_nc_u32_e32 v28, v54, v28
	v_mul_lo_u32 v26, v10, s82
	v_cndmask_b32_e32 v12, v12, v17, vcc_lo
	v_cmp_le_u32_e32 vcc_lo, s79, v24
	v_cndmask_b32_e64 v18, v18, v19, s0
	v_add_nc_u32_e32 v17, 1, v2
	v_add_nc_u32_e32 v19, 1, v14
	v_cmp_le_u32_e64 s1, s79, v12
	v_cndmask_b32_e32 v16, v16, v25, vcc_lo
	v_subrev_nc_u32_e32 v25, s79, v24
	v_cmp_le_u32_e64 s2, s82, v18
	v_sub_nc_u32_e32 v30, v55, v30
	v_cndmask_b32_e64 v2, v2, v17, s1
	v_add_nc_u32_e32 v17, 1, v16
	v_cndmask_b32_e32 v12, v24, v25, vcc_lo
	v_cmp_le_u32_e32 vcc_lo, s79, v28
	v_subrev_nc_u32_e32 v24, s79, v28
	v_cndmask_b32_e64 v14, v14, v19, s2
	v_cmp_le_u32_e64 s1, s79, v30
	v_cmp_le_u32_e64 s2, s79, v12
	v_cndmask_b32_e32 v20, v20, v29, vcc_lo
	v_subrev_nc_u32_e32 v25, s79, v30
	v_xor_b32_e32 v2, v2, v3
	v_cndmask_b32_e64 v21, v21, v31, s1
	v_cndmask_b32_e64 v12, v16, v17, s2
	v_cndmask_b32_e32 v16, v28, v24, vcc_lo
	v_add_nc_u32_e32 v17, 1, v20
	v_cndmask_b32_e64 v18, v30, v25, s1
	v_sub_nc_u32_e32 v24, v2, v3
	v_xor_b32_e32 v2, v12, v4
	v_cmp_le_u32_e32 vcc_lo, s79, v16
	v_add_nc_u32_e32 v19, 1, v21
	v_xor_b32_e32 v11, s87, v53
	v_mul_hi_u32 v22, v54, v38
	v_sub_nc_u32_e32 v26, v51, v26
	v_cndmask_b32_e32 v3, v20, v17, vcc_lo
	v_cmp_le_u32_e32 vcc_lo, s79, v18
	v_sub_nc_u32_e32 v17, v2, v4
	v_mul_lo_u32 v16, v24, s33
	v_add_nc_u32_e32 v27, 1, v10
	v_cmp_le_u32_e64 s0, s82, v26
	v_cndmask_b32_e32 v12, v21, v19, vcc_lo
	v_mul_lo_u32 v18, v17, s33
	v_xor_b32_e32 v2, v3, v5
	v_mul_lo_u32 v32, v22, s82
	v_cndmask_b32_e64 v10, v10, v27, s0
	v_xor_b32_e32 v12, v12, v11
	v_subrev_nc_u32_e32 v27, s82, v26
	v_sub_nc_u32_e32 v19, v2, v5
	v_sub_nc_u32_e32 v2, v43, v16
	v_add_nc_u32_e32 v33, 1, v22
	v_sub_nc_u32_e32 v16, v12, v11
	v_sub_nc_u32_e32 v12, v1, v18
	v_cndmask_b32_e64 v3, v26, v27, s0
	v_add_nc_u32_e32 v2, v0, v2
	v_sub_nc_u32_e32 v32, v54, v32
	v_mul_lo_u32 v11, v19, s33
	v_add_nc_u32_e32 v12, v0, v12
	v_mul_lo_u32 v21, v16, s33
	v_mul_lo_u32 v2, v2, s13
	v_cmp_le_u32_e64 s0, s82, v3
	v_add_nc_u32_e32 v4, 1, v10
	v_mul_lo_u32 v3, v12, s13
	v_cmp_le_u32_e32 vcc_lo, s82, v32
	v_subrev_nc_u32_e32 v5, s82, v32
	v_sub_nc_u32_e32 v11, v45, v11
	v_xor_b32_e32 v14, v14, v9
	v_mul_hi_u32 v23, v55, v38
	v_cndmask_b32_e32 v20, v22, v33, vcc_lo
	v_cndmask_b32_e64 v22, v10, v4, s0
	v_sub_nc_u32_e32 v10, v44, v21
	v_cndmask_b32_e32 v25, v32, v5, vcc_lo
	v_mad_u64_u32 v[4:5], null, v24, s12, v[2:3]
	v_add_nc_u32_e32 v11, v0, v11
	v_add_nc_u32_e32 v5, v0, v10
	v_sub_nc_u32_e32 v14, v14, v9
	v_mul_lo_u32 v34, v23, s82
	v_xor_b32_e32 v13, s88, v50
	v_mul_lo_u32 v2, v11, s13
	v_mad_u64_u32 v[9:10], null, v17, s12, v[3:4]
	v_mul_lo_u32 v3, v5, s13
	v_ashrrev_i32_e32 v5, 31, v4
	v_mul_lo_u32 v17, v14, s72
	v_sub_nc_u32_e32 v34, v55, v34
	v_add_nc_u32_e32 v35, 1, v23
	v_add_nc_u32_e32 v21, 1, v20
	v_ashrrev_i32_e32 v10, 31, v9
	v_lshlrev_b64 v[4:5], 3, v[4:5]
	v_mad_u64_u32 v[11:12], null, v19, s12, v[2:3]
	v_subrev_nc_u32_e32 v18, s82, v34
	v_lshlrev_b64 v[9:10], 3, v[9:10]
	v_xor_b32_e32 v19, v22, v13
	v_mad_u64_u32 v[2:3], null, v16, s12, v[3:4]
	v_add_co_u32 v4, vcc_lo, s10, v4
	v_ashrrev_i32_e32 v12, 31, v11
	v_add_co_ci_u32_e64 v5, null, s11, v5, vcc_lo
	v_add_co_u32 v9, vcc_lo, s10, v9
	v_lshlrev_b64 v[11:12], 3, v[11:12]
	v_add_co_ci_u32_e64 v10, null, s11, v10, vcc_lo
	v_sub_nc_u32_e32 v22, v43, v17
	v_cmp_le_u32_e64 s0, s82, v25
	v_sub_nc_u32_e32 v13, v19, v13
	v_add_co_u32 v16, vcc_lo, s10, v11
	v_add_co_ci_u32_e64 v17, null, s11, v12, vcc_lo
	v_cmp_le_u32_e32 vcc_lo, s82, v34
	v_mul_hi_u32 v19, v46, v40
	v_xor_b32_e32 v15, s88, v52
	v_cndmask_b32_e64 v11, v20, v21, s0
	v_xor_b32_e32 v21, s88, v53
	v_cndmask_b32_e32 v3, v23, v35, vcc_lo
	v_cndmask_b32_e32 v12, v34, v18, vcc_lo
	v_mul_lo_u32 v20, v13, s72
	v_xor_b32_e32 v11, v11, v15
	v_add_nc_u32_e32 v18, 1, v3
	v_cmp_le_u32_e32 vcc_lo, s82, v12
	v_sub_nc_u32_e32 v15, v11, v15
	v_add_nc_u32_e32 v11, v0, v22
	v_sub_nc_u32_e32 v20, v1, v20
	v_cndmask_b32_e32 v12, v3, v18, vcc_lo
	v_mul_lo_u32 v18, v19, s84
	v_mul_lo_u32 v22, v15, s72
	;; [unrolled: 1-line block ×3, first 2 shown]
	v_ashrrev_i32_e32 v3, 31, v2
	v_xor_b32_e32 v12, v12, v21
	v_add_nc_u32_e32 v20, v0, v20
	v_lshlrev_b64 v[2:3], 3, v[2:3]
	v_sub_nc_u32_e32 v26, v12, v21
	v_sub_nc_u32_e32 v12, v46, v18
	v_add_nc_u32_e32 v18, 1, v19
	v_sub_nc_u32_e32 v21, v45, v22
	v_mul_lo_u32 v22, v26, s72
	v_subrev_nc_u32_e32 v23, s84, v12
	v_cmp_le_u32_e32 vcc_lo, s84, v12
	v_cndmask_b32_e32 v24, v19, v18, vcc_lo
	v_mad_u64_u32 v[18:19], null, v14, s16, v[11:12]
	v_cndmask_b32_e32 v12, v12, v23, vcc_lo
	v_add_nc_u32_e32 v19, v0, v21
	v_add_nc_u32_e32 v14, 1, v24
	v_mul_lo_u32 v11, v20, s17
	v_sub_nc_u32_e32 v20, v44, v22
	v_cmp_le_u32_e32 vcc_lo, s84, v12
	v_xor_b32_e32 v22, s90, v47
	v_mul_lo_u32 v12, v19, s17
	v_ashrrev_i32_e32 v19, 31, v18
	v_cndmask_b32_e32 v14, v24, v14, vcc_lo
	v_add_co_u32 v2, vcc_lo, s10, v2
	v_add_co_ci_u32_e64 v3, null, s11, v3, vcc_lo
	v_xor_b32_e32 v14, v14, v22
	v_add_nc_u32_e32 v24, v0, v20
	v_mad_u64_u32 v[20:21], null, v13, s16, v[11:12]
	v_sub_nc_u32_e32 v27, v14, v22
	v_mad_u64_u32 v[22:23], null, v15, s16, v[12:13]
	s_clause 0x3
	global_load_dwordx2 v[14:15], v[4:5], off
	global_load_dwordx2 v[12:13], v[9:10], off
	;; [unrolled: 1-line block ×4, first 2 shown]
	v_mul_lo_u32 v11, v24, s17
	v_mad_u64_u32 v[24:25], null, s95, v27, v[0:1]
	v_lshlrev_b64 v[4:5], 3, v[18:19]
	v_ashrrev_i32_e32 v21, 31, v20
	v_ashrrev_i32_e32 v23, 31, v22
	v_mul_lo_u32 v9, v24, s23
	v_lshlrev_b64 v[16:17], 3, v[20:21]
	v_lshlrev_b64 v[20:21], 3, v[22:23]
	v_add_co_u32 v4, vcc_lo, s14, v4
	v_add_co_ci_u32_e64 v5, null, s15, v5, vcc_lo
	v_add_co_u32 v16, vcc_lo, s14, v16
	v_add_co_ci_u32_e64 v17, null, s15, v17, vcc_lo
	;; [unrolled: 2-line block ×3, first 2 shown]
	s_waitcnt vmcnt(2)
	v_mad_u64_u32 v[10:11], null, v26, s16, v[11:12]
	v_mad_u64_u32 v[18:19], null, v27, s22, v[9:10]
	v_ashrrev_i32_e32 v11, 31, v10
	v_lshlrev_b64 v[9:10], 3, v[10:11]
	v_ashrrev_i32_e32 v19, 31, v18
	v_lshlrev_b64 v[18:19], 3, v[18:19]
	v_add_co_u32 v9, vcc_lo, s14, v9
	v_add_co_ci_u32_e64 v10, null, s15, v10, vcc_lo
	v_add_co_u32 v22, vcc_lo, s20, v18
	v_add_co_ci_u32_e64 v23, null, s21, v19, vcc_lo
	s_clause 0x3
	global_load_dwordx2 v[18:19], v[4:5], off
	global_load_dwordx2 v[16:17], v[16:17], off
	;; [unrolled: 1-line block ×5, first 2 shown]
	s_andn2_b32 vcc_lo, exec_lo, s76
	s_cbranch_vccz .LBB1_2
; %bb.5:                                ;   in Loop: Header=BB1_4 Depth=1
	v_mov_b32_e32 v20, 0
	v_mov_b32_e32 v32, 0
	v_mov_b32_e32 v6, 0
	v_mov_b32_e32 v22, 0
	v_mov_b32_e32 v8, 0
	v_mov_b32_e32 v34, 0
	v_mov_b32_e32 v24, 0
	v_mov_b32_e32 v26, 0
	v_mov_b32_e32 v21, 0
	v_mov_b32_e32 v33, 0
	v_mov_b32_e32 v7, 0
	v_mov_b32_e32 v23, 0
	v_mov_b32_e32 v9, 0
	v_mov_b32_e32 v35, 0
	v_mov_b32_e32 v25, 0
	v_mov_b32_e32 v27, 0
	s_branch .LBB1_3
.LBB1_6:
	s_endpgm
	.section	.rodata,"a",@progbits
	.p2align	6, 0x0
	.amdhsa_kernel _ZN2at6native12_GLOBAL__N_16kernel17lstm_cell_forwardIddiLi2EEEvNS_4cuda6detail10TensorInfoIT_T1_EES9_S9_S9_S9_S9_S9_S9_S8_S8_
		.amdhsa_group_segment_fixed_size 0
		.amdhsa_private_segment_fixed_size 0
		.amdhsa_kernarg_size 1992
		.amdhsa_user_sgpr_count 6
		.amdhsa_user_sgpr_private_segment_buffer 1
		.amdhsa_user_sgpr_dispatch_ptr 0
		.amdhsa_user_sgpr_queue_ptr 0
		.amdhsa_user_sgpr_kernarg_segment_ptr 1
		.amdhsa_user_sgpr_dispatch_id 0
		.amdhsa_user_sgpr_flat_scratch_init 0
		.amdhsa_user_sgpr_private_segment_size 0
		.amdhsa_wavefront_size32 1
		.amdhsa_uses_dynamic_stack 0
		.amdhsa_system_sgpr_private_segment_wavefront_offset 0
		.amdhsa_system_sgpr_workgroup_id_x 1
		.amdhsa_system_sgpr_workgroup_id_y 0
		.amdhsa_system_sgpr_workgroup_id_z 0
		.amdhsa_system_sgpr_workgroup_info 0
		.amdhsa_system_vgpr_workitem_id 0
		.amdhsa_next_free_vgpr 72
		.amdhsa_next_free_sgpr 98
		.amdhsa_reserve_vcc 1
		.amdhsa_reserve_flat_scratch 0
		.amdhsa_float_round_mode_32 0
		.amdhsa_float_round_mode_16_64 0
		.amdhsa_float_denorm_mode_32 3
		.amdhsa_float_denorm_mode_16_64 3
		.amdhsa_dx10_clamp 1
		.amdhsa_ieee_mode 1
		.amdhsa_fp16_overflow 0
		.amdhsa_workgroup_processor_mode 1
		.amdhsa_memory_ordered 1
		.amdhsa_forward_progress 1
		.amdhsa_shared_vgpr_count 0
		.amdhsa_exception_fp_ieee_invalid_op 0
		.amdhsa_exception_fp_denorm_src 0
		.amdhsa_exception_fp_ieee_div_zero 0
		.amdhsa_exception_fp_ieee_overflow 0
		.amdhsa_exception_fp_ieee_underflow 0
		.amdhsa_exception_fp_ieee_inexact 0
		.amdhsa_exception_int_div_zero 0
	.end_amdhsa_kernel
	.section	.text._ZN2at6native12_GLOBAL__N_16kernel17lstm_cell_forwardIddiLi2EEEvNS_4cuda6detail10TensorInfoIT_T1_EES9_S9_S9_S9_S9_S9_S9_S8_S8_,"axG",@progbits,_ZN2at6native12_GLOBAL__N_16kernel17lstm_cell_forwardIddiLi2EEEvNS_4cuda6detail10TensorInfoIT_T1_EES9_S9_S9_S9_S9_S9_S9_S8_S8_,comdat
.Lfunc_end1:
	.size	_ZN2at6native12_GLOBAL__N_16kernel17lstm_cell_forwardIddiLi2EEEvNS_4cuda6detail10TensorInfoIT_T1_EES9_S9_S9_S9_S9_S9_S9_S8_S8_, .Lfunc_end1-_ZN2at6native12_GLOBAL__N_16kernel17lstm_cell_forwardIddiLi2EEEvNS_4cuda6detail10TensorInfoIT_T1_EES9_S9_S9_S9_S9_S9_S9_S8_S8_
                                        ; -- End function
	.set _ZN2at6native12_GLOBAL__N_16kernel17lstm_cell_forwardIddiLi2EEEvNS_4cuda6detail10TensorInfoIT_T1_EES9_S9_S9_S9_S9_S9_S9_S8_S8_.num_vgpr, 72
	.set _ZN2at6native12_GLOBAL__N_16kernel17lstm_cell_forwardIddiLi2EEEvNS_4cuda6detail10TensorInfoIT_T1_EES9_S9_S9_S9_S9_S9_S9_S8_S8_.num_agpr, 0
	.set _ZN2at6native12_GLOBAL__N_16kernel17lstm_cell_forwardIddiLi2EEEvNS_4cuda6detail10TensorInfoIT_T1_EES9_S9_S9_S9_S9_S9_S9_S8_S8_.numbered_sgpr, 98
	.set _ZN2at6native12_GLOBAL__N_16kernel17lstm_cell_forwardIddiLi2EEEvNS_4cuda6detail10TensorInfoIT_T1_EES9_S9_S9_S9_S9_S9_S9_S8_S8_.num_named_barrier, 0
	.set _ZN2at6native12_GLOBAL__N_16kernel17lstm_cell_forwardIddiLi2EEEvNS_4cuda6detail10TensorInfoIT_T1_EES9_S9_S9_S9_S9_S9_S9_S8_S8_.private_seg_size, 0
	.set _ZN2at6native12_GLOBAL__N_16kernel17lstm_cell_forwardIddiLi2EEEvNS_4cuda6detail10TensorInfoIT_T1_EES9_S9_S9_S9_S9_S9_S9_S8_S8_.uses_vcc, 1
	.set _ZN2at6native12_GLOBAL__N_16kernel17lstm_cell_forwardIddiLi2EEEvNS_4cuda6detail10TensorInfoIT_T1_EES9_S9_S9_S9_S9_S9_S9_S8_S8_.uses_flat_scratch, 0
	.set _ZN2at6native12_GLOBAL__N_16kernel17lstm_cell_forwardIddiLi2EEEvNS_4cuda6detail10TensorInfoIT_T1_EES9_S9_S9_S9_S9_S9_S9_S8_S8_.has_dyn_sized_stack, 0
	.set _ZN2at6native12_GLOBAL__N_16kernel17lstm_cell_forwardIddiLi2EEEvNS_4cuda6detail10TensorInfoIT_T1_EES9_S9_S9_S9_S9_S9_S9_S8_S8_.has_recursion, 0
	.set _ZN2at6native12_GLOBAL__N_16kernel17lstm_cell_forwardIddiLi2EEEvNS_4cuda6detail10TensorInfoIT_T1_EES9_S9_S9_S9_S9_S9_S9_S8_S8_.has_indirect_call, 0
	.section	.AMDGPU.csdata,"",@progbits
; Kernel info:
; codeLenInByte = 7076
; TotalNumSgprs: 100
; NumVgprs: 72
; ScratchSize: 0
; MemoryBound: 0
; FloatMode: 240
; IeeeMode: 1
; LDSByteSize: 0 bytes/workgroup (compile time only)
; SGPRBlocks: 0
; VGPRBlocks: 8
; NumSGPRsForWavesPerEU: 100
; NumVGPRsForWavesPerEU: 72
; Occupancy: 12
; WaveLimiterHint : 1
; COMPUTE_PGM_RSRC2:SCRATCH_EN: 0
; COMPUTE_PGM_RSRC2:USER_SGPR: 6
; COMPUTE_PGM_RSRC2:TRAP_HANDLER: 0
; COMPUTE_PGM_RSRC2:TGID_X_EN: 1
; COMPUTE_PGM_RSRC2:TGID_Y_EN: 0
; COMPUTE_PGM_RSRC2:TGID_Z_EN: 0
; COMPUTE_PGM_RSRC2:TIDIG_COMP_CNT: 0
	.section	.text._ZN2at6native12_GLOBAL__N_16kernel17lstm_cell_forwardIddlLi1EEEvNS_4cuda6detail10TensorInfoIT_T1_EES9_S9_S9_S9_S9_S9_S9_S8_S8_,"axG",@progbits,_ZN2at6native12_GLOBAL__N_16kernel17lstm_cell_forwardIddlLi1EEEvNS_4cuda6detail10TensorInfoIT_T1_EES9_S9_S9_S9_S9_S9_S9_S8_S8_,comdat
	.globl	_ZN2at6native12_GLOBAL__N_16kernel17lstm_cell_forwardIddlLi1EEEvNS_4cuda6detail10TensorInfoIT_T1_EES9_S9_S9_S9_S9_S9_S9_S8_S8_ ; -- Begin function _ZN2at6native12_GLOBAL__N_16kernel17lstm_cell_forwardIddlLi1EEEvNS_4cuda6detail10TensorInfoIT_T1_EES9_S9_S9_S9_S9_S9_S9_S8_S8_
	.p2align	8
	.type	_ZN2at6native12_GLOBAL__N_16kernel17lstm_cell_forwardIddlLi1EEEvNS_4cuda6detail10TensorInfoIT_T1_EES9_S9_S9_S9_S9_S9_S9_S8_S8_,@function
_ZN2at6native12_GLOBAL__N_16kernel17lstm_cell_forwardIddlLi1EEEvNS_4cuda6detail10TensorInfoIT_T1_EES9_S9_S9_S9_S9_S9_S9_S8_S8_: ; @_ZN2at6native12_GLOBAL__N_16kernel17lstm_cell_forwardIddlLi1EEEvNS_4cuda6detail10TensorInfoIT_T1_EES9_S9_S9_S9_S9_S9_S9_S8_S8_
; %bb.0:
	s_clause 0x1
	s_load_dword s2, s[4:5], 0xd1c
	s_load_dwordx4 s[8:11], s[4:5], 0xd00
	v_mov_b32_e32 v1, 0
	s_add_u32 s0, s4, 0xd10
	s_addc_u32 s1, s5, 0
	s_mov_b32 s3, exec_lo
	s_waitcnt lgkmcnt(0)
	s_and_b32 s2, s2, 0xffff
	v_mad_u64_u32 v[3:4], null, s6, s2, v[0:1]
	v_mov_b32_e32 v4, v1
	v_cmpx_gt_i64_e64 s[10:11], v[3:4]
	s_cbranch_execz .LBB2_10
; %bb.1:
	s_clause 0x4
	s_load_dwordx2 s[28:29], s[4:5], 0x750
	s_load_dwordx2 s[6:7], s[4:5], 0x340
	;; [unrolled: 1-line block ×5, first 2 shown]
	s_load_dword s3, s[0:1], 0x0
	s_clause 0xa
	s_load_dwordx2 s[12:13], s[4:5], 0x0
	s_load_dwordx2 s[14:15], s[4:5], 0xd0
	;; [unrolled: 1-line block ×11, first 2 shown]
	s_mul_i32 s40, s9, 3
	s_mul_hi_u32 s41, s8, 3
	s_mov_b32 s42, 0x3b39803f
	s_waitcnt lgkmcnt(0)
	v_mul_lo_u32 v0, 0, s28
	v_mul_lo_u32 v2, v3, s29
	v_mad_u64_u32 v[5:6], null, v3, s28, 0
	v_mul_lo_u32 v9, 0, s36
	v_mad_u64_u32 v[7:8], null, v3, s36, 0
	s_cmp_lg_u64 s[6:7], 0
	s_mul_i32 s72, s3, s2
	s_cselect_b32 s73, -1, 0
	v_add3_u32 v6, v6, v2, v0
	v_mul_lo_u32 v0, v3, s37
	s_add_i32 s74, s41, s40
	s_mul_i32 s2, s72, s29
	v_mul_lo_u32 v2, v3, s39
	v_lshlrev_b64 v[5:6], 3, v[5:6]
	s_mul_hi_u32 s3, s72, s28
	s_sub_u32 s76, 0, s8
	s_subb_u32 s77, 0, s9
	v_add3_u32 v8, v8, v0, v9
	v_mul_lo_u32 v0, 0, s38
	v_mad_u64_u32 v[9:10], null, v3, s38, 0
	v_add_co_u32 v5, vcc_lo, s30, v5
	v_lshlrev_b64 v[7:8], 3, v[7:8]
	s_add_i32 s3, s3, s2
	s_mul_i32 s2, s72, s28
	v_add_co_ci_u32_e64 v6, null, s31, v6, vcc_lo
	v_add3_u32 v10, v10, v2, v0
	v_add_co_u32 v7, vcc_lo, s34, v7
	s_lshl_b64 s[28:29], s[2:3], 3
	s_mul_i32 s2, s72, s37
	v_lshlrev_b64 v[9:10], 3, v[9:10]
	s_mul_hi_u32 s3, s72, s36
	v_add_co_ci_u32_e64 v8, null, s35, v8, vcc_lo
	s_add_i32 s3, s3, s2
	s_mul_i32 s2, s72, s36
	v_add_co_u32 v9, vcc_lo, s0, v9
	s_mul_i32 s34, s72, s39
	s_mul_hi_u32 s35, s72, s38
	v_add_co_ci_u32_e64 v10, null, s1, v10, vcc_lo
	s_lshl_b64 s[30:31], s[2:3], 3
	s_add_i32 s3, s35, s34
	s_mul_i32 s2, s72, s38
	s_mov_b32 s38, 0x652b82fe
	s_mov_b32 s40, 0xfefa39ef
	s_mov_b32 s44, 0xfca7ab0c
	s_mov_b32 s46, 0x6a5dcb37
	s_mov_b32 s48, 0x623fde64
	s_mov_b32 s50, 0x7c89e6b0
	s_mov_b32 s52, 0x14761f6e
	s_mov_b32 s54, 0x1852b7b0
	s_mov_b32 s56, 0x11122322
	s_mov_b32 s58, 0x555502a1
	s_mov_b32 s60, 0x55555511
	s_mov_b32 s62, 11
	s_mov_b32 s68, 0xf278e000
	s_mov_b32 s70, 0xf97b57a0
	s_mov_b32 s33, 0
	s_mul_i32 s75, s8, 3
	s_lshl_b64 s[34:35], s[2:3], 3
	s_ashr_i32 s36, s9, 31
	s_mov_b32 s39, 0xbff71547
	s_mov_b32 s41, 0xbfe62e42
	;; [unrolled: 1-line block ×17, first 2 shown]
	s_branch .LBB2_5
.LBB2_2:                                ;   in Loop: Header=BB2_5 Depth=1
	s_or_b32 exec_lo, exec_lo, s0
	v_mad_u64_u32 v[16:17], null, v22, 3, 0
	v_mad_u64_u32 v[11:12], null, s75, v22, v[3:4]
	v_mul_lo_u32 v0, s75, v23
	v_mul_lo_u32 v13, s74, v22
	v_mov_b32_e32 v2, v17
	v_add_co_u32 v14, s0, v16, 2
	v_mul_lo_u32 v26, v11, s15
	v_add3_u32 v0, v13, v12, v0
	v_mad_u64_u32 v[17:18], null, v23, 3, v[2:3]
	v_add_co_u32 v2, vcc_lo, v16, 1
	v_mul_lo_u32 v24, s9, v14
	v_mad_u64_u32 v[18:19], null, v11, s14, 0
	v_mul_lo_u32 v20, s9, v2
	v_add_co_ci_u32_e64 v15, null, 0, v17, vcc_lo
	v_mad_u64_u32 v[12:13], null, s8, v2, v[3:4]
	v_add_co_ci_u32_e64 v2, null, 0, v17, s0
	v_mul_lo_u32 v21, s8, v15
	v_mad_u64_u32 v[14:15], null, s8, v14, v[3:4]
	v_mul_lo_u32 v2, s8, v2
	v_add_co_u32 v16, vcc_lo, v16, 3
	v_add_co_ci_u32_e64 v17, null, 0, v17, vcc_lo
	v_add3_u32 v13, v20, v13, v21
	v_mul_lo_u32 v27, v0, s14
	v_mul_lo_u32 v28, v12, s15
	v_mad_u64_u32 v[20:21], null, v12, s14, 0
	v_add3_u32 v2, v24, v15, v2
	v_mul_lo_u32 v29, v13, s14
	v_mul_lo_u32 v17, s8, v17
	;; [unrolled: 1-line block ×3, first 2 shown]
	v_mad_u64_u32 v[15:16], null, s8, v16, v[3:4]
	v_add3_u32 v19, v19, v26, v27
	v_mul_lo_u32 v31, v2, s14
	v_mul_lo_u32 v32, v14, s15
	v_add3_u32 v21, v21, v28, v29
	v_mad_u64_u32 v[24:25], null, v14, s14, 0
	v_add3_u32 v50, v30, v16, v17
	v_lshlrev_b64 v[16:17], 3, v[18:19]
	v_lshlrev_b64 v[18:19], 3, v[20:21]
	v_mul_lo_u32 v27, v15, s15
	v_mad_u64_u32 v[20:21], null, v15, s14, 0
	v_mul_lo_u32 v26, v50, s14
	v_add3_u32 v25, v25, v32, v31
	v_mul_lo_u32 v30, v11, s19
	v_mul_lo_u32 v31, v0, s18
	;; [unrolled: 1-line block ×4, first 2 shown]
	v_mad_u64_u32 v[28:29], null, v12, s18, 0
	v_add3_u32 v21, v21, v27, v26
	v_mad_u64_u32 v[26:27], null, v11, s18, 0
	v_mul_lo_u32 v34, v2, s18
	v_mul_lo_u32 v35, v14, s19
	v_lshlrev_b64 v[24:25], 3, v[24:25]
	v_add3_u32 v29, v29, v33, v32
	v_mul_lo_u32 v38, v50, s18
	v_mul_lo_u32 v39, v15, s19
	v_add3_u32 v27, v27, v30, v31
	v_mad_u64_u32 v[30:31], null, v14, s18, 0
	v_mad_u64_u32 v[32:33], null, v15, s18, 0
	v_add_co_u32 v16, vcc_lo, s12, v16
	v_lshlrev_b64 v[20:21], 3, v[20:21]
	v_add_co_ci_u32_e64 v17, null, s13, v17, vcc_lo
	v_add_co_u32 v18, vcc_lo, s12, v18
	v_lshlrev_b64 v[26:27], 3, v[26:27]
	v_add_co_ci_u32_e64 v19, null, s13, v19, vcc_lo
	v_add_co_u32 v24, vcc_lo, s12, v24
	v_add3_u32 v31, v31, v35, v34
	v_add_co_ci_u32_e64 v25, null, s13, v25, vcc_lo
	v_add_co_u32 v20, vcc_lo, s12, v20
	v_add3_u32 v33, v33, v39, v38
	v_add_co_ci_u32_e64 v21, null, s13, v21, vcc_lo
	v_lshlrev_b64 v[28:29], 3, v[28:29]
	v_add_co_u32 v36, vcc_lo, s16, v26
	v_add_co_ci_u32_e64 v37, null, s17, v27, vcc_lo
	v_lshlrev_b64 v[26:27], 3, v[30:31]
	v_lshlrev_b64 v[30:31], 3, v[32:33]
	v_add_co_u32 v28, vcc_lo, s16, v28
	v_add_co_ci_u32_e64 v29, null, s17, v29, vcc_lo
	v_add_co_u32 v38, vcc_lo, s16, v26
	v_add_co_ci_u32_e64 v39, null, s17, v27, vcc_lo
	;; [unrolled: 2-line block ×3, first 2 shown]
	s_clause 0x3
	global_load_dwordx2 v[30:31], v[16:17], off
	global_load_dwordx2 v[26:27], v[18:19], off
	;; [unrolled: 1-line block ×4, first 2 shown]
	s_clause 0x3
	global_load_dwordx2 v[32:33], v[36:37], off
	global_load_dwordx2 v[28:29], v[28:29], off
	;; [unrolled: 1-line block ×5, first 2 shown]
	s_andn2_b32 vcc_lo, exec_lo, s73
	s_cbranch_vccnz .LBB2_9
; %bb.3:                                ;   in Loop: Header=BB2_5 Depth=1
	v_sub_co_u32 v38, vcc_lo, 1, v22
	v_sub_co_ci_u32_e64 v39, null, 0, v23, vcc_lo
	v_mad_u64_u32 v[24:25], null, s76, v22, v[3:4]
	v_mul_lo_u32 v40, s76, v23
	v_mul_lo_u32 v41, s77, v22
	;; [unrolled: 1-line block ×4, first 2 shown]
	v_mad_u64_u32 v[38:39], null, s8, v38, v[3:4]
	v_mul_lo_u32 v46, v24, s21
	v_add3_u32 v25, v41, v25, v40
	v_sub_co_u32 v41, vcc_lo, 2, v22
	v_add3_u32 v51, v43, v39, v42
	v_sub_co_ci_u32_e64 v42, null, 0, v23, vcc_lo
	v_mul_lo_u32 v44, s9, v41
	v_sub_co_u32 v45, vcc_lo, 3, v22
	v_mul_lo_u32 v43, s8, v42
	v_mad_u64_u32 v[41:42], null, s8, v41, v[3:4]
	v_sub_co_ci_u32_e64 v49, null, 0, v23, vcc_lo
	v_mul_lo_u32 v54, s9, v45
	v_mul_lo_u32 v47, v25, s20
	v_mad_u64_u32 v[39:40], null, v24, s20, 0
	v_add3_u32 v53, v44, v42, v43
	v_mul_lo_u32 v49, s8, v49
	v_mad_u64_u32 v[42:43], null, s8, v45, v[3:4]
	v_mul_lo_u32 v48, v51, s20
	v_mul_lo_u32 v52, v38, s21
	v_mad_u64_u32 v[22:23], null, v38, s20, 0
	v_mul_lo_u32 v55, v53, s20
	v_mul_lo_u32 v56, v41, s21
	v_mad_u64_u32 v[44:45], null, v41, s20, 0
	v_add3_u32 v54, v54, v43, v49
	v_add3_u32 v40, v40, v46, v47
	v_add3_u32 v23, v23, v52, v48
	v_mul_lo_u32 v49, v42, s21
	v_mad_u64_u32 v[46:47], null, v42, s20, 0
	v_add3_u32 v45, v45, v56, v55
	v_mul_lo_u32 v48, v54, s20
	v_lshlrev_b64 v[39:40], 3, v[39:40]
	v_lshlrev_b64 v[22:23], 3, v[22:23]
	v_mul_lo_u32 v55, v25, s24
	v_lshlrev_b64 v[43:44], 3, v[44:45]
	v_mul_lo_u32 v56, v51, s24
	v_mul_lo_u32 v57, v38, s25
	v_add_co_u32 v39, vcc_lo, s6, v39
	v_add3_u32 v47, v47, v49, v48
	v_add_co_ci_u32_e64 v40, null, s7, v40, vcc_lo
	v_add_co_u32 v22, vcc_lo, s6, v22
	v_add_co_ci_u32_e64 v23, null, s7, v23, vcc_lo
	v_add_co_u32 v48, vcc_lo, s6, v43
	v_add_co_ci_u32_e64 v49, null, s7, v44, vcc_lo
	v_lshlrev_b64 v[43:44], 3, v[46:47]
	v_mul_lo_u32 v47, v24, s25
	v_mad_u64_u32 v[24:25], null, v24, s24, 0
	v_mad_u64_u32 v[45:46], null, v38, s24, 0
	v_add_co_u32 v51, vcc_lo, s6, v43
	v_add_co_ci_u32_e64 v52, null, s7, v44, vcc_lo
	v_add3_u32 v25, v25, v47, v55
	v_mul_lo_u32 v38, v53, s24
	v_mul_lo_u32 v47, v41, s25
	v_mad_u64_u32 v[43:44], null, v41, s24, 0
	v_add3_u32 v46, v46, v57, v56
	v_mul_lo_u32 v55, v54, s24
	v_mul_lo_u32 v56, v42, s25
	v_mad_u64_u32 v[41:42], null, v42, s24, 0
	v_lshlrev_b64 v[24:25], 3, v[24:25]
	v_add3_u32 v44, v44, v47, v38
	v_lshlrev_b64 v[45:46], 3, v[45:46]
	v_add3_u32 v42, v42, v56, v55
	v_add_co_u32 v53, vcc_lo, s22, v24
	v_add_co_ci_u32_e64 v54, null, s23, v25, vcc_lo
	v_lshlrev_b64 v[24:25], 3, v[43:44]
	v_lshlrev_b64 v[41:42], 3, v[41:42]
	v_add_co_u32 v55, vcc_lo, s22, v45
	v_add_co_ci_u32_e64 v56, null, s23, v46, vcc_lo
	v_add_co_u32 v46, vcc_lo, s22, v24
	v_add_co_ci_u32_e64 v47, null, s23, v25, vcc_lo
	;; [unrolled: 2-line block ×3, first 2 shown]
	s_clause 0x3
	global_load_dwordx2 v[44:45], v[39:40], off
	global_load_dwordx2 v[40:41], v[22:23], off
	global_load_dwordx2 v[48:49], v[48:49], off
	global_load_dwordx2 v[24:25], v[51:52], off
	s_clause 0x3
	global_load_dwordx2 v[42:43], v[53:54], off
	global_load_dwordx2 v[38:39], v[55:56], off
	;; [unrolled: 1-line block ×4, first 2 shown]
.LBB2_4:                                ;   in Loop: Header=BB2_5 Depth=1
	s_waitcnt vmcnt(2)
	v_add_f64 v[34:35], v[34:35], v[36:37]
	s_mov_b32 s64, s38
	s_mov_b32 s67, s41
	v_add_f64 v[30:31], v[30:31], v[32:33]
	v_add_f64 v[26:27], v[26:27], v[28:29]
	s_waitcnt vmcnt(1)
	v_add_f64 v[16:17], v[16:17], v[18:19]
	v_mul_lo_u32 v0, v0, s4
	v_mul_lo_u32 v2, v2, s4
	v_add_f64 v[34:35], v[34:35], v[48:49]
	v_add_f64 v[30:31], v[30:31], v[44:45]
	;; [unrolled: 1-line block ×7, first 2 shown]
	s_waitcnt vmcnt(0)
	v_add_f64 v[16:17], v[22:23], v[16:17]
	v_mul_f64 v[36:37], |v[34:35]|, s[64:65]
	v_cmp_nlt_f64_e64 s1, 0x4090cc00, v[30:31]
	v_cmp_ngt_f64_e64 s2, 0xc0900000, v[26:27]
	v_rndne_f64_e32 v[36:37], v[36:37]
	v_fma_f64 v[46:47], v[36:37], s[66:67], |v[34:35]|
	v_mul_f64 v[48:49], v[36:37], s[68:69]
	v_add_f64 v[51:52], v[46:47], 0
	v_add_f64 v[53:54], v[51:52], -v[48:49]
	v_add_f64 v[46:47], v[46:47], -v[51:52]
	v_add_f64 v[51:52], v[51:52], -v[53:54]
	v_add_f64 v[46:47], v[46:47], 0
	v_add_f64 v[48:49], v[51:52], -v[48:49]
	v_add_f64 v[46:47], v[46:47], v[48:49]
	v_mul_f64 v[48:49], v[36:37], s[70:71]
	v_add_f64 v[51:52], v[53:54], v[46:47]
	v_add_f64 v[55:56], v[51:52], -v[48:49]
	v_add_f64 v[53:54], v[53:54], -v[51:52]
	;; [unrolled: 1-line block ×3, first 2 shown]
	v_add_f64 v[46:47], v[46:47], v[53:54]
	v_add_f64 v[48:49], v[51:52], -v[48:49]
	v_add_f64 v[46:47], v[46:47], v[48:49]
	v_add_f64 v[48:49], v[55:56], v[46:47]
	v_add_f64 v[51:52], v[55:56], -v[48:49]
	v_mul_f64 v[53:54], v[48:49], v[48:49]
	v_add_f64 v[46:47], v[46:47], v[51:52]
	v_fma_f64 v[51:52], v[48:49], v[48:49], -v[53:54]
	v_add_f64 v[55:56], v[46:47], v[46:47]
	v_fma_f64 v[51:52], v[48:49], v[55:56], v[51:52]
	v_add_f64 v[55:56], v[53:54], v[51:52]
	v_add_f64 v[53:54], v[55:56], -v[53:54]
	v_add_f64 v[51:52], v[51:52], -v[53:54]
	v_fma_f64 v[53:54], v[48:49], s[46:47], s[44:45]
	v_fma_f64 v[53:54], v[48:49], v[53:54], s[48:49]
	;; [unrolled: 1-line block ×9, first 2 shown]
	v_mul_f64 v[57:58], v[55:56], v[53:54]
	v_fma_f64 v[55:56], v[55:56], v[53:54], -v[57:58]
	v_fma_f64 v[51:52], v[51:52], v[53:54], v[55:56]
	v_add_f64 v[53:54], v[57:58], v[51:52]
	v_add_f64 v[55:56], v[53:54], -v[57:58]
	v_cvt_i32_f64_e32 v57, v[36:37]
	v_add_f64 v[51:52], v[51:52], -v[55:56]
	v_add_f64 v[55:56], v[48:49], v[53:54]
	v_add_f64 v[46:47], v[46:47], v[51:52]
	v_add_f64 v[48:49], v[55:56], -v[48:49]
	v_add_f64 v[48:49], v[53:54], -v[48:49]
	v_add_f64 v[46:47], v[46:47], v[48:49]
	v_add_f64 v[48:49], v[55:56], v[46:47]
	v_add_f64 v[51:52], v[48:49], 1.0
	v_add_f64 v[53:54], v[48:49], -v[55:56]
	v_add_f64 v[55:56], v[51:52], -1.0
	v_add_f64 v[46:47], v[46:47], -v[53:54]
	v_add_f64 v[48:49], v[48:49], -v[55:56]
	v_add_f64 v[46:47], v[46:47], v[48:49]
	v_add_f64 v[36:37], v[51:52], v[46:47]
	v_ldexp_f64 v[48:49], v[36:37], v57
	v_add_f64 v[36:37], v[36:37], -v[51:52]
	v_rcp_f64_e32 v[53:54], v[48:49]
	v_add_f64 v[32:33], v[46:47], -v[36:37]
	v_ldexp_f64 v[32:33], v[32:33], v57
	v_fma_f64 v[55:56], -v[48:49], v[53:54], 1.0
	v_fma_f64 v[53:54], v[55:56], v[53:54], v[53:54]
	v_fma_f64 v[51:52], -v[48:49], v[53:54], 1.0
	v_fma_f64 v[51:52], v[51:52], v[53:54], v[53:54]
	v_mul_f64 v[36:37], v[48:49], v[51:52]
	v_fma_f64 v[44:45], v[51:52], v[48:49], -v[36:37]
	v_fma_f64 v[42:43], v[51:52], v[32:33], v[44:45]
	v_mul_f64 v[44:45], v[30:31], s[38:39]
	v_add_f64 v[46:47], v[36:37], v[42:43]
	v_rndne_f64_e32 v[44:45], v[44:45]
	v_add_f64 v[36:37], v[46:47], -v[36:37]
	v_add_f64 v[53:54], -v[46:47], 1.0
	v_fma_f64 v[55:56], v[44:45], s[40:41], -v[30:31]
	v_cvt_i32_f64_e32 v57, v[44:45]
	v_add_f64 v[36:37], v[36:37], -v[42:43]
	v_add_f64 v[42:43], -v[53:54], 1.0
	v_fma_f64 v[55:56], v[44:45], s[42:43], v[55:56]
	v_add_f64 v[42:43], v[42:43], -v[46:47]
	v_fma_f64 v[46:47], v[55:56], s[46:47], s[44:45]
	v_add_f64 v[36:37], v[36:37], v[42:43]
	v_fma_f64 v[46:47], v[55:56], v[46:47], s[48:49]
	v_fma_f64 v[46:47], v[55:56], v[46:47], s[50:51]
	;; [unrolled: 1-line block ×5, first 2 shown]
	v_add_f64 v[46:47], v[53:54], v[36:37]
	v_fma_f64 v[28:29], v[55:56], v[42:43], s[58:59]
	v_mul_f64 v[42:43], v[51:52], v[46:47]
	v_add_f64 v[53:54], v[53:54], -v[46:47]
	v_fma_f64 v[28:29], v[55:56], v[28:29], s[60:61]
	v_mul_f64 v[40:41], v[48:49], v[42:43]
	v_add_f64 v[36:37], v[36:37], v[53:54]
	v_fma_f64 v[28:29], v[55:56], v[28:29], s[62:63]
	v_fma_f64 v[38:39], v[42:43], v[48:49], -v[40:41]
	v_fma_f64 v[28:29], v[55:56], v[28:29], 1.0
	v_fma_f64 v[38:39], v[42:43], v[32:33], v[38:39]
	v_fma_f64 v[28:29], v[55:56], v[28:29], 1.0
	v_add_f64 v[55:56], v[40:41], v[38:39]
	v_ldexp_f64 v[28:29], v[28:29], v57
	v_add_f64 v[40:41], v[55:56], -v[40:41]
	v_add_f64 v[53:54], v[46:47], -v[55:56]
	v_add_f64 v[28:29], v[28:29], 1.0
	v_add_f64 v[38:39], v[40:41], -v[38:39]
	v_mul_f64 v[40:41], v[26:27], s[38:39]
	v_add_f64 v[46:47], v[46:47], -v[53:54]
	v_rndne_f64_e32 v[40:41], v[40:41]
	v_add_f64 v[46:47], v[46:47], -v[55:56]
	v_fma_f64 v[55:56], v[40:41], s[40:41], -v[26:27]
	v_add_f64 v[36:37], v[36:37], v[46:47]
	v_cvt_i32_f64_e32 v57, v[40:41]
	v_fma_f64 v[55:56], v[40:41], s[42:43], v[55:56]
	v_add_f64 v[36:37], v[38:39], v[36:37]
	v_add_f64 v[38:39], v[51:52], v[42:43]
	v_fma_f64 v[46:47], v[55:56], s[46:47], s[44:45]
	v_add_f64 v[36:37], v[53:54], v[36:37]
	v_add_f64 v[44:45], v[38:39], -v[51:52]
	v_fma_f64 v[46:47], v[55:56], v[46:47], s[48:49]
	v_mul_f64 v[36:37], v[51:52], v[36:37]
	v_add_f64 v[42:43], v[42:43], -v[44:45]
	v_fma_f64 v[46:47], v[55:56], v[46:47], s[50:51]
	v_add_f64 v[36:37], v[42:43], v[36:37]
	v_fma_f64 v[46:47], v[55:56], v[46:47], s[52:53]
	v_fma_f64 v[46:47], v[55:56], v[46:47], s[54:55]
	v_fma_f64 v[46:47], v[55:56], v[46:47], s[56:57]
	v_fma_f64 v[46:47], v[55:56], v[46:47], s[58:59]
	v_fma_f64 v[46:47], v[55:56], v[46:47], s[60:61]
	v_fma_f64 v[44:45], v[55:56], v[46:47], s[62:63]
	v_add_f64 v[46:47], v[38:39], v[36:37]
	v_fma_f64 v[42:43], v[55:56], v[44:45], 1.0
	v_div_scale_f64 v[44:45], null, v[28:29], v[28:29], 1.0
	v_add_f64 v[38:39], v[46:47], -v[38:39]
	v_add_f64 v[51:52], v[48:49], -v[46:47]
	v_add_f64 v[53:54], v[48:49], v[46:47]
	v_fma_f64 v[40:41], v[55:56], v[42:43], 1.0
	v_rcp_f64_e32 v[42:43], v[44:45]
	v_add_f64 v[36:37], v[36:37], -v[38:39]
	v_add_f64 v[38:39], v[48:49], -v[51:52]
	;; [unrolled: 1-line block ×3, first 2 shown]
	v_ldexp_f64 v[40:41], v[40:41], v57
	v_fma_f64 v[55:56], -v[44:45], v[42:43], 1.0
	v_add_f64 v[38:39], v[38:39], -v[46:47]
	v_add_f64 v[46:47], v[46:47], -v[48:49]
	v_add_f64 v[48:49], v[32:33], v[36:37]
	v_add_f64 v[40:41], v[40:41], 1.0
	v_fma_f64 v[42:43], v[42:43], v[55:56], v[42:43]
	v_add_f64 v[32:33], v[32:33], v[38:39]
	v_add_f64 v[46:47], v[48:49], v[46:47]
	v_div_scale_f64 v[55:56], null, v[40:41], v[40:41], 1.0
	v_add_f64 v[32:33], v[32:33], -v[36:37]
	v_add_f64 v[38:39], v[53:54], v[46:47]
	v_rcp_f64_e32 v[48:49], v[55:56]
	v_rcp_f64_e32 v[36:37], v[38:39]
	v_add_f64 v[53:54], v[38:39], -v[53:54]
	v_fma_f64 v[57:58], -v[55:56], v[48:49], 1.0
	v_add_f64 v[46:47], v[46:47], -v[53:54]
	v_fma_f64 v[48:49], v[48:49], v[57:58], v[48:49]
	v_fma_f64 v[57:58], -v[38:39], v[36:37], 1.0
	v_fma_f64 v[36:37], v[57:58], v[36:37], v[36:37]
	v_fma_f64 v[53:54], -v[38:39], v[36:37], 1.0
	v_fma_f64 v[36:37], v[53:54], v[36:37], v[36:37]
	v_add_f64 v[53:54], v[51:52], v[32:33]
	v_mul_f64 v[57:58], v[53:54], v[36:37]
	v_add_f64 v[51:52], v[53:54], -v[51:52]
	v_mul_f64 v[59:60], v[38:39], v[57:58]
	v_add_f64 v[32:33], v[32:33], -v[51:52]
	v_fma_f64 v[38:39], v[57:58], v[38:39], -v[59:60]
	v_fma_f64 v[38:39], v[57:58], v[46:47], v[38:39]
	v_fma_f64 v[46:47], -v[44:45], v[42:43], 1.0
	v_fma_f64 v[42:43], v[42:43], v[46:47], v[42:43]
	v_add_f64 v[46:47], v[59:60], v[38:39]
	v_add_f64 v[59:60], v[46:47], -v[59:60]
	v_add_f64 v[38:39], v[38:39], -v[59:60]
	;; [unrolled: 1-line block ×5, first 2 shown]
	v_fma_f64 v[53:54], -v[55:56], v[48:49], 1.0
	v_add_f64 v[38:39], v[46:47], -v[38:39]
	v_div_scale_f64 v[46:47], vcc_lo, 1.0, v[28:29], 1.0
	v_fma_f64 v[48:49], v[48:49], v[53:54], v[48:49]
	v_add_f64 v[32:33], v[32:33], v[38:39]
	v_mul_f64 v[51:52], v[46:47], v[42:43]
	v_div_scale_f64 v[38:39], s0, 1.0, v[40:41], 1.0
	v_add_f64 v[32:33], v[59:60], v[32:33]
	v_fma_f64 v[44:45], -v[44:45], v[51:52], v[46:47]
	v_mul_f64 v[46:47], v[38:39], v[48:49]
	v_mul_f64 v[32:33], v[36:37], v[32:33]
	v_div_fmas_f64 v[36:37], v[44:45], v[42:43], v[51:52]
	v_fma_f64 v[38:39], -v[55:56], v[46:47], v[38:39]
	s_mov_b32 vcc_lo, s0
	v_cmp_ngt_f64_e64 s0, 0xc0900000, v[30:31]
	v_and_b32_e32 v30, 0x7fffffff, v35
	v_add_f64 v[32:33], v[57:58], v[32:33]
	v_div_fixup_f64 v[28:29], v[36:37], v[28:29], 1.0
	v_div_fmas_f64 v[38:39], v[38:39], v[48:49], v[46:47]
	v_cmp_nlt_f64_e64 vcc_lo, 0x40331000, |v[34:35]|
	v_div_fixup_f64 v[36:37], v[38:39], v[40:41], 1.0
	v_cndmask_b32_e32 v33, 0x3ff00000, v33, vcc_lo
	v_cndmask_b32_e32 v32, 0, v32, vcc_lo
	v_cmp_gt_f64_e64 vcc_lo, 0x3e400000, |v[34:35]|
	v_cndmask_b32_e64 v38, 0, v29, s0
	s_and_b32 s0, s1, s0
	v_cndmask_b32_e64 v37, 0, v37, s2
	v_cndmask_b32_e32 v30, v33, v30, vcc_lo
	v_cndmask_b32_e32 v29, v32, v34, vcc_lo
	v_cmp_nlt_f64_e32 vcc_lo, 0x4090cc00, v[26:27]
	v_cndmask_b32_e64 v27, 0x3ff00000, v38, s1
	v_cndmask_b32_e64 v26, 0, v28, s0
	v_bfi_b32 v30, 0x7fffffff, v30, v35
	v_cmp_ngt_f64_e64 s0, 0xc0900000, v[16:17]
	v_cmp_nlt_f64_e64 s1, 0x4090cc00, v[16:17]
	v_mul_f64 v[31:32], v[26:27], v[29:30]
	v_cndmask_b32_e32 v34, 0x3ff00000, v37, vcc_lo
	s_and_b32 vcc_lo, vcc_lo, s2
	v_add_co_u32 v3, s2, v3, s72
	v_cndmask_b32_e32 v33, 0, v36, vcc_lo
	v_add_co_ci_u32_e64 v4, null, 0, v4, s2
	v_fma_f64 v[20:21], v[20:21], v[33:34], v[31:32]
	v_mul_f64 v[31:32], |v[20:21]|, s[64:65]
	v_rndne_f64_e32 v[31:32], v[31:32]
	v_fma_f64 v[35:36], v[31:32], s[66:67], |v[20:21]|
	v_mul_f64 v[37:38], v[31:32], s[68:69]
	v_cvt_i32_f64_e32 v28, v[31:32]
	v_add_f64 v[39:40], v[35:36], 0
	v_add_f64 v[41:42], v[39:40], -v[37:38]
	v_add_f64 v[35:36], v[35:36], -v[39:40]
	;; [unrolled: 1-line block ×3, first 2 shown]
	v_add_f64 v[35:36], v[35:36], 0
	v_add_f64 v[37:38], v[39:40], -v[37:38]
	v_add_f64 v[35:36], v[35:36], v[37:38]
	v_mul_f64 v[37:38], v[31:32], s[70:71]
	v_add_f64 v[39:40], v[41:42], v[35:36]
	v_add_f64 v[43:44], v[39:40], -v[37:38]
	v_add_f64 v[41:42], v[41:42], -v[39:40]
	;; [unrolled: 1-line block ×3, first 2 shown]
	v_add_f64 v[35:36], v[35:36], v[41:42]
	v_add_f64 v[37:38], v[39:40], -v[37:38]
	v_add_f64 v[35:36], v[35:36], v[37:38]
	v_add_f64 v[37:38], v[43:44], v[35:36]
	v_fma_f64 v[39:40], v[37:38], s[46:47], s[44:45]
	v_add_f64 v[41:42], v[43:44], -v[37:38]
	v_mul_f64 v[43:44], v[37:38], v[37:38]
	v_fma_f64 v[39:40], v[37:38], v[39:40], s[48:49]
	v_add_f64 v[35:36], v[35:36], v[41:42]
	v_fma_f64 v[41:42], v[37:38], v[37:38], -v[43:44]
	v_fma_f64 v[39:40], v[37:38], v[39:40], s[50:51]
	v_add_f64 v[45:46], v[35:36], v[35:36]
	v_fma_f64 v[39:40], v[37:38], v[39:40], s[52:53]
	v_fma_f64 v[41:42], v[37:38], v[45:46], v[41:42]
	;; [unrolled: 1-line block ×3, first 2 shown]
	v_add_f64 v[45:46], v[43:44], v[41:42]
	v_fma_f64 v[39:40], v[37:38], v[39:40], s[56:57]
	v_add_f64 v[43:44], v[45:46], -v[43:44]
	v_fma_f64 v[39:40], v[37:38], v[39:40], s[58:59]
	v_add_f64 v[41:42], v[41:42], -v[43:44]
	v_fma_f64 v[39:40], v[37:38], v[39:40], s[60:61]
	v_fma_f64 v[39:40], v[37:38], v[39:40], s[62:63]
	v_mul_f64 v[47:48], v[45:46], v[39:40]
	v_fma_f64 v[43:44], v[45:46], v[39:40], -v[47:48]
	v_fma_f64 v[39:40], v[41:42], v[39:40], v[43:44]
	v_add_f64 v[41:42], v[47:48], v[39:40]
	v_add_f64 v[43:44], v[37:38], v[41:42]
	v_add_f64 v[45:46], v[41:42], -v[47:48]
	v_add_f64 v[37:38], v[43:44], -v[37:38]
	;; [unrolled: 1-line block ×4, first 2 shown]
	v_add_f64 v[35:36], v[35:36], v[39:40]
	v_add_f64 v[35:36], v[35:36], v[37:38]
	;; [unrolled: 1-line block ×3, first 2 shown]
	v_add_f64 v[39:40], v[37:38], 1.0
	v_add_f64 v[41:42], v[37:38], -v[43:44]
	v_add_f64 v[43:44], v[39:40], -1.0
	v_add_f64 v[35:36], v[35:36], -v[41:42]
	v_add_f64 v[37:38], v[37:38], -v[43:44]
	v_add_f64 v[35:36], v[35:36], v[37:38]
	v_add_f64 v[31:32], v[39:40], v[35:36]
	v_ldexp_f64 v[37:38], v[31:32], v28
	v_add_f64 v[31:32], v[31:32], -v[39:40]
	v_rcp_f64_e32 v[41:42], v[37:38]
	v_add_f64 v[31:32], v[35:36], -v[31:32]
	v_ldexp_f64 v[31:32], v[31:32], v28
	v_fma_f64 v[43:44], -v[37:38], v[41:42], 1.0
	v_fma_f64 v[41:42], v[43:44], v[41:42], v[41:42]
	v_fma_f64 v[43:44], -v[37:38], v[41:42], 1.0
	v_fma_f64 v[39:40], v[43:44], v[41:42], v[41:42]
	v_mul_f64 v[35:36], v[37:38], v[39:40]
	v_fma_f64 v[41:42], v[39:40], v[37:38], -v[35:36]
	v_fma_f64 v[41:42], v[39:40], v[31:32], v[41:42]
	v_add_f64 v[43:44], v[35:36], v[41:42]
	v_add_f64 v[45:46], -v[43:44], 1.0
	v_add_f64 v[35:36], v[43:44], -v[35:36]
	v_add_f64 v[47:48], -v[45:46], 1.0
	v_add_f64 v[35:36], v[35:36], -v[41:42]
	v_add_f64 v[41:42], v[47:48], -v[43:44]
	v_add_f64 v[35:36], v[35:36], v[41:42]
	v_add_f64 v[41:42], v[45:46], v[35:36]
	v_mul_f64 v[43:44], v[39:40], v[41:42]
	v_add_f64 v[45:46], v[45:46], -v[41:42]
	v_mul_f64 v[47:48], v[37:38], v[43:44]
	v_add_f64 v[35:36], v[35:36], v[45:46]
	v_add_f64 v[24:25], v[39:40], v[43:44]
	v_fma_f64 v[51:52], v[43:44], v[37:38], -v[47:48]
	v_add_f64 v[22:23], v[24:25], -v[39:40]
	v_fma_f64 v[51:52], v[43:44], v[31:32], v[51:52]
	v_add_f64 v[22:23], v[43:44], -v[22:23]
	v_add_f64 v[53:54], v[47:48], v[51:52]
	v_add_f64 v[55:56], v[41:42], -v[53:54]
	v_add_f64 v[45:46], v[53:54], -v[47:48]
	;; [unrolled: 1-line block ×5, first 2 shown]
	v_add_f64 v[35:36], v[35:36], v[41:42]
	v_add_f64 v[18:19], v[18:19], v[35:36]
	v_mul_f64 v[35:36], v[16:17], s[38:39]
	v_add_f64 v[18:19], v[55:56], v[18:19]
	v_rndne_f64_e32 v[35:36], v[35:36]
	v_mul_f64 v[18:19], v[39:40], v[18:19]
	v_cvt_i32_f64_e32 v28, v[35:36]
	v_add_f64 v[18:19], v[22:23], v[18:19]
	v_fma_f64 v[22:23], v[35:36], s[40:41], -v[16:17]
	v_add_f64 v[39:40], v[24:25], v[18:19]
	v_fma_f64 v[22:23], v[35:36], s[42:43], v[22:23]
	v_add_f64 v[41:42], v[37:38], v[39:40]
	v_add_f64 v[24:25], v[39:40], -v[24:25]
	v_fma_f64 v[43:44], v[22:23], s[46:47], s[44:45]
	v_add_f64 v[47:48], v[37:38], -v[39:40]
	v_add_f64 v[45:46], v[41:42], -v[37:38]
	;; [unrolled: 1-line block ×3, first 2 shown]
	v_fma_f64 v[24:25], v[22:23], v[43:44], s[48:49]
	v_add_f64 v[37:38], v[37:38], -v[47:48]
	v_add_f64 v[43:44], v[39:40], -v[45:46]
	v_add_f64 v[45:46], v[31:32], v[18:19]
	v_fma_f64 v[24:25], v[22:23], v[24:25], s[50:51]
	v_add_f64 v[37:38], v[37:38], -v[39:40]
	v_add_f64 v[43:44], v[45:46], v[43:44]
	v_fma_f64 v[24:25], v[22:23], v[24:25], s[52:53]
	v_add_f64 v[31:32], v[31:32], v[37:38]
	v_add_f64 v[45:46], v[41:42], v[43:44]
	v_fma_f64 v[24:25], v[22:23], v[24:25], s[54:55]
	v_add_f64 v[18:19], v[31:32], -v[18:19]
	v_rcp_f64_e32 v[51:52], v[45:46]
	v_fma_f64 v[24:25], v[22:23], v[24:25], s[56:57]
	v_fma_f64 v[24:25], v[22:23], v[24:25], s[58:59]
	v_fma_f64 v[39:40], -v[45:46], v[51:52], 1.0
	v_fma_f64 v[24:25], v[22:23], v[24:25], s[60:61]
	v_fma_f64 v[37:38], v[39:40], v[51:52], v[51:52]
	v_add_f64 v[39:40], v[47:48], v[18:19]
	v_fma_f64 v[24:25], v[22:23], v[24:25], s[62:63]
	v_fma_f64 v[31:32], -v[45:46], v[37:38], 1.0
	v_fma_f64 v[24:25], v[22:23], v[24:25], 1.0
	v_fma_f64 v[31:32], v[31:32], v[37:38], v[37:38]
	v_fma_f64 v[22:23], v[22:23], v[24:25], 1.0
	v_mul_f64 v[37:38], v[39:40], v[31:32]
	v_add_f64 v[24:25], v[45:46], -v[41:42]
	v_ldexp_f64 v[22:23], v[22:23], v28
	v_mul_f64 v[35:36], v[45:46], v[37:38]
	v_add_f64 v[24:25], v[43:44], -v[24:25]
	v_mul_lo_u32 v28, v11, s5
	v_add_f64 v[22:23], v[22:23], 1.0
	v_fma_f64 v[41:42], v[37:38], v[45:46], -v[35:36]
	v_fma_f64 v[24:25], v[37:38], v[24:25], v[41:42]
	v_div_scale_f64 v[41:42], null, v[22:23], v[22:23], 1.0
	v_add_f64 v[43:44], v[35:36], v[24:25]
	v_rcp_f64_e32 v[45:46], v[41:42]
	v_add_f64 v[51:52], v[39:40], -v[43:44]
	v_add_f64 v[35:36], v[43:44], -v[35:36]
	v_fma_f64 v[53:54], -v[41:42], v[45:46], 1.0
	v_add_f64 v[55:56], v[39:40], -v[51:52]
	v_add_f64 v[39:40], v[39:40], -v[47:48]
	;; [unrolled: 1-line block ×3, first 2 shown]
	v_fma_f64 v[45:46], v[45:46], v[53:54], v[45:46]
	v_add_f64 v[35:36], v[55:56], -v[43:44]
	v_add_f64 v[18:19], v[18:19], -v[39:40]
	v_fma_f64 v[43:44], -v[41:42], v[45:46], 1.0
	v_add_f64 v[24:25], v[35:36], -v[24:25]
	v_div_scale_f64 v[35:36], vcc_lo, 1.0, v[22:23], 1.0
	v_fma_f64 v[39:40], v[45:46], v[43:44], v[45:46]
	v_add_f64 v[18:19], v[18:19], v[24:25]
	v_mul_f64 v[24:25], v[35:36], v[39:40]
	v_add_f64 v[18:19], v[51:52], v[18:19]
	v_fma_f64 v[35:36], -v[41:42], v[24:25], v[35:36]
	v_mul_f64 v[18:19], v[31:32], v[18:19]
	v_mul_lo_u32 v31, v13, s4
	v_mul_lo_u32 v32, v12, s5
	v_div_fmas_f64 v[24:25], v[35:36], v[39:40], v[24:25]
	v_cmp_nlt_f64_e64 vcc_lo, 0x40331000, |v[20:21]|
	v_mul_lo_u32 v35, v14, s5
	v_mad_u64_u32 v[13:14], null, v14, s4, 0
	v_mul_lo_u32 v36, v50, s4
	v_add3_u32 v14, v14, v35, v2
	v_lshlrev_b64 v[13:14], 3, v[13:14]
	v_add_f64 v[18:19], v[37:38], v[18:19]
	v_and_b32_e32 v38, 0x7fffffff, v21
	v_mul_lo_u32 v37, v15, s5
	v_div_fixup_f64 v[22:23], v[24:25], v[22:23], 1.0
	v_mad_u64_u32 v[24:25], null, v11, s4, 0
	v_mad_u64_u32 v[11:12], null, v12, s4, 0
	;; [unrolled: 1-line block ×3, first 2 shown]
	v_add3_u32 v25, v25, v28, v0
	v_add3_u32 v12, v12, v32, v31
	;; [unrolled: 1-line block ×3, first 2 shown]
	v_lshlrev_b64 v[24:25], 3, v[24:25]
	v_lshlrev_b64 v[11:12], 3, v[11:12]
	;; [unrolled: 1-line block ×3, first 2 shown]
	v_cndmask_b32_e32 v19, 0x3ff00000, v19, vcc_lo
	v_cndmask_b32_e32 v18, 0, v18, vcc_lo
	v_cmp_gt_f64_e64 vcc_lo, 0x3e400000, |v[20:21]|
	v_cndmask_b32_e64 v23, 0, v23, s0
	v_cndmask_b32_e64 v23, 0x3ff00000, v23, s1
	v_cndmask_b32_e32 v17, v18, v20, vcc_lo
	v_cndmask_b32_e32 v18, v19, v38, vcc_lo
	v_add_co_u32 v5, vcc_lo, v5, s28
	v_add_co_ci_u32_e64 v6, null, s29, v6, vcc_lo
	s_and_b32 vcc_lo, s1, s0
	v_bfi_b32 v18, 0x7fffffff, v18, v21
	v_cndmask_b32_e32 v22, 0, v22, vcc_lo
	v_add_co_u32 v24, s0, s26, v24
	v_add_co_ci_u32_e64 v25, null, s27, v25, s0
	v_mul_f64 v[17:18], v[22:23], v[17:18]
	v_add_co_u32 v11, s0, s26, v11
	v_add_co_ci_u32_e64 v12, null, s27, v12, s0
	v_add_co_u32 v13, s0, s26, v13
	v_add_co_ci_u32_e64 v14, null, s27, v14, s0
	;; [unrolled: 2-line block ×3, first 2 shown]
	global_store_dwordx2 v[7:8], v[17:18], off
	global_store_dwordx2 v[9:10], v[20:21], off
	;; [unrolled: 1-line block ×3, first 2 shown]
	v_add_co_u32 v7, s0, v7, s30
	v_cmp_le_i64_e32 vcc_lo, s[10:11], v[3:4]
	v_add_co_ci_u32_e64 v8, null, s31, v8, s0
	v_add_co_u32 v9, s0, v9, s34
	v_add_co_ci_u32_e64 v10, null, s35, v10, s0
	s_or_b32 s33, vcc_lo, s33
	global_store_dwordx2 v[11:12], v[33:34], off
	global_store_dwordx2 v[13:14], v[29:30], off
	;; [unrolled: 1-line block ×3, first 2 shown]
	s_andn2_b32 exec_lo, exec_lo, s33
	s_cbranch_execz .LBB2_10
.LBB2_5:                                ; =>This Inner Loop Header: Depth=1
	v_or_b32_e32 v2, s9, v4
                                        ; implicit-def: $vgpr22_vgpr23
	s_mov_b32 s0, exec_lo
	v_cmpx_ne_u64_e32 0, v[1:2]
	s_xor_b32 s1, exec_lo, s0
	s_cbranch_execz .LBB2_7
; %bb.6:                                ;   in Loop: Header=BB2_5 Depth=1
	s_add_u32 s2, s8, s36
	s_mov_b32 s37, s36
	s_addc_u32 s3, s9, s36
	v_ashrrev_i32_e32 v17, 31, v4
	s_xor_b64 s[2:3], s[2:3], s[36:37]
	v_cvt_f32_u32_e32 v0, s2
	v_cvt_f32_u32_e32 v2, s3
	s_sub_u32 s0, 0, s2
	s_subb_u32 s67, 0, s3
	v_add_co_u32 v11, vcc_lo, v3, v17
	v_fmac_f32_e32 v0, 0x4f800000, v2
	v_rcp_f32_e32 v0, v0
	v_mul_f32_e32 v0, 0x5f7ffffc, v0
	v_mul_f32_e32 v2, 0x2f800000, v0
	v_trunc_f32_e32 v2, v2
	v_fmac_f32_e32 v0, 0xcf800000, v2
	v_cvt_u32_f32_e32 v2, v2
	v_cvt_u32_f32_e32 v0, v0
	v_readfirstlane_b32 s37, v2
	v_xor_b32_e32 v2, v11, v17
	v_readfirstlane_b32 s64, v0
	s_mul_i32 s78, s0, s37
	v_add_co_ci_u32_e64 v0, null, v4, v17, vcc_lo
	s_mul_hi_u32 s80, s0, s64
	s_mul_i32 s79, s67, s64
	s_add_i32 s78, s80, s78
	s_mul_i32 s81, s0, s64
	s_add_i32 s78, s78, s79
	s_mul_hi_u32 s80, s64, s81
	s_mul_i32 s83, s64, s78
	s_mul_hi_u32 s82, s37, s81
	s_mul_i32 s79, s37, s81
	s_mul_hi_u32 s81, s64, s78
	s_add_u32 s80, s80, s83
	s_addc_u32 s81, 0, s81
	s_mul_hi_u32 s84, s37, s78
	s_add_u32 s79, s80, s79
	s_mul_i32 s78, s37, s78
	s_addc_u32 s79, s81, s82
	s_addc_u32 s80, s84, 0
	s_add_u32 s78, s79, s78
	s_addc_u32 s79, 0, s80
	s_add_u32 s64, s64, s78
	s_cselect_b32 s78, -1, 0
	s_mul_hi_u32 s80, s0, s64
	s_cmp_lg_u32 s78, 0
	s_mul_i32 s78, s0, s64
	s_addc_u32 s37, s37, s79
	s_mul_i32 s67, s67, s64
	s_mul_i32 s0, s0, s37
	s_mul_hi_u32 s79, s64, s78
	s_add_i32 s0, s80, s0
	s_mul_hi_u32 s80, s37, s78
	s_add_i32 s0, s0, s67
	s_mul_i32 s67, s37, s78
	s_mul_i32 s82, s64, s0
	s_mul_hi_u32 s81, s64, s0
	s_add_u32 s79, s79, s82
	s_addc_u32 s81, 0, s81
	s_mul_hi_u32 s78, s37, s0
	s_add_u32 s67, s79, s67
	s_mul_i32 s0, s37, s0
	s_addc_u32 s67, s81, s80
	s_addc_u32 s78, s78, 0
	s_add_u32 s0, s67, s0
	s_addc_u32 s67, 0, s78
	s_add_u32 s0, s64, s0
	s_cselect_b32 s64, -1, 0
	v_xor_b32_e32 v0, v0, v17
	s_cmp_lg_u32 s64, 0
	v_mul_hi_u32 v18, v2, s0
	s_addc_u32 s37, s37, s67
	v_mad_u64_u32 v[11:12], null, v2, s37, 0
	v_mad_u64_u32 v[13:14], null, v0, s0, 0
	;; [unrolled: 1-line block ×3, first 2 shown]
	v_add_co_u32 v11, vcc_lo, v18, v11
	v_add_co_ci_u32_e64 v12, null, 0, v12, vcc_lo
	v_add_co_u32 v11, vcc_lo, v11, v13
	v_add_co_ci_u32_e32 v11, vcc_lo, v12, v14, vcc_lo
	v_add_co_ci_u32_e32 v12, vcc_lo, 0, v16, vcc_lo
	v_add_co_u32 v13, vcc_lo, v11, v15
	v_add_co_ci_u32_e64 v14, null, 0, v12, vcc_lo
	v_mul_lo_u32 v15, s3, v13
	v_mad_u64_u32 v[11:12], null, s2, v13, 0
	v_mul_lo_u32 v16, s2, v14
	v_sub_co_u32 v2, vcc_lo, v2, v11
	v_add3_u32 v12, v12, v16, v15
	v_sub_nc_u32_e32 v15, v0, v12
	v_sub_co_ci_u32_e64 v0, null, v0, v12, vcc_lo
	v_subrev_co_ci_u32_e64 v11, null, s3, v15, vcc_lo
	v_add_co_u32 v15, s0, v13, 2
	v_add_co_ci_u32_e64 v16, null, 0, v14, s0
	v_sub_co_u32 v18, s0, v2, s2
	v_subrev_co_ci_u32_e64 v11, null, 0, v11, s0
	v_cmp_le_u32_e32 vcc_lo, s2, v18
	v_cndmask_b32_e64 v12, 0, -1, vcc_lo
	v_cmp_le_u32_e32 vcc_lo, s3, v11
	v_cndmask_b32_e64 v18, 0, -1, vcc_lo
	;; [unrolled: 2-line block ×4, first 2 shown]
	v_cmp_eq_u32_e32 vcc_lo, s3, v11
	v_cndmask_b32_e32 v11, v18, v12, vcc_lo
	v_add_co_u32 v12, vcc_lo, v13, 1
	v_add_co_ci_u32_e64 v18, null, 0, v14, vcc_lo
	v_cmp_eq_u32_e32 vcc_lo, s3, v0
	v_cndmask_b32_e32 v0, v19, v2, vcc_lo
	v_cmp_ne_u32_e32 vcc_lo, 0, v11
	v_xor_b32_e32 v11, s36, v17
	v_cmp_ne_u32_e64 s0, 0, v0
	v_cndmask_b32_e32 v0, v12, v15, vcc_lo
	v_cndmask_b32_e32 v2, v18, v16, vcc_lo
	v_cndmask_b32_e64 v0, v13, v0, s0
	v_cndmask_b32_e64 v2, v14, v2, s0
	v_xor_b32_e32 v0, v0, v11
	v_xor_b32_e32 v2, v2, v11
	v_sub_co_u32 v22, vcc_lo, v0, v11
	v_sub_co_ci_u32_e64 v23, null, v2, v11, vcc_lo
.LBB2_7:                                ;   in Loop: Header=BB2_5 Depth=1
	s_andn2_saveexec_b32 s0, s1
	s_cbranch_execz .LBB2_2
; %bb.8:                                ;   in Loop: Header=BB2_5 Depth=1
	v_cvt_f32_u32_e32 v0, s8
	s_sub_i32 s1, 0, s8
	v_mov_b32_e32 v23, v1
	v_rcp_iflag_f32_e32 v0, v0
	v_mul_f32_e32 v0, 0x4f7ffffe, v0
	v_cvt_u32_f32_e32 v0, v0
	v_mul_lo_u32 v2, s1, v0
	v_mul_hi_u32 v2, v0, v2
	v_add_nc_u32_e32 v0, v0, v2
	v_mul_hi_u32 v0, v3, v0
	v_mul_lo_u32 v2, v0, s8
	v_add_nc_u32_e32 v11, 1, v0
	v_sub_nc_u32_e32 v2, v3, v2
	v_subrev_nc_u32_e32 v12, s8, v2
	v_cmp_le_u32_e32 vcc_lo, s8, v2
	v_cndmask_b32_e32 v2, v2, v12, vcc_lo
	v_cndmask_b32_e32 v0, v0, v11, vcc_lo
	v_cmp_le_u32_e32 vcc_lo, s8, v2
	v_add_nc_u32_e32 v11, 1, v0
	v_cndmask_b32_e32 v22, v0, v11, vcc_lo
	s_branch .LBB2_2
.LBB2_9:                                ;   in Loop: Header=BB2_5 Depth=1
	v_mov_b32_e32 v38, 0
	v_mov_b32_e32 v46, 0
	;; [unrolled: 1-line block ×16, first 2 shown]
	s_branch .LBB2_4
.LBB2_10:
	s_endpgm
	.section	.rodata,"a",@progbits
	.p2align	6, 0x0
	.amdhsa_kernel _ZN2at6native12_GLOBAL__N_16kernel17lstm_cell_forwardIddlLi1EEEvNS_4cuda6detail10TensorInfoIT_T1_EES9_S9_S9_S9_S9_S9_S9_S8_S8_
		.amdhsa_group_segment_fixed_size 0
		.amdhsa_private_segment_fixed_size 0
		.amdhsa_kernarg_size 3600
		.amdhsa_user_sgpr_count 6
		.amdhsa_user_sgpr_private_segment_buffer 1
		.amdhsa_user_sgpr_dispatch_ptr 0
		.amdhsa_user_sgpr_queue_ptr 0
		.amdhsa_user_sgpr_kernarg_segment_ptr 1
		.amdhsa_user_sgpr_dispatch_id 0
		.amdhsa_user_sgpr_flat_scratch_init 0
		.amdhsa_user_sgpr_private_segment_size 0
		.amdhsa_wavefront_size32 1
		.amdhsa_uses_dynamic_stack 0
		.amdhsa_system_sgpr_private_segment_wavefront_offset 0
		.amdhsa_system_sgpr_workgroup_id_x 1
		.amdhsa_system_sgpr_workgroup_id_y 0
		.amdhsa_system_sgpr_workgroup_id_z 0
		.amdhsa_system_sgpr_workgroup_info 0
		.amdhsa_system_vgpr_workitem_id 0
		.amdhsa_next_free_vgpr 61
		.amdhsa_next_free_sgpr 85
		.amdhsa_reserve_vcc 1
		.amdhsa_reserve_flat_scratch 0
		.amdhsa_float_round_mode_32 0
		.amdhsa_float_round_mode_16_64 0
		.amdhsa_float_denorm_mode_32 3
		.amdhsa_float_denorm_mode_16_64 3
		.amdhsa_dx10_clamp 1
		.amdhsa_ieee_mode 1
		.amdhsa_fp16_overflow 0
		.amdhsa_workgroup_processor_mode 1
		.amdhsa_memory_ordered 1
		.amdhsa_forward_progress 1
		.amdhsa_shared_vgpr_count 0
		.amdhsa_exception_fp_ieee_invalid_op 0
		.amdhsa_exception_fp_denorm_src 0
		.amdhsa_exception_fp_ieee_div_zero 0
		.amdhsa_exception_fp_ieee_overflow 0
		.amdhsa_exception_fp_ieee_underflow 0
		.amdhsa_exception_fp_ieee_inexact 0
		.amdhsa_exception_int_div_zero 0
	.end_amdhsa_kernel
	.section	.text._ZN2at6native12_GLOBAL__N_16kernel17lstm_cell_forwardIddlLi1EEEvNS_4cuda6detail10TensorInfoIT_T1_EES9_S9_S9_S9_S9_S9_S9_S8_S8_,"axG",@progbits,_ZN2at6native12_GLOBAL__N_16kernel17lstm_cell_forwardIddlLi1EEEvNS_4cuda6detail10TensorInfoIT_T1_EES9_S9_S9_S9_S9_S9_S9_S8_S8_,comdat
.Lfunc_end2:
	.size	_ZN2at6native12_GLOBAL__N_16kernel17lstm_cell_forwardIddlLi1EEEvNS_4cuda6detail10TensorInfoIT_T1_EES9_S9_S9_S9_S9_S9_S9_S8_S8_, .Lfunc_end2-_ZN2at6native12_GLOBAL__N_16kernel17lstm_cell_forwardIddlLi1EEEvNS_4cuda6detail10TensorInfoIT_T1_EES9_S9_S9_S9_S9_S9_S9_S8_S8_
                                        ; -- End function
	.set _ZN2at6native12_GLOBAL__N_16kernel17lstm_cell_forwardIddlLi1EEEvNS_4cuda6detail10TensorInfoIT_T1_EES9_S9_S9_S9_S9_S9_S9_S8_S8_.num_vgpr, 61
	.set _ZN2at6native12_GLOBAL__N_16kernel17lstm_cell_forwardIddlLi1EEEvNS_4cuda6detail10TensorInfoIT_T1_EES9_S9_S9_S9_S9_S9_S9_S8_S8_.num_agpr, 0
	.set _ZN2at6native12_GLOBAL__N_16kernel17lstm_cell_forwardIddlLi1EEEvNS_4cuda6detail10TensorInfoIT_T1_EES9_S9_S9_S9_S9_S9_S9_S8_S8_.numbered_sgpr, 85
	.set _ZN2at6native12_GLOBAL__N_16kernel17lstm_cell_forwardIddlLi1EEEvNS_4cuda6detail10TensorInfoIT_T1_EES9_S9_S9_S9_S9_S9_S9_S8_S8_.num_named_barrier, 0
	.set _ZN2at6native12_GLOBAL__N_16kernel17lstm_cell_forwardIddlLi1EEEvNS_4cuda6detail10TensorInfoIT_T1_EES9_S9_S9_S9_S9_S9_S9_S8_S8_.private_seg_size, 0
	.set _ZN2at6native12_GLOBAL__N_16kernel17lstm_cell_forwardIddlLi1EEEvNS_4cuda6detail10TensorInfoIT_T1_EES9_S9_S9_S9_S9_S9_S9_S8_S8_.uses_vcc, 1
	.set _ZN2at6native12_GLOBAL__N_16kernel17lstm_cell_forwardIddlLi1EEEvNS_4cuda6detail10TensorInfoIT_T1_EES9_S9_S9_S9_S9_S9_S9_S8_S8_.uses_flat_scratch, 0
	.set _ZN2at6native12_GLOBAL__N_16kernel17lstm_cell_forwardIddlLi1EEEvNS_4cuda6detail10TensorInfoIT_T1_EES9_S9_S9_S9_S9_S9_S9_S8_S8_.has_dyn_sized_stack, 0
	.set _ZN2at6native12_GLOBAL__N_16kernel17lstm_cell_forwardIddlLi1EEEvNS_4cuda6detail10TensorInfoIT_T1_EES9_S9_S9_S9_S9_S9_S9_S8_S8_.has_recursion, 0
	.set _ZN2at6native12_GLOBAL__N_16kernel17lstm_cell_forwardIddlLi1EEEvNS_4cuda6detail10TensorInfoIT_T1_EES9_S9_S9_S9_S9_S9_S9_S8_S8_.has_indirect_call, 0
	.section	.AMDGPU.csdata,"",@progbits
; Kernel info:
; codeLenInByte = 6608
; TotalNumSgprs: 87
; NumVgprs: 61
; ScratchSize: 0
; MemoryBound: 0
; FloatMode: 240
; IeeeMode: 1
; LDSByteSize: 0 bytes/workgroup (compile time only)
; SGPRBlocks: 0
; VGPRBlocks: 7
; NumSGPRsForWavesPerEU: 87
; NumVGPRsForWavesPerEU: 61
; Occupancy: 16
; WaveLimiterHint : 1
; COMPUTE_PGM_RSRC2:SCRATCH_EN: 0
; COMPUTE_PGM_RSRC2:USER_SGPR: 6
; COMPUTE_PGM_RSRC2:TRAP_HANDLER: 0
; COMPUTE_PGM_RSRC2:TGID_X_EN: 1
; COMPUTE_PGM_RSRC2:TGID_Y_EN: 0
; COMPUTE_PGM_RSRC2:TGID_Z_EN: 0
; COMPUTE_PGM_RSRC2:TIDIG_COMP_CNT: 0
	.section	.text._ZN2at6native12_GLOBAL__N_16kernel17lstm_cell_forwardIddlLi2EEEvNS_4cuda6detail10TensorInfoIT_T1_EES9_S9_S9_S9_S9_S9_S9_S8_S8_,"axG",@progbits,_ZN2at6native12_GLOBAL__N_16kernel17lstm_cell_forwardIddlLi2EEEvNS_4cuda6detail10TensorInfoIT_T1_EES9_S9_S9_S9_S9_S9_S9_S8_S8_,comdat
	.globl	_ZN2at6native12_GLOBAL__N_16kernel17lstm_cell_forwardIddlLi2EEEvNS_4cuda6detail10TensorInfoIT_T1_EES9_S9_S9_S9_S9_S9_S9_S8_S8_ ; -- Begin function _ZN2at6native12_GLOBAL__N_16kernel17lstm_cell_forwardIddlLi2EEEvNS_4cuda6detail10TensorInfoIT_T1_EES9_S9_S9_S9_S9_S9_S9_S8_S8_
	.p2align	8
	.type	_ZN2at6native12_GLOBAL__N_16kernel17lstm_cell_forwardIddlLi2EEEvNS_4cuda6detail10TensorInfoIT_T1_EES9_S9_S9_S9_S9_S9_S9_S8_S8_,@function
_ZN2at6native12_GLOBAL__N_16kernel17lstm_cell_forwardIddlLi2EEEvNS_4cuda6detail10TensorInfoIT_T1_EES9_S9_S9_S9_S9_S9_S9_S8_S8_: ; @_ZN2at6native12_GLOBAL__N_16kernel17lstm_cell_forwardIddlLi2EEEvNS_4cuda6detail10TensorInfoIT_T1_EES9_S9_S9_S9_S9_S9_S9_S8_S8_
; %bb.0:
	s_clause 0x1
	s_load_dword s2, s[4:5], 0xd1c
	s_load_dwordx4 s[8:11], s[4:5], 0xd00
	v_mov_b32_e32 v1, 0
	s_add_u32 s0, s4, 0xd10
	s_addc_u32 s1, s5, 0
	s_mov_b32 s3, exec_lo
	s_waitcnt lgkmcnt(0)
	s_and_b32 s2, s2, 0xffff
	v_mad_u64_u32 v[3:4], null, s6, s2, v[0:1]
	v_mov_b32_e32 v4, v1
	v_cmpx_gt_i64_e64 s[10:11], v[3:4]
	s_cbranch_execz .LBB3_70
; %bb.1:
	s_load_dwordx2 s[34:35], s[4:5], 0x340
	s_load_dword s0, s[0:1], 0x0
	s_clause 0x7
	s_load_dwordx2 s[36:37], s[4:5], 0x0
	s_load_dwordx2 s[38:39], s[4:5], 0x10
	s_load_dwordx4 s[12:15], s[4:5], 0xd0
	s_load_dwordx2 s[40:41], s[4:5], 0x1a0
	s_load_dwordx2 s[42:43], s[4:5], 0x410
	;; [unrolled: 1-line block ×5, first 2 shown]
                                        ; implicit-def: $vgpr69 : SGPR spill to VGPR lane
	s_mul_hi_u32 s1, s8, 3
	v_cvt_f32_u32_e32 v0, s8
	s_mov_b32 s64, 0x652b82fe
	s_mov_b32 s66, 0xfefa39ef
	;; [unrolled: 1-line block ×4, first 2 shown]
	v_rcp_iflag_f32_e32 v0, v0
	s_mov_b32 s74, 0x623fde64
	s_mov_b32 s76, 0x7c89e6b0
	;; [unrolled: 1-line block ×3, first 2 shown]
	s_waitcnt lgkmcnt(0)
	s_cmp_lg_u64 s[34:35], 0
	s_mul_i32 s0, s0, s2
	s_mov_b32 s80, 0x1852b7b0
	s_mov_b32 s82, 0x11122322
	;; [unrolled: 1-line block ×4, first 2 shown]
	v_mul_f32_e32 v0, 0x4f7ffffe, v0
	s_mov_b32 s88, 11
	s_mov_b32 vcc_hi, 0
	v_writelane_b32 v69, s6, 0
	s_mov_b32 s65, 0xbff71547
	v_cvt_u32_f32_e32 v0, v0
	s_mov_b32 s67, 0xbfe62e42
	s_mov_b32 s71, 0x3e928af3
	v_writelane_b32 v69, s7, 1
	s_clause 0x9
	s_load_dwordx2 s[50:51], s[4:5], 0x690
	s_load_dwordx2 s[52:53], s[4:5], 0x830
	s_load_dwordx2 s[6:7], s[4:5], 0x9c0
	s_load_dwordx2 s[56:57], s[4:5], 0x9d0
	s_load_dwordx4 s[16:19], s[4:5], 0x750
	s_load_dwordx2 s[58:59], s[4:5], 0x820
	s_load_dwordx4 s[20:23], s[4:5], 0x8f0
	s_load_dwordx4 s[24:27], s[4:5], 0xa90
	s_load_dwordx2 s[60:61], s[4:5], 0xb60
	s_load_dwordx2 s[62:63], s[4:5], 0xb70
	s_mov_b32 s73, 0x3e5ade15
	s_mov_b32 s75, 0x3ec71dee
	;; [unrolled: 1-line block ×11, first 2 shown]
	s_waitcnt lgkmcnt(0)
	v_writelane_b32 v69, s6, 2
	v_writelane_b32 v69, s7, 3
	s_clause 0x2
	s_load_dwordx2 s[94:95], s[4:5], 0x1b0
	s_load_dwordx4 s[28:31], s[4:5], 0x270
	s_load_dwordx4 s[4:7], s[4:5], 0xc30
	v_writelane_b32 v69, s0, 4
	s_cselect_b32 s0, -1, 0
	v_writelane_b32 v69, s0, 5
	s_mul_i32 s0, s9, 3
	s_add_i32 s0, s1, s0
	v_writelane_b32 v69, s0, 6
	s_sub_u32 s0, 0, s8
	v_writelane_b32 v69, s0, 7
	s_subb_u32 s0, 0, s9
	s_sub_u32 s92, 0, s50
	v_writelane_b32 v69, s0, 8
	s_subb_u32 s0, 0, s51
	s_sub_u32 s33, 0, s52
	v_writelane_b32 v69, s0, 9
	s_subb_u32 s0, 0, s53
	s_sub_u32 s90, 0, s56
	v_writelane_b32 v69, s0, 10
	s_subb_u32 s0, 0, s57
	v_writelane_b32 v69, s0, 11
	s_branch .LBB3_5
.LBB3_2:                                ;   in Loop: Header=BB3_5 Depth=1
	s_or_b32 exec_lo, exec_lo, s0
	v_readlane_b32 s0, v69, 5
	s_andn2_b32 vcc_lo, exec_lo, s0
	s_cbranch_vccnz .LBB3_69
; %bb.3:                                ;   in Loop: Header=BB3_5 Depth=1
	v_readlane_b32 s0, v69, 7
	v_readlane_b32 s1, v69, 8
	v_mul_lo_u32 v2, s0, v16
	v_mul_lo_u32 v47, s1, v15
	v_mad_u64_u32 v[45:46], null, s0, v15, v[3:4]
	v_add3_u32 v2, v47, v46, v2
	v_mul_lo_u32 v48, v45, s43
	v_mad_u64_u32 v[46:47], null, v45, s42, 0
	v_mul_lo_u32 v59, v45, s47
	v_mul_lo_u32 v49, v2, s42
	;; [unrolled: 1-line block ×3, first 2 shown]
	v_add3_u32 v47, v47, v48, v49
	v_sub_co_u32 v48, vcc_lo, 1, v15
	v_sub_co_ci_u32_e64 v49, null, 0, v16, vcc_lo
	v_lshlrev_b64 v[46:47], 3, v[46:47]
	v_mul_lo_u32 v51, s9, v48
	v_mul_lo_u32 v50, s8, v49
	v_mad_u64_u32 v[48:49], null, s8, v48, v[3:4]
	v_add3_u32 v58, v51, v49, v50
	v_mul_lo_u32 v51, v48, s43
	v_mad_u64_u32 v[49:50], null, v48, s42, 0
	v_mul_lo_u32 v52, v58, s42
	v_add3_u32 v50, v50, v51, v52
	v_sub_co_u32 v51, vcc_lo, 2, v15
	v_sub_co_ci_u32_e64 v52, null, 0, v16, vcc_lo
	v_lshlrev_b64 v[49:50], 3, v[49:50]
	v_mul_lo_u32 v54, s9, v51
	v_add_co_u32 v46, vcc_lo, s34, v46
	v_mul_lo_u32 v53, s8, v52
	v_mad_u64_u32 v[51:52], null, s8, v51, v[3:4]
	v_add_co_ci_u32_e64 v47, null, s35, v47, vcc_lo
	v_add_co_u32 v49, vcc_lo, s34, v49
	v_add_co_ci_u32_e64 v50, null, s35, v50, vcc_lo
	v_add3_u32 v60, v54, v52, v53
	v_mul_lo_u32 v55, v51, s43
	v_mad_u64_u32 v[52:53], null, v51, s42, 0
	v_sub_co_u32 v15, vcc_lo, 3, v15
	v_mul_lo_u32 v54, v60, s42
	v_sub_co_ci_u32_e64 v16, null, 0, v16, vcc_lo
	v_add3_u32 v53, v53, v55, v54
	v_mul_lo_u32 v54, s8, v16
	v_mul_lo_u32 v55, s9, v15
	v_mad_u64_u32 v[15:16], null, s8, v15, v[3:4]
	v_lshlrev_b64 v[52:53], 3, v[52:53]
	v_add3_u32 v16, v55, v16, v54
	v_mul_lo_u32 v57, v15, s43
	v_mad_u64_u32 v[54:55], null, v15, s42, 0
	v_add_co_u32 v52, vcc_lo, s34, v52
	v_mul_lo_u32 v56, v16, s42
	v_add_co_ci_u32_e64 v53, null, s35, v53, vcc_lo
	v_add3_u32 v55, v55, v57, v56
	v_mad_u64_u32 v[56:57], null, v45, s46, 0
	v_mul_lo_u32 v45, v48, s47
	v_lshlrev_b64 v[54:55], 3, v[54:55]
	v_add3_u32 v57, v57, v59, v2
	v_mul_lo_u32 v2, v58, s46
	v_mad_u64_u32 v[58:59], null, v48, s46, 0
	v_add_co_u32 v54, vcc_lo, s34, v54
	v_lshlrev_b64 v[56:57], 3, v[56:57]
	v_add_co_ci_u32_e64 v55, null, s35, v55, vcc_lo
	v_add3_u32 v59, v59, v45, v2
	v_mul_lo_u32 v2, v60, s46
	v_mul_lo_u32 v45, v51, s47
	v_mad_u64_u32 v[60:61], null, v51, s46, 0
	v_add_co_u32 v63, vcc_lo, s44, v56
	v_add_co_ci_u32_e64 v64, null, s45, v57, vcc_lo
	v_lshlrev_b64 v[56:57], 3, v[58:59]
	v_add3_u32 v61, v61, v45, v2
	v_mul_lo_u32 v2, v16, s46
	v_mul_lo_u32 v45, v15, s47
	v_mad_u64_u32 v[15:16], null, v15, s46, 0
	v_add_co_u32 v65, vcc_lo, s44, v56
	v_add_co_ci_u32_e64 v66, null, s45, v57, vcc_lo
	v_lshlrev_b64 v[56:57], 3, v[60:61]
	v_add3_u32 v16, v16, v45, v2
	v_add_co_u32 v67, vcc_lo, s44, v56
	v_lshlrev_b64 v[15:16], 3, v[15:16]
	v_add_co_ci_u32_e64 v68, null, s45, v57, vcc_lo
	v_add_co_u32 v15, vcc_lo, s44, v15
	v_add_co_ci_u32_e64 v16, null, s45, v16, vcc_lo
	s_clause 0x3
	global_load_dwordx2 v[61:62], v[46:47], off
	global_load_dwordx2 v[57:58], v[49:50], off
	;; [unrolled: 1-line block ×4, first 2 shown]
	s_clause 0x3
	global_load_dwordx2 v[59:60], v[63:64], off
	global_load_dwordx2 v[55:56], v[65:66], off
	;; [unrolled: 1-line block ×4, first 2 shown]
.LBB3_4:                                ;   in Loop: Header=BB3_5 Depth=1
	s_waitcnt vmcnt(2)
	v_add_f64 v[21:22], v[21:22], v[31:32]
	s_mov_b32 s96, s64
	s_mov_b32 s99, s67
	s_mov_b32 s48, 0xf278e000
	s_mov_b32 s49, 0x3d53de6a
	s_mov_b32 s54, 0xf97b57a0
	s_mov_b32 s55, 0x3ac9cc01
	v_add_f64 v[13:14], v[13:14], v[23:24]
	s_mov_b32 s0, 0x3b39803f
	s_mov_b32 s1, 0xbc7abc9e
	v_add_f64 v[17:18], v[17:18], v[25:26]
	s_waitcnt vmcnt(1)
	v_add_f64 v[19:20], v[19:20], v[29:30]
	v_add_f64 v[21:22], v[21:22], v[49:50]
	v_add_f64 v[13:14], v[13:14], v[61:62]
	v_add_f64 v[17:18], v[17:18], v[57:58]
	v_add_f64 v[19:20], v[19:20], v[45:46]
	v_add_f64 v[21:22], v[47:48], v[21:22]
	v_add_f64 v[13:14], v[59:60], v[13:14]
	v_add_f64 v[17:18], v[55:56], v[17:18]
	s_waitcnt vmcnt(0)
	v_add_f64 v[15:16], v[15:16], v[19:20]
	v_mul_f64 v[31:32], |v[21:22]|, s[96:97]
	v_mul_f64 v[23:24], v[13:14], s[64:65]
	v_mul_f64 v[25:26], v[17:18], s[64:65]
	;; [unrolled: 1-line block ×3, first 2 shown]
	v_cmp_nlt_f64_e64 s2, 0x4090cc00, v[17:18]
	v_rndne_f64_e32 v[31:32], v[31:32]
	v_rndne_f64_e32 v[23:24], v[23:24]
	;; [unrolled: 1-line block ×4, first 2 shown]
	v_fma_f64 v[47:48], v[31:32], s[98:99], |v[21:22]|
	v_mul_f64 v[51:52], v[31:32], s[48:49]
	v_fma_f64 v[59:60], v[23:24], s[66:67], -v[13:14]
	v_cvt_i32_f64_e32 v2, v[23:24]
	v_fma_f64 v[55:56], v[25:26], s[66:67], -v[17:18]
	v_fma_f64 v[29:30], v[19:20], s[66:67], -v[15:16]
	v_add_f64 v[49:50], v[47:48], 0
	v_fma_f64 v[59:60], v[23:24], s[0:1], v[59:60]
	v_fma_f64 v[55:56], v[25:26], s[0:1], v[55:56]
	;; [unrolled: 1-line block ×3, first 2 shown]
	v_cmp_gt_f64_e64 s0, 0x3e400000, |v[21:22]|
	v_cmp_ngt_f64_e64 s1, 0xc0900000, v[17:18]
	v_add_f64 v[53:54], v[49:50], -v[51:52]
	v_add_f64 v[47:48], v[47:48], -v[49:50]
	v_fma_f64 v[61:62], v[59:60], s[72:73], s[70:71]
	v_fma_f64 v[57:58], v[55:56], s[72:73], s[70:71]
	;; [unrolled: 1-line block ×3, first 2 shown]
	v_add_f64 v[49:50], v[49:50], -v[53:54]
	v_add_f64 v[47:48], v[47:48], 0
	v_fma_f64 v[61:62], v[59:60], v[61:62], s[74:75]
	v_fma_f64 v[57:58], v[55:56], v[57:58], s[74:75]
	;; [unrolled: 1-line block ×3, first 2 shown]
	v_add_f64 v[49:50], v[49:50], -v[51:52]
	v_fma_f64 v[61:62], v[59:60], v[61:62], s[76:77]
	v_fma_f64 v[57:58], v[55:56], v[57:58], s[76:77]
	;; [unrolled: 1-line block ×3, first 2 shown]
	v_add_f64 v[47:48], v[47:48], v[49:50]
	v_fma_f64 v[61:62], v[59:60], v[61:62], s[78:79]
	v_fma_f64 v[57:58], v[55:56], v[57:58], s[78:79]
	;; [unrolled: 1-line block ×3, first 2 shown]
	v_add_f64 v[49:50], v[53:54], v[47:48]
	v_fma_f64 v[61:62], v[59:60], v[61:62], s[80:81]
	v_fma_f64 v[57:58], v[55:56], v[57:58], s[80:81]
	;; [unrolled: 1-line block ×3, first 2 shown]
	v_add_f64 v[51:52], v[53:54], -v[49:50]
	v_fma_f64 v[61:62], v[59:60], v[61:62], s[82:83]
	v_fma_f64 v[57:58], v[55:56], v[57:58], s[82:83]
	;; [unrolled: 1-line block ×3, first 2 shown]
	v_add_f64 v[47:48], v[47:48], v[51:52]
	v_mul_f64 v[51:52], v[31:32], s[54:55]
	v_fma_f64 v[61:62], v[59:60], v[61:62], s[84:85]
	v_fma_f64 v[57:58], v[55:56], v[57:58], s[84:85]
	v_fma_f64 v[45:46], v[29:30], v[45:46], s[84:85]
	v_add_f64 v[53:54], v[49:50], -v[51:52]
	v_fma_f64 v[61:62], v[59:60], v[61:62], s[86:87]
	v_fma_f64 v[57:58], v[55:56], v[57:58], s[86:87]
	v_fma_f64 v[45:46], v[29:30], v[45:46], s[86:87]
	v_add_f64 v[49:50], v[49:50], -v[53:54]
	;; [unrolled: 4-line block ×3, first 2 shown]
	v_fma_f64 v[61:62], v[59:60], v[61:62], 1.0
	v_fma_f64 v[57:58], v[55:56], v[57:58], 1.0
	;; [unrolled: 1-line block ×3, first 2 shown]
	v_add_f64 v[49:50], v[47:48], v[49:50]
	v_fma_f64 v[59:60], v[59:60], v[61:62], 1.0
	v_fma_f64 v[55:56], v[55:56], v[57:58], 1.0
	;; [unrolled: 1-line block ×3, first 2 shown]
	v_add_f64 v[47:48], v[53:54], v[49:50]
	v_ldexp_f64 v[23:24], v[59:60], v2
	v_cvt_i32_f64_e32 v2, v[25:26]
	v_add_f64 v[51:52], v[53:54], -v[47:48]
	v_add_f64 v[23:24], v[23:24], 1.0
	v_ldexp_f64 v[25:26], v[55:56], v2
	v_cvt_i32_f64_e32 v2, v[19:20]
	v_add_f64 v[49:50], v[49:50], v[51:52]
	v_mul_f64 v[51:52], v[47:48], v[47:48]
	v_div_scale_f64 v[59:60], null, v[23:24], v[23:24], 1.0
	v_add_f64 v[25:26], v[25:26], 1.0
	v_ldexp_f64 v[19:20], v[29:30], v2
	v_cvt_i32_f64_e32 v2, v[31:32]
	v_add_f64 v[63:64], v[49:50], v[49:50]
	v_fma_f64 v[53:54], v[47:48], v[47:48], -v[51:52]
	v_rcp_f64_e32 v[61:62], v[59:60]
	v_div_scale_f64 v[55:56], null, v[25:26], v[25:26], 1.0
	v_add_f64 v[19:20], v[19:20], 1.0
	v_fma_f64 v[53:54], v[47:48], v[63:64], v[53:54]
	v_rcp_f64_e32 v[57:58], v[55:56]
	v_div_scale_f64 v[29:30], null, v[19:20], v[19:20], 1.0
	v_add_f64 v[63:64], v[51:52], v[53:54]
	v_rcp_f64_e32 v[45:46], v[29:30]
	v_add_f64 v[51:52], v[63:64], -v[51:52]
	v_add_f64 v[53:54], v[53:54], -v[51:52]
	v_fma_f64 v[51:52], v[47:48], s[72:73], s[70:71]
	v_fma_f64 v[51:52], v[47:48], v[51:52], s[74:75]
	;; [unrolled: 1-line block ×9, first 2 shown]
	v_mul_f64 v[51:52], v[63:64], v[65:66]
	v_fma_f64 v[63:64], v[63:64], v[65:66], -v[51:52]
	v_fma_f64 v[53:54], v[53:54], v[65:66], v[63:64]
	v_fma_f64 v[63:64], -v[59:60], v[61:62], 1.0
	v_fma_f64 v[61:62], v[61:62], v[63:64], v[61:62]
	v_fma_f64 v[63:64], -v[59:60], v[61:62], 1.0
	v_fma_f64 v[61:62], v[61:62], v[63:64], v[61:62]
	v_div_scale_f64 v[63:64], vcc_lo, 1.0, v[23:24], 1.0
	v_mul_f64 v[65:66], v[63:64], v[61:62]
	v_fma_f64 v[59:60], -v[59:60], v[65:66], v[63:64]
	v_div_fmas_f64 v[59:60], v[59:60], v[61:62], v[65:66]
	v_fma_f64 v[61:62], -v[55:56], v[57:58], 1.0
	v_div_fixup_f64 v[23:24], v[59:60], v[23:24], 1.0
	v_fma_f64 v[57:58], v[57:58], v[61:62], v[57:58]
	v_fma_f64 v[61:62], -v[55:56], v[57:58], 1.0
	v_fma_f64 v[57:58], v[57:58], v[61:62], v[57:58]
	v_div_scale_f64 v[61:62], vcc_lo, 1.0, v[25:26], 1.0
	v_mul_f64 v[63:64], v[61:62], v[57:58]
	v_fma_f64 v[55:56], -v[55:56], v[63:64], v[61:62]
	v_div_fmas_f64 v[55:56], v[55:56], v[57:58], v[63:64]
	v_fma_f64 v[57:58], -v[29:30], v[45:46], 1.0
	v_div_fixup_f64 v[25:26], v[55:56], v[25:26], 1.0
	v_fma_f64 v[45:46], v[45:46], v[57:58], v[45:46]
	v_fma_f64 v[57:58], -v[29:30], v[45:46], 1.0
	v_fma_f64 v[45:46], v[45:46], v[57:58], v[45:46]
	v_div_scale_f64 v[57:58], vcc_lo, 1.0, v[19:20], 1.0
	v_mul_f64 v[61:62], v[57:58], v[45:46]
	v_fma_f64 v[29:30], -v[29:30], v[61:62], v[57:58]
	v_div_fmas_f64 v[29:30], v[29:30], v[45:46], v[61:62]
	v_add_f64 v[45:46], v[51:52], v[53:54]
	v_cmp_nlt_f64_e64 vcc_lo, 0x40331000, |v[21:22]|
	v_div_fixup_f64 v[19:20], v[29:30], v[19:20], 1.0
	v_add_f64 v[51:52], v[45:46], -v[51:52]
	v_add_f64 v[51:52], v[53:54], -v[51:52]
	v_add_f64 v[53:54], v[47:48], v[45:46]
	v_add_f64 v[47:48], v[53:54], -v[47:48]
	v_add_f64 v[45:46], v[45:46], -v[47:48]
	v_add_f64 v[47:48], v[49:50], v[51:52]
	v_add_f64 v[45:46], v[47:48], v[45:46]
	;; [unrolled: 1-line block ×3, first 2 shown]
	v_add_f64 v[49:50], v[47:48], -v[53:54]
	v_add_f64 v[45:46], v[45:46], -v[49:50]
	v_add_f64 v[49:50], v[47:48], 1.0
	v_add_f64 v[51:52], v[49:50], -1.0
	v_add_f64 v[47:48], v[47:48], -v[51:52]
	v_add_f64 v[45:46], v[45:46], v[47:48]
	v_add_f64 v[31:32], v[49:50], v[45:46]
	v_add_f64 v[47:48], v[31:32], -v[49:50]
	v_ldexp_f64 v[31:32], v[31:32], v2
	v_add_f64 v[45:46], v[45:46], -v[47:48]
	v_rcp_f64_e32 v[49:50], v[31:32]
	v_ldexp_f64 v[45:46], v[45:46], v2
	v_and_b32_e32 v2, 0x7fffffff, v22
	v_fma_f64 v[51:52], -v[31:32], v[49:50], 1.0
	v_fma_f64 v[49:50], v[51:52], v[49:50], v[49:50]
	v_fma_f64 v[47:48], -v[31:32], v[49:50], 1.0
	v_fma_f64 v[47:48], v[47:48], v[49:50], v[49:50]
	v_mul_f64 v[49:50], v[31:32], v[47:48]
	v_fma_f64 v[51:52], v[47:48], v[31:32], -v[49:50]
	v_fma_f64 v[51:52], v[47:48], v[45:46], v[51:52]
	v_add_f64 v[53:54], v[49:50], v[51:52]
	v_add_f64 v[49:50], v[53:54], -v[49:50]
	v_add_f64 v[49:50], v[49:50], -v[51:52]
	v_add_f64 v[51:52], -v[53:54], 1.0
	v_add_f64 v[57:58], -v[51:52], 1.0
	v_add_f64 v[53:54], v[57:58], -v[53:54]
	v_add_f64 v[49:50], v[49:50], v[53:54]
	v_add_f64 v[53:54], v[51:52], v[49:50]
	v_add_f64 v[51:52], v[51:52], -v[53:54]
	v_add_f64 v[49:50], v[49:50], v[51:52]
	v_mul_f64 v[51:52], v[47:48], v[53:54]
	v_mul_f64 v[57:58], v[31:32], v[51:52]
	v_fma_f64 v[61:62], v[51:52], v[31:32], -v[57:58]
	v_fma_f64 v[61:62], v[51:52], v[45:46], v[61:62]
	v_add_f64 v[63:64], v[57:58], v[61:62]
	v_add_f64 v[65:66], v[53:54], -v[63:64]
	v_add_f64 v[57:58], v[63:64], -v[57:58]
	v_add_f64 v[53:54], v[53:54], -v[65:66]
	v_add_f64 v[57:58], v[57:58], -v[61:62]
	v_add_f64 v[53:54], v[53:54], -v[63:64]
	v_add_f64 v[49:50], v[49:50], v[53:54]
	v_add_f64 v[53:54], v[47:48], v[51:52]
	;; [unrolled: 1-line block ×3, first 2 shown]
	v_add_f64 v[57:58], v[53:54], -v[47:48]
	v_add_f64 v[49:50], v[65:66], v[49:50]
	v_add_f64 v[51:52], v[51:52], -v[57:58]
	v_mul_f64 v[47:48], v[47:48], v[49:50]
	v_add_f64 v[47:48], v[51:52], v[47:48]
	v_add_f64 v[49:50], v[53:54], v[47:48]
	v_add_f64 v[51:52], v[49:50], -v[53:54]
	v_add_f64 v[53:54], v[31:32], v[49:50]
	v_add_f64 v[47:48], v[47:48], -v[51:52]
	v_add_f64 v[51:52], v[31:32], -v[49:50]
	;; [unrolled: 1-line block ×6, first 2 shown]
	v_add_f64 v[49:50], v[45:46], v[57:58]
	v_add_f64 v[45:46], v[45:46], v[47:48]
	;; [unrolled: 1-line block ×3, first 2 shown]
	v_add_f64 v[45:46], v[49:50], -v[47:48]
	v_add_f64 v[47:48], v[53:54], v[31:32]
	v_rcp_f64_e32 v[49:50], v[47:48]
	v_add_f64 v[53:54], v[47:48], -v[53:54]
	v_add_f64 v[31:32], v[31:32], -v[53:54]
	v_fma_f64 v[57:58], -v[47:48], v[49:50], 1.0
	v_fma_f64 v[49:50], v[57:58], v[49:50], v[49:50]
	v_fma_f64 v[53:54], -v[47:48], v[49:50], 1.0
	v_fma_f64 v[49:50], v[53:54], v[49:50], v[49:50]
	v_add_f64 v[53:54], v[51:52], v[45:46]
	v_mul_f64 v[57:58], v[53:54], v[49:50]
	v_add_f64 v[51:52], v[53:54], -v[51:52]
	v_mul_f64 v[61:62], v[47:48], v[57:58]
	v_add_f64 v[45:46], v[45:46], -v[51:52]
	v_fma_f64 v[47:48], v[57:58], v[47:48], -v[61:62]
	v_fma_f64 v[31:32], v[57:58], v[31:32], v[47:48]
	v_add_f64 v[47:48], v[61:62], v[31:32]
	v_add_f64 v[61:62], v[47:48], -v[61:62]
	v_add_f64 v[31:32], v[31:32], -v[61:62]
	;; [unrolled: 1-line block ×6, first 2 shown]
	v_add_f64 v[31:32], v[45:46], v[31:32]
	v_add_f64 v[31:32], v[61:62], v[31:32]
	v_mul_f64 v[31:32], v[49:50], v[31:32]
	v_add_f64 v[31:32], v[57:58], v[31:32]
	v_cndmask_b32_e32 v32, 0x3ff00000, v32, vcc_lo
	v_cndmask_b32_e32 v31, 0, v31, vcc_lo
	v_cmp_ngt_f64_e32 vcc_lo, 0xc0900000, v[13:14]
	v_cndmask_b32_e64 v2, v32, v2, s0
	v_cndmask_b32_e64 v21, v31, v21, s0
	v_cmp_nlt_f64_e64 s0, 0x4090cc00, v[13:14]
	v_bfi_b32 v22, 0x7fffffff, v2, v22
	v_cndmask_b32_e32 v2, 0, v24, vcc_lo
	v_cndmask_b32_e64 v24, 0, v26, s1
	s_and_b32 vcc_lo, s0, vcc_lo
	v_cndmask_b32_e64 v14, 0x3ff00000, v2, s0
	v_cndmask_b32_e32 v13, 0, v23, vcc_lo
	v_cndmask_b32_e64 v18, 0x3ff00000, v24, s2
	s_and_b32 vcc_lo, s2, s1
	v_mul_lo_u32 v2, v42, s20
	v_cndmask_b32_e32 v17, 0, v25, vcc_lo
	v_mul_f64 v[23:24], v[13:14], v[21:22]
	v_readlane_b32 s0, v69, 10
	v_fma_f64 v[23:24], v[39:40], v[17:18], v[23:24]
	v_mul_f64 v[25:26], |v[23:24]|, s[96:97]
	v_rndne_f64_e32 v[25:26], v[25:26]
	v_fma_f64 v[31:32], v[25:26], s[98:99], |v[23:24]|
	v_mul_f64 v[45:46], v[25:26], s[48:49]
	v_add_f64 v[39:40], v[31:32], 0
	v_add_f64 v[47:48], v[39:40], -v[45:46]
	v_add_f64 v[31:32], v[31:32], -v[39:40]
	v_add_f64 v[39:40], v[39:40], -v[47:48]
	v_add_f64 v[31:32], v[31:32], 0
	v_add_f64 v[39:40], v[39:40], -v[45:46]
	v_add_f64 v[31:32], v[31:32], v[39:40]
	v_add_f64 v[39:40], v[47:48], v[31:32]
	v_add_f64 v[45:46], v[47:48], -v[39:40]
	v_add_f64 v[31:32], v[31:32], v[45:46]
	v_mul_f64 v[45:46], v[25:26], s[54:55]
	v_add_f64 v[47:48], v[39:40], -v[45:46]
	v_add_f64 v[39:40], v[39:40], -v[47:48]
	;; [unrolled: 1-line block ×3, first 2 shown]
	v_add_f64 v[31:32], v[31:32], v[39:40]
	v_add_f64 v[39:40], v[47:48], v[31:32]
	v_add_f64 v[45:46], v[47:48], -v[39:40]
	v_add_f64 v[31:32], v[31:32], v[45:46]
	v_mul_f64 v[45:46], v[39:40], v[39:40]
	v_add_f64 v[49:50], v[31:32], v[31:32]
	v_fma_f64 v[47:48], v[39:40], v[39:40], -v[45:46]
	v_fma_f64 v[47:48], v[39:40], v[49:50], v[47:48]
	v_add_f64 v[49:50], v[45:46], v[47:48]
	v_add_f64 v[45:46], v[49:50], -v[45:46]
	v_add_f64 v[45:46], v[47:48], -v[45:46]
	v_fma_f64 v[47:48], v[39:40], s[72:73], s[70:71]
	v_fma_f64 v[47:48], v[39:40], v[47:48], s[74:75]
	;; [unrolled: 1-line block ×9, first 2 shown]
	v_mul_f64 v[51:52], v[49:50], v[47:48]
	v_fma_f64 v[49:50], v[49:50], v[47:48], -v[51:52]
	v_fma_f64 v[45:46], v[45:46], v[47:48], v[49:50]
	v_mul_lo_u32 v49, v41, s21
	v_mad_u64_u32 v[47:48], null, v41, s20, 0
	v_add3_u32 v48, v48, v49, v2
	v_mul_lo_u32 v2, s33, v42
	v_mul_lo_u32 v49, s0, v41
	v_mad_u64_u32 v[41:42], null, s33, v41, v[3:4]
	v_lshlrev_b64 v[47:48], 3, v[47:48]
	v_cmp_nlt_f64_e64 s0, 0x4090cc00, v[15:16]
	v_add3_u32 v2, v49, v42, v2
	v_mul_lo_u32 v49, v41, s23
	v_mad_u64_u32 v[41:42], null, v41, s22, 0
	v_mul_lo_u32 v2, v2, s22
	v_add3_u32 v42, v42, v49, v2
	v_add_co_u32 v2, vcc_lo, s58, v47
	v_add_co_ci_u32_e64 v47, null, s59, v48, vcc_lo
	v_lshlrev_b64 v[41:42], 3, v[41:42]
	v_add_co_u32 v41, vcc_lo, v2, v41
	v_add_co_ci_u32_e64 v42, null, v47, v42, vcc_lo
	v_add_f64 v[47:48], v[51:52], v[45:46]
	v_cvt_i32_f64_e32 v2, v[25:26]
	v_cmp_ngt_f64_e32 vcc_lo, 0xc0900000, v[15:16]
	v_add_f64 v[49:50], v[47:48], -v[51:52]
	v_add_f64 v[45:46], v[45:46], -v[49:50]
	v_add_f64 v[49:50], v[39:40], v[47:48]
	v_add_f64 v[31:32], v[31:32], v[45:46]
	v_add_f64 v[39:40], v[49:50], -v[39:40]
	v_add_f64 v[39:40], v[47:48], -v[39:40]
	v_add_f64 v[31:32], v[31:32], v[39:40]
	v_add_f64 v[39:40], v[49:50], v[31:32]
	v_add_f64 v[45:46], v[39:40], -v[49:50]
	v_add_f64 v[31:32], v[31:32], -v[45:46]
	v_add_f64 v[45:46], v[39:40], 1.0
	v_add_f64 v[47:48], v[45:46], -1.0
	v_add_f64 v[39:40], v[39:40], -v[47:48]
	v_add_f64 v[31:32], v[31:32], v[39:40]
	v_add_f64 v[25:26], v[45:46], v[31:32]
	v_add_f64 v[39:40], v[25:26], -v[45:46]
	v_ldexp_f64 v[25:26], v[25:26], v2
	v_add_f64 v[31:32], v[31:32], -v[39:40]
	v_rcp_f64_e32 v[45:46], v[25:26]
	v_ldexp_f64 v[31:32], v[31:32], v2
	v_cndmask_b32_e32 v2, 0, v20, vcc_lo
	s_and_b32 vcc_lo, s0, vcc_lo
	v_fma_f64 v[47:48], -v[25:26], v[45:46], 1.0
	v_cndmask_b32_e32 v19, 0, v19, vcc_lo
	v_cmp_nlt_f64_e64 vcc_lo, 0x40331000, |v[23:24]|
	v_cndmask_b32_e64 v20, 0x3ff00000, v2, s0
	v_cmp_gt_f64_e64 s0, 0x3e400000, |v[23:24]|
	v_and_b32_e32 v2, 0x7fffffff, v24
	v_fma_f64 v[45:46], v[47:48], v[45:46], v[45:46]
	v_fma_f64 v[39:40], -v[25:26], v[45:46], 1.0
	v_fma_f64 v[39:40], v[39:40], v[45:46], v[45:46]
	v_mul_f64 v[45:46], v[25:26], v[39:40]
	v_fma_f64 v[47:48], v[39:40], v[25:26], -v[45:46]
	v_fma_f64 v[47:48], v[39:40], v[31:32], v[47:48]
	v_add_f64 v[49:50], v[45:46], v[47:48]
	v_add_f64 v[45:46], v[49:50], -v[45:46]
	v_add_f64 v[45:46], v[45:46], -v[47:48]
	v_add_f64 v[47:48], -v[49:50], 1.0
	v_add_f64 v[51:52], -v[47:48], 1.0
	v_add_f64 v[49:50], v[51:52], -v[49:50]
	v_add_f64 v[45:46], v[45:46], v[49:50]
	v_add_f64 v[49:50], v[47:48], v[45:46]
	v_add_f64 v[47:48], v[47:48], -v[49:50]
	v_add_f64 v[45:46], v[45:46], v[47:48]
	v_mul_f64 v[47:48], v[39:40], v[49:50]
	v_mul_f64 v[51:52], v[25:26], v[47:48]
	v_fma_f64 v[53:54], v[47:48], v[25:26], -v[51:52]
	v_fma_f64 v[53:54], v[47:48], v[31:32], v[53:54]
	v_add_f64 v[55:56], v[51:52], v[53:54]
	v_add_f64 v[57:58], v[49:50], -v[55:56]
	v_add_f64 v[51:52], v[55:56], -v[51:52]
	;; [unrolled: 1-line block ×5, first 2 shown]
	v_add_f64 v[45:46], v[45:46], v[49:50]
	v_add_f64 v[49:50], v[39:40], v[47:48]
	;; [unrolled: 1-line block ×3, first 2 shown]
	v_add_f64 v[51:52], v[49:50], -v[39:40]
	v_add_f64 v[45:46], v[57:58], v[45:46]
	v_add_f64 v[47:48], v[47:48], -v[51:52]
	v_mul_f64 v[39:40], v[39:40], v[45:46]
	v_add_f64 v[39:40], v[47:48], v[39:40]
	v_add_f64 v[45:46], v[49:50], v[39:40]
	v_add_f64 v[47:48], v[45:46], -v[49:50]
	v_add_f64 v[49:50], v[25:26], v[45:46]
	v_add_f64 v[39:40], v[39:40], -v[47:48]
	v_add_f64 v[47:48], v[25:26], -v[45:46]
	;; [unrolled: 1-line block ×6, first 2 shown]
	v_add_f64 v[45:46], v[31:32], v[51:52]
	v_add_f64 v[31:32], v[31:32], v[39:40]
	v_add_f64 v[25:26], v[31:32], v[25:26]
	v_add_f64 v[31:32], v[45:46], -v[39:40]
	v_add_f64 v[39:40], v[49:50], v[25:26]
	v_rcp_f64_e32 v[45:46], v[39:40]
	v_add_f64 v[49:50], v[39:40], -v[49:50]
	v_add_f64 v[25:26], v[25:26], -v[49:50]
	v_fma_f64 v[51:52], -v[39:40], v[45:46], 1.0
	v_fma_f64 v[45:46], v[51:52], v[45:46], v[45:46]
	v_fma_f64 v[49:50], -v[39:40], v[45:46], 1.0
	v_fma_f64 v[45:46], v[49:50], v[45:46], v[45:46]
	v_add_f64 v[49:50], v[47:48], v[31:32]
	v_mul_f64 v[51:52], v[49:50], v[45:46]
	v_add_f64 v[47:48], v[49:50], -v[47:48]
	v_mul_f64 v[53:54], v[39:40], v[51:52]
	v_add_f64 v[31:32], v[31:32], -v[47:48]
	v_fma_f64 v[39:40], v[51:52], v[39:40], -v[53:54]
	v_fma_f64 v[25:26], v[51:52], v[25:26], v[39:40]
	v_add_f64 v[39:40], v[53:54], v[25:26]
	v_add_f64 v[53:54], v[39:40], -v[53:54]
	v_add_f64 v[25:26], v[25:26], -v[53:54]
	;; [unrolled: 1-line block ×6, first 2 shown]
	v_add_f64 v[25:26], v[31:32], v[25:26]
	v_add_f64 v[25:26], v[53:54], v[25:26]
	v_mul_f64 v[25:26], v[45:46], v[25:26]
	v_add_f64 v[15:16], v[51:52], v[25:26]
	v_mul_lo_u32 v25, v43, s25
	v_cndmask_b32_e32 v16, 0x3ff00000, v16, vcc_lo
	v_cndmask_b32_e32 v15, 0, v15, vcc_lo
	v_cndmask_b32_e64 v2, v16, v2, s0
	v_cndmask_b32_e64 v15, v15, v23, s0
	v_readlane_b32 s0, v69, 11
	v_bfi_b32 v16, 0x7fffffff, v2, v24
	v_mul_lo_u32 v2, v44, s24
	v_mul_lo_u32 v29, s0, v43
	v_readlane_b32 s0, v69, 2
	v_readlane_b32 s1, v69, 3
	v_mul_f64 v[15:16], v[19:20], v[15:16]
	global_store_dwordx2 v[41:42], v[15:16], off
	v_mad_u64_u32 v[15:16], null, v43, s24, 0
	v_add3_u32 v16, v16, v25, v2
	v_mul_lo_u32 v2, s90, v44
	v_mad_u64_u32 v[25:26], null, s90, v43, v[3:4]
	v_lshlrev_b64 v[15:16], 3, v[15:16]
	v_add3_u32 v2, v29, v26, v2
	v_mul_lo_u32 v29, v25, s27
	v_mad_u64_u32 v[25:26], null, v25, s26, 0
	v_mul_lo_u32 v2, v2, s26
	v_add3_u32 v26, v26, v29, v2
	v_add_co_u32 v2, vcc_lo, s0, v15
	v_add_co_ci_u32_e64 v29, null, s1, v16, vcc_lo
	v_lshlrev_b64 v[15:16], 3, v[25:26]
	v_readlane_b32 s0, v69, 4
	v_add_co_u32 v15, vcc_lo, v2, v15
	v_add_co_ci_u32_e64 v16, null, v29, v16, vcc_lo
	v_mul_lo_u32 v2, v28, s62
	global_store_dwordx2 v[15:16], v[23:24], off
	v_mul_lo_u32 v23, v27, s63
	v_mad_u64_u32 v[15:16], null, v27, s62, 0
	v_add3_u32 v2, v16, v23, v2
	v_sub_co_u32 v15, vcc_lo, v5, v15
	v_mul_lo_u32 v16, v28, s4
	v_mul_lo_u32 v23, v27, s5
	v_sub_co_ci_u32_e64 v2, null, v6, v2, vcc_lo
	v_mad_u64_u32 v[5:6], null, v27, s4, 0
	v_add_co_u32 v15, vcc_lo, v3, v15
	v_add_co_ci_u32_e64 v2, null, v4, v2, vcc_lo
	v_add3_u32 v6, v6, v23, v16
	v_mul_lo_u32 v2, v2, s6
	v_mul_lo_u32 v23, v15, s7
	v_mad_u64_u32 v[15:16], null, v15, s6, 0
	v_lshlrev_b64 v[5:6], 3, v[5:6]
	v_add3_u32 v16, v16, v23, v2
	v_add_co_u32 v2, vcc_lo, s60, v5
	v_add_co_ci_u32_e64 v23, null, s61, v6, vcc_lo
	v_lshlrev_b64 v[5:6], 3, v[15:16]
	v_add_co_u32 v5, vcc_lo, v2, v5
	v_add_co_ci_u32_e64 v6, null, v23, v6, vcc_lo
	v_mul_lo_u32 v2, v34, s62
	global_store_dwordx2 v[5:6], v[13:14], off
	v_mul_lo_u32 v13, v33, s63
	v_mad_u64_u32 v[5:6], null, v33, s62, 0
	v_add3_u32 v2, v6, v13, v2
	v_sub_co_u32 v7, vcc_lo, v7, v5
	v_mul_lo_u32 v13, v33, s5
	v_mad_u64_u32 v[5:6], null, v33, s4, 0
	v_sub_co_ci_u32_e64 v2, null, v8, v2, vcc_lo
	v_mul_lo_u32 v8, v34, s4
	v_add_co_u32 v7, vcc_lo, v3, v7
	v_add_co_ci_u32_e64 v2, null, v4, v2, vcc_lo
	v_add3_u32 v6, v6, v13, v8
	v_mul_lo_u32 v2, v2, s6
	v_mul_lo_u32 v13, v7, s7
	v_mad_u64_u32 v[7:8], null, v7, s6, 0
	v_lshlrev_b64 v[5:6], 3, v[5:6]
	v_add3_u32 v8, v8, v13, v2
	v_add_co_u32 v2, vcc_lo, s60, v5
	v_add_co_ci_u32_e64 v13, null, s61, v6, vcc_lo
	v_lshlrev_b64 v[5:6], 3, v[7:8]
	v_mul_lo_u32 v7, v35, s63
	v_mul_lo_u32 v8, v36, s4
	v_add_co_u32 v5, vcc_lo, v2, v5
	v_add_co_ci_u32_e64 v6, null, v13, v6, vcc_lo
	v_mul_lo_u32 v2, v36, s62
	global_store_dwordx2 v[5:6], v[17:18], off
	v_mad_u64_u32 v[5:6], null, v35, s62, 0
	v_add3_u32 v2, v6, v7, v2
	v_sub_co_u32 v7, vcc_lo, v9, v5
	v_mul_lo_u32 v9, v35, s5
	v_mad_u64_u32 v[5:6], null, v35, s4, 0
	v_sub_co_ci_u32_e64 v2, null, v10, v2, vcc_lo
	v_add_co_u32 v7, vcc_lo, v3, v7
	v_mul_lo_u32 v10, v38, s4
	v_add_co_ci_u32_e64 v2, null, v4, v2, vcc_lo
	v_add3_u32 v6, v6, v9, v8
	v_mul_lo_u32 v9, v7, s7
	v_mad_u64_u32 v[7:8], null, v7, s6, 0
	v_mul_lo_u32 v2, v2, s6
	v_lshlrev_b64 v[5:6], 3, v[5:6]
	v_add3_u32 v8, v8, v9, v2
	v_add_co_u32 v2, vcc_lo, s60, v5
	v_add_co_ci_u32_e64 v9, null, s61, v6, vcc_lo
	v_lshlrev_b64 v[5:6], 3, v[7:8]
	v_mad_u64_u32 v[7:8], null, v37, s62, 0
	v_add_co_u32 v5, vcc_lo, v2, v5
	v_add_co_ci_u32_e64 v6, null, v9, v6, vcc_lo
	v_mul_lo_u32 v2, v38, s62
	v_mul_lo_u32 v9, v37, s63
	v_add3_u32 v2, v8, v9, v2
	v_sub_co_u32 v9, vcc_lo, v11, v7
	v_mul_lo_u32 v11, v37, s5
	v_mad_u64_u32 v[7:8], null, v37, s4, 0
	v_sub_co_ci_u32_e64 v2, null, v12, v2, vcc_lo
	v_add_co_u32 v9, vcc_lo, v3, v9
	v_add_co_ci_u32_e64 v2, null, v4, v2, vcc_lo
	v_add3_u32 v8, v8, v11, v10
	v_mul_lo_u32 v11, v9, s7
	v_mad_u64_u32 v[9:10], null, v9, s6, 0
	v_mul_lo_u32 v2, v2, s6
	v_lshlrev_b64 v[7:8], 3, v[7:8]
	v_add3_u32 v10, v10, v11, v2
	v_add_co_u32 v2, vcc_lo, s60, v7
	v_add_co_ci_u32_e64 v11, null, s61, v8, vcc_lo
	v_lshlrev_b64 v[7:8], 3, v[9:10]
	v_add_co_u32 v7, vcc_lo, v2, v7
	v_add_co_ci_u32_e64 v8, null, v11, v8, vcc_lo
	v_add_co_u32 v3, vcc_lo, v3, s0
	v_add_co_ci_u32_e64 v4, null, 0, v4, vcc_lo
	global_store_dwordx2 v[5:6], v[21:22], off
	global_store_dwordx2 v[7:8], v[19:20], off
	v_cmp_le_i64_e32 vcc_lo, s[10:11], v[3:4]
	s_or_b32 vcc_hi, vcc_lo, vcc_hi
	s_andn2_b32 exec_lo, exec_lo, vcc_hi
	s_cbranch_execz .LBB3_70
.LBB3_5:                                ; =>This Inner Loop Header: Depth=1
	v_or_b32_e32 v2, s9, v4
	v_ashrrev_i32_e32 v45, 31, v4
                                        ; implicit-def: $vgpr15_vgpr16
	s_mov_b32 s0, exec_lo
	v_cmpx_ne_u64_e32 0, v[1:2]
	s_xor_b32 s96, exec_lo, s0
	s_cbranch_execz .LBB3_7
; %bb.6:                                ;   in Loop: Header=BB3_5 Depth=1
	s_ashr_i32 s2, s9, 31
	v_add_co_u32 v6, vcc_lo, v3, v45
	s_add_u32 s0, s8, s2
	s_mov_b32 s3, s2
	s_addc_u32 s1, s9, s2
	v_add_co_ci_u32_e64 v7, null, v4, v45, vcc_lo
	s_xor_b64 s[0:1], s[0:1], s[2:3]
	v_cvt_f32_u32_e32 v2, s0
	v_cvt_f32_u32_e32 v5, s1
	s_sub_u32 vcc_lo, 0, s0
	s_subb_u32 s104, 0, s1
	v_xor_b32_e32 v11, v7, v45
	v_fmac_f32_e32 v2, 0x4f800000, v5
	v_rcp_f32_e32 v2, v2
	v_mul_f32_e32 v2, 0x5f7ffffc, v2
	v_mul_f32_e32 v5, 0x2f800000, v2
	v_trunc_f32_e32 v5, v5
	v_fmac_f32_e32 v2, 0xcf800000, v5
	v_cvt_u32_f32_e32 v5, v5
	v_cvt_u32_f32_e32 v2, v2
	v_readfirstlane_b32 s3, v5
	v_readfirstlane_b32 s99, v2
	s_mul_i32 s93, vcc_lo, s3
	v_xor_b32_e32 v2, v6, v45
	s_mul_hi_u32 s68, vcc_lo, s99
	s_mul_i32 s91, s104, s99
	s_add_i32 s68, s68, s93
	s_mul_i32 s69, vcc_lo, s99
	s_add_i32 s68, s68, s91
	s_mul_hi_u32 s93, s99, s69
	s_mul_i32 s91, s99, s68
	s_mul_hi_u32 s48, s3, s69
	s_mul_i32 s49, s3, s69
	s_mul_hi_u32 s69, s99, s68
	s_mul_hi_u32 s54, s3, s68
	s_mul_i32 s55, s3, s68
	s_add_u32 s68, s93, s91
	s_addc_u32 s69, 0, s69
	s_add_u32 s49, s68, s49
	s_addc_u32 s48, s69, s48
	s_addc_u32 s49, s54, 0
	s_add_u32 s48, s48, s55
	s_addc_u32 s49, 0, s49
	s_add_u32 s48, s99, s48
	s_cselect_b32 s54, -1, 0
	s_mul_hi_u32 s55, vcc_lo, s48
	s_cmp_lg_u32 s54, 0
	s_mul_i32 s104, s104, s48
	s_addc_u32 s3, s3, s49
	s_mul_i32 s49, vcc_lo, s48
	s_mul_i32 vcc_lo, vcc_lo, s3
	s_mul_hi_u32 s54, s48, s49
	s_add_i32 s55, s55, vcc_lo
	s_mul_hi_u32 s68, s3, s49
	s_add_i32 s55, s55, s104
	s_mul_i32 s49, s3, s49
	s_mul_i32 s93, s48, s55
	s_mul_hi_u32 s91, s48, s55
	s_add_u32 s54, s54, s93
	s_addc_u32 s91, 0, s91
	s_mul_hi_u32 s69, s3, s55
	s_add_u32 s49, s54, s49
	s_mul_i32 s55, s3, s55
	s_addc_u32 s49, s91, s68
	s_addc_u32 s54, s69, 0
	s_add_u32 s49, s49, s55
	s_addc_u32 s54, 0, s54
	s_add_u32 s48, s48, s49
	s_cselect_b32 s49, -1, 0
	v_mul_hi_u32 v12, v2, s48
	s_cmp_lg_u32 s49, 0
	v_mad_u64_u32 v[7:8], null, v11, s48, 0
	s_addc_u32 s3, s3, s54
	v_mad_u64_u32 v[5:6], null, v2, s3, 0
	v_mad_u64_u32 v[9:10], null, v11, s3, 0
	v_add_co_u32 v5, vcc_lo, v12, v5
	v_add_co_ci_u32_e64 v6, null, 0, v6, vcc_lo
	v_add_co_u32 v5, vcc_lo, v5, v7
	v_add_co_ci_u32_e32 v5, vcc_lo, v6, v8, vcc_lo
	v_add_co_ci_u32_e32 v6, vcc_lo, 0, v10, vcc_lo
	v_add_co_u32 v7, vcc_lo, v5, v9
	v_add_co_ci_u32_e64 v8, null, 0, v6, vcc_lo
	v_mul_lo_u32 v9, s1, v7
	v_mad_u64_u32 v[5:6], null, s0, v7, 0
	v_mul_lo_u32 v10, s0, v8
	v_sub_co_u32 v2, vcc_lo, v2, v5
	v_add3_u32 v6, v6, v10, v9
	v_sub_nc_u32_e32 v9, v11, v6
	v_sub_co_ci_u32_e64 v5, null, v11, v6, vcc_lo
	v_subrev_co_ci_u32_e64 v6, null, s1, v9, vcc_lo
	v_cmp_le_u32_e32 vcc_lo, s0, v2
	v_cndmask_b32_e64 v9, 0, -1, vcc_lo
	v_sub_co_u32 v2, vcc_lo, v2, s0
	v_subrev_co_ci_u32_e64 v6, null, 0, v6, vcc_lo
	v_cmp_le_u32_e32 vcc_lo, s1, v5
	v_cmp_le_u32_e64 s0, s0, v2
	v_cndmask_b32_e64 v10, 0, -1, vcc_lo
	v_cndmask_b32_e64 v2, 0, -1, s0
	v_cmp_le_u32_e64 s0, s1, v6
	v_cmp_eq_u32_e32 vcc_lo, s1, v5
	v_cndmask_b32_e64 v5, 0, -1, s0
	v_add_co_u32 v11, s0, v7, 2
	v_add_co_ci_u32_e64 v12, null, 0, v8, s0
	v_cmp_eq_u32_e64 s0, s1, v6
	v_cndmask_b32_e32 v9, v10, v9, vcc_lo
	v_cndmask_b32_e64 v2, v5, v2, s0
	v_add_co_u32 v5, s0, v7, 1
	v_add_co_ci_u32_e64 v6, null, 0, v8, s0
	v_cmp_ne_u32_e32 vcc_lo, 0, v2
	v_cmp_ne_u32_e64 s0, 0, v9
	v_cndmask_b32_e32 v5, v5, v11, vcc_lo
	v_cndmask_b32_e32 v2, v6, v12, vcc_lo
	v_xor_b32_e32 v6, s2, v45
	v_cndmask_b32_e64 v5, v7, v5, s0
	v_cndmask_b32_e64 v2, v8, v2, s0
	v_xor_b32_e32 v5, v5, v6
	v_xor_b32_e32 v2, v2, v6
	v_sub_co_u32 v15, vcc_lo, v5, v6
	v_sub_co_ci_u32_e64 v16, null, v2, v6, vcc_lo
.LBB3_7:                                ;   in Loop: Header=BB3_5 Depth=1
	s_andn2_saveexec_b32 s0, s96
	s_cbranch_execz .LBB3_9
; %bb.8:                                ;   in Loop: Header=BB3_5 Depth=1
	s_sub_i32 s1, 0, s8
	v_mov_b32_e32 v16, v1
	v_mul_lo_u32 v2, s1, v0
	v_mul_hi_u32 v2, v0, v2
	v_add_nc_u32_e32 v2, v0, v2
	v_mul_hi_u32 v2, v3, v2
	v_mul_lo_u32 v5, v2, s8
	v_add_nc_u32_e32 v6, 1, v2
	v_sub_nc_u32_e32 v5, v3, v5
	v_subrev_nc_u32_e32 v7, s8, v5
	v_cmp_le_u32_e32 vcc_lo, s8, v5
	v_cndmask_b32_e32 v5, v5, v7, vcc_lo
	v_cndmask_b32_e32 v2, v2, v6, vcc_lo
	v_cmp_le_u32_e32 vcc_lo, s8, v5
	v_add_nc_u32_e32 v6, 1, v2
	v_cndmask_b32_e32 v15, v2, v6, vcc_lo
.LBB3_9:                                ;   in Loop: Header=BB3_5 Depth=1
	s_or_b32 exec_lo, exec_lo, s0
	v_readlane_b32 s0, v69, 6
	v_mul_lo_u32 v2, s0, v15
	s_mul_i32 s0, s8, 3
	v_mul_lo_u32 v7, s0, v16
	v_mad_u64_u32 v[5:6], null, s0, v15, 0
	s_mov_b32 s0, exec_lo
	v_add3_u32 v6, v6, v7, v2
	v_add_co_u32 v36, vcc_lo, v3, v5
                                        ; implicit-def: $vgpr7_vgpr8
	v_add_co_ci_u32_e64 v34, null, v4, v6, vcc_lo
	v_or_b32_e32 v2, s39, v34
	v_ashrrev_i32_e32 v33, 31, v34
	v_cmpx_ne_u64_e32 0, v[1:2]
	s_xor_b32 s96, exec_lo, s0
	s_cbranch_execz .LBB3_11
; %bb.10:                               ;   in Loop: Header=BB3_5 Depth=1
	s_ashr_i32 s2, s39, 31
	v_add_co_u32 v8, vcc_lo, v36, v33
	s_add_u32 s0, s38, s2
	s_mov_b32 s3, s2
	s_addc_u32 s1, s39, s2
	v_add_co_ci_u32_e64 v9, null, v34, v33, vcc_lo
	s_xor_b64 s[0:1], s[0:1], s[2:3]
	v_cvt_f32_u32_e32 v2, s0
	v_cvt_f32_u32_e32 v7, s1
	s_sub_u32 s49, 0, s0
	s_subb_u32 s54, 0, s1
	v_xor_b32_e32 v13, v9, v33
	v_fmac_f32_e32 v2, 0x4f800000, v7
	v_rcp_f32_e32 v2, v2
	v_mul_f32_e32 v2, 0x5f7ffffc, v2
	v_mul_f32_e32 v7, 0x2f800000, v2
	v_trunc_f32_e32 v7, v7
	v_fmac_f32_e32 v2, 0xcf800000, v7
	v_cvt_u32_f32_e32 v7, v7
	v_cvt_u32_f32_e32 v2, v2
	v_readfirstlane_b32 s3, v7
	v_readfirstlane_b32 s48, v2
	s_mul_i32 s55, s49, s3
	v_xor_b32_e32 v2, v8, v33
	s_mul_hi_u32 s69, s49, s48
	s_mul_i32 s68, s54, s48
	s_add_i32 s55, s69, s55
	s_mul_i32 s91, s49, s48
	s_add_i32 s55, s55, s68
	s_mul_hi_u32 s69, s48, s91
	s_mul_i32 s99, s48, s55
	s_mul_hi_u32 s93, s3, s91
	s_mul_i32 s68, s3, s91
	s_mul_hi_u32 s91, s48, s55
	s_add_u32 s69, s69, s99
	s_addc_u32 s91, 0, s91
	s_mul_hi_u32 s104, s3, s55
	s_add_u32 s68, s69, s68
	s_mul_i32 s55, s3, s55
	s_addc_u32 s68, s91, s93
	s_addc_u32 s69, s104, 0
	s_add_u32 s55, s68, s55
	s_addc_u32 s68, 0, s69
	s_add_u32 s48, s48, s55
	s_cselect_b32 s55, -1, 0
	s_mul_hi_u32 s69, s49, s48
	s_cmp_lg_u32 s55, 0
	s_mul_i32 s55, s49, s48
	s_addc_u32 s3, s3, s68
	s_mul_i32 s54, s54, s48
	s_mul_i32 s49, s49, s3
	s_mul_hi_u32 s68, s48, s55
	s_add_i32 s49, s69, s49
	s_mul_hi_u32 s69, s3, s55
	s_add_i32 s49, s49, s54
	s_mul_i32 s54, s3, s55
	s_mul_i32 s93, s48, s49
	s_mul_hi_u32 s91, s48, s49
	s_add_u32 s68, s68, s93
	s_addc_u32 s91, 0, s91
	s_mul_hi_u32 s55, s3, s49
	s_add_u32 s54, s68, s54
	s_mul_i32 s49, s3, s49
	s_addc_u32 s54, s91, s69
	s_addc_u32 s55, s55, 0
	s_add_u32 s49, s54, s49
	s_addc_u32 s54, 0, s55
	s_add_u32 s48, s48, s49
	s_cselect_b32 s49, -1, 0
	v_mul_hi_u32 v14, v2, s48
	s_cmp_lg_u32 s49, 0
	v_mad_u64_u32 v[9:10], null, v13, s48, 0
	s_addc_u32 s3, s3, s54
	v_mad_u64_u32 v[7:8], null, v2, s3, 0
	v_mad_u64_u32 v[11:12], null, v13, s3, 0
	v_add_co_u32 v7, vcc_lo, v14, v7
	v_add_co_ci_u32_e64 v8, null, 0, v8, vcc_lo
	v_add_co_u32 v7, vcc_lo, v7, v9
	v_add_co_ci_u32_e32 v7, vcc_lo, v8, v10, vcc_lo
	v_add_co_ci_u32_e32 v8, vcc_lo, 0, v12, vcc_lo
	v_add_co_u32 v9, vcc_lo, v7, v11
	v_add_co_ci_u32_e64 v10, null, 0, v8, vcc_lo
	v_mul_lo_u32 v11, s1, v9
	v_mad_u64_u32 v[7:8], null, s0, v9, 0
	v_mul_lo_u32 v12, s0, v10
	v_sub_co_u32 v2, vcc_lo, v2, v7
	v_add3_u32 v8, v8, v12, v11
	v_sub_nc_u32_e32 v11, v13, v8
	v_sub_co_ci_u32_e64 v7, null, v13, v8, vcc_lo
	v_subrev_co_ci_u32_e64 v8, null, s1, v11, vcc_lo
	v_cmp_le_u32_e32 vcc_lo, s0, v2
	v_cndmask_b32_e64 v11, 0, -1, vcc_lo
	v_sub_co_u32 v2, vcc_lo, v2, s0
	v_subrev_co_ci_u32_e64 v8, null, 0, v8, vcc_lo
	v_cmp_le_u32_e32 vcc_lo, s1, v7
	v_cmp_le_u32_e64 s0, s0, v2
	v_cndmask_b32_e64 v12, 0, -1, vcc_lo
	v_cndmask_b32_e64 v2, 0, -1, s0
	v_cmp_le_u32_e64 s0, s1, v8
	v_cmp_eq_u32_e32 vcc_lo, s1, v7
	v_cndmask_b32_e64 v7, 0, -1, s0
	v_add_co_u32 v13, s0, v9, 2
	v_add_co_ci_u32_e64 v14, null, 0, v10, s0
	v_cmp_eq_u32_e64 s0, s1, v8
	v_cndmask_b32_e32 v11, v12, v11, vcc_lo
	v_cndmask_b32_e64 v2, v7, v2, s0
	v_add_co_u32 v7, s0, v9, 1
	v_add_co_ci_u32_e64 v8, null, 0, v10, s0
	v_cmp_ne_u32_e32 vcc_lo, 0, v2
	v_cmp_ne_u32_e64 s0, 0, v11
	v_cndmask_b32_e32 v7, v7, v13, vcc_lo
	v_cndmask_b32_e32 v2, v8, v14, vcc_lo
	v_xor_b32_e32 v8, s2, v33
	v_cndmask_b32_e64 v7, v9, v7, s0
	v_cndmask_b32_e64 v2, v10, v2, s0
	v_xor_b32_e32 v7, v7, v8
	v_xor_b32_e32 v2, v2, v8
	v_sub_co_u32 v7, vcc_lo, v7, v8
	v_sub_co_ci_u32_e64 v8, null, v2, v8, vcc_lo
.LBB3_11:                               ;   in Loop: Header=BB3_5 Depth=1
	s_or_saveexec_b32 s0, s96
	v_cvt_f32_u32_e32 v23, s38
	s_xor_b32 exec_lo, exec_lo, s0
	s_cbranch_execz .LBB3_13
; %bb.12:                               ;   in Loop: Header=BB3_5 Depth=1
	v_rcp_iflag_f32_e32 v2, v23
	s_sub_i32 s1, 0, s38
	v_mul_f32_e32 v2, 0x4f7ffffe, v2
	v_cvt_u32_f32_e32 v2, v2
	v_mul_lo_u32 v7, s1, v2
	v_mul_hi_u32 v7, v2, v7
	v_add_nc_u32_e32 v2, v2, v7
	v_mul_hi_u32 v2, v36, v2
	v_mul_lo_u32 v7, v2, s38
	v_add_nc_u32_e32 v8, 1, v2
	v_sub_nc_u32_e32 v7, v36, v7
	v_subrev_nc_u32_e32 v9, s38, v7
	v_cmp_le_u32_e32 vcc_lo, s38, v7
	v_cndmask_b32_e32 v7, v7, v9, vcc_lo
	v_cndmask_b32_e32 v2, v2, v8, vcc_lo
	v_cmp_le_u32_e32 vcc_lo, s38, v7
	v_add_nc_u32_e32 v8, 1, v2
	v_cndmask_b32_e32 v7, v2, v8, vcc_lo
	v_mov_b32_e32 v8, v1
.LBB3_13:                               ;   in Loop: Header=BB3_5 Depth=1
	s_or_b32 exec_lo, exec_lo, s0
	v_mul_lo_u32 v2, v8, s12
	v_mul_lo_u32 v11, v7, s13
	v_mad_u64_u32 v[9:10], null, v7, s12, 0
	s_mov_b32 s0, exec_lo
	v_add3_u32 v10, v10, v11, v2
	v_mul_lo_u32 v2, v8, s38
	v_mul_lo_u32 v11, v7, s39
	v_mad_u64_u32 v[7:8], null, v7, s38, 0
	v_lshlrev_b64 v[9:10], 3, v[9:10]
	v_add3_u32 v2, v8, v11, v2
	v_sub_co_u32 v7, vcc_lo, v5, v7
	v_sub_co_ci_u32_e64 v2, null, v6, v2, vcc_lo
	v_add_co_u32 v7, vcc_lo, v3, v7
	v_add_co_ci_u32_e64 v2, null, v4, v2, vcc_lo
	v_mul_lo_u32 v11, v7, s15
	v_mad_u64_u32 v[7:8], null, v7, s14, 0
	v_mul_lo_u32 v2, v2, s14
	v_add3_u32 v8, v8, v11, v2
	v_mad_u64_u32 v[11:12], null, v15, 3, 0
	v_add_co_u32 v2, vcc_lo, s36, v9
	v_lshlrev_b64 v[7:8], 3, v[7:8]
	v_add_co_ci_u32_e64 v10, null, s37, v10, vcc_lo
	v_add_co_u32 v9, vcc_lo, v2, v7
	v_mov_b32_e32 v2, v12
	v_add_co_ci_u32_e64 v10, null, v10, v8, vcc_lo
	v_mad_u64_u32 v[7:8], null, s8, v11, s[8:9]
	v_mad_u64_u32 v[12:13], null, v16, 3, v[2:3]
	v_mul_lo_u32 v2, s9, v11
	v_add_co_u32 v40, vcc_lo, v3, v7
	v_mul_lo_u32 v13, s8, v12
	v_add3_u32 v8, v2, v8, v13
	global_load_dwordx2 v[13:14], v[9:10], off
                                        ; implicit-def: $vgpr9_vgpr10
	v_add_co_ci_u32_e64 v38, null, v4, v8, vcc_lo
	v_or_b32_e32 v2, s39, v38
	v_ashrrev_i32_e32 v35, 31, v38
	v_cmpx_ne_u64_e32 0, v[1:2]
	s_xor_b32 s96, exec_lo, s0
	s_cbranch_execz .LBB3_15
; %bb.14:                               ;   in Loop: Header=BB3_5 Depth=1
	s_ashr_i32 s2, s39, 31
	v_add_co_u32 v10, vcc_lo, v40, v35
	s_add_u32 s0, s38, s2
	s_mov_b32 s3, s2
	s_addc_u32 s1, s39, s2
	v_add_co_ci_u32_e64 v17, null, v38, v35, vcc_lo
	s_xor_b64 s[0:1], s[0:1], s[2:3]
	v_cvt_f32_u32_e32 v2, s0
	v_cvt_f32_u32_e32 v9, s1
	s_sub_u32 s49, 0, s0
	s_subb_u32 s54, 0, s1
	v_xor_b32_e32 v21, v17, v35
	v_fmac_f32_e32 v2, 0x4f800000, v9
	v_rcp_f32_e32 v2, v2
	v_mul_f32_e32 v2, 0x5f7ffffc, v2
	v_mul_f32_e32 v9, 0x2f800000, v2
	v_trunc_f32_e32 v9, v9
	v_fmac_f32_e32 v2, 0xcf800000, v9
	v_cvt_u32_f32_e32 v9, v9
	v_cvt_u32_f32_e32 v2, v2
	v_readfirstlane_b32 s3, v9
	v_readfirstlane_b32 s48, v2
	s_mul_i32 s55, s49, s3
	v_xor_b32_e32 v2, v10, v35
	s_mul_hi_u32 s69, s49, s48
	s_mul_i32 s68, s54, s48
	s_add_i32 s55, s69, s55
	s_mul_i32 s91, s49, s48
	s_add_i32 s55, s55, s68
	s_mul_hi_u32 s69, s48, s91
	s_mul_i32 s99, s48, s55
	s_mul_hi_u32 s93, s3, s91
	s_mul_i32 s68, s3, s91
	s_mul_hi_u32 s91, s48, s55
	s_add_u32 s69, s69, s99
	s_addc_u32 s91, 0, s91
	s_mul_hi_u32 s104, s3, s55
	s_add_u32 s68, s69, s68
	s_mul_i32 s55, s3, s55
	s_addc_u32 s68, s91, s93
	s_addc_u32 s69, s104, 0
	s_add_u32 s55, s68, s55
	s_addc_u32 s68, 0, s69
	s_add_u32 s48, s48, s55
	s_cselect_b32 s55, -1, 0
	s_mul_hi_u32 s69, s49, s48
	s_cmp_lg_u32 s55, 0
	s_mul_i32 s55, s49, s48
	s_addc_u32 s3, s3, s68
	s_mul_i32 s54, s54, s48
	s_mul_i32 s49, s49, s3
	s_mul_hi_u32 s68, s48, s55
	s_add_i32 s49, s69, s49
	s_mul_hi_u32 s69, s3, s55
	s_add_i32 s49, s49, s54
	s_mul_i32 s54, s3, s55
	s_mul_i32 s93, s48, s49
	s_mul_hi_u32 s91, s48, s49
	s_add_u32 s68, s68, s93
	s_addc_u32 s91, 0, s91
	s_mul_hi_u32 s55, s3, s49
	s_add_u32 s54, s68, s54
	s_mul_i32 s49, s3, s49
	s_addc_u32 s54, s91, s69
	s_addc_u32 s55, s55, 0
	s_add_u32 s49, s54, s49
	s_addc_u32 s54, 0, s55
	s_add_u32 s48, s48, s49
	s_cselect_b32 s49, -1, 0
	v_mul_hi_u32 v22, v2, s48
	s_cmp_lg_u32 s49, 0
	v_mad_u64_u32 v[17:18], null, v21, s48, 0
	s_addc_u32 s3, s3, s54
	v_mad_u64_u32 v[9:10], null, v2, s3, 0
	v_mad_u64_u32 v[19:20], null, v21, s3, 0
	v_add_co_u32 v9, vcc_lo, v22, v9
	v_add_co_ci_u32_e64 v10, null, 0, v10, vcc_lo
	v_add_co_u32 v9, vcc_lo, v9, v17
	v_add_co_ci_u32_e32 v9, vcc_lo, v10, v18, vcc_lo
	v_add_co_ci_u32_e32 v10, vcc_lo, 0, v20, vcc_lo
	v_add_co_u32 v17, vcc_lo, v9, v19
	v_add_co_ci_u32_e64 v18, null, 0, v10, vcc_lo
	v_mul_lo_u32 v19, s1, v17
	v_mad_u64_u32 v[9:10], null, s0, v17, 0
	v_mul_lo_u32 v20, s0, v18
	v_sub_co_u32 v2, vcc_lo, v2, v9
	v_add3_u32 v10, v10, v20, v19
	v_sub_nc_u32_e32 v19, v21, v10
	v_sub_co_ci_u32_e64 v9, null, v21, v10, vcc_lo
	v_subrev_co_ci_u32_e64 v10, null, s1, v19, vcc_lo
	v_cmp_le_u32_e32 vcc_lo, s0, v2
	v_cndmask_b32_e64 v19, 0, -1, vcc_lo
	v_sub_co_u32 v2, vcc_lo, v2, s0
	v_subrev_co_ci_u32_e64 v10, null, 0, v10, vcc_lo
	v_cmp_le_u32_e32 vcc_lo, s1, v9
	v_cmp_le_u32_e64 s0, s0, v2
	v_cndmask_b32_e64 v20, 0, -1, vcc_lo
	v_cndmask_b32_e64 v2, 0, -1, s0
	v_cmp_le_u32_e64 s0, s1, v10
	v_cmp_eq_u32_e32 vcc_lo, s1, v9
	v_cndmask_b32_e64 v9, 0, -1, s0
	v_add_co_u32 v21, s0, v17, 2
	v_add_co_ci_u32_e64 v22, null, 0, v18, s0
	v_cmp_eq_u32_e64 s0, s1, v10
	v_cndmask_b32_e32 v19, v20, v19, vcc_lo
	v_cndmask_b32_e64 v2, v9, v2, s0
	v_add_co_u32 v9, s0, v17, 1
	v_add_co_ci_u32_e64 v10, null, 0, v18, s0
	v_cmp_ne_u32_e32 vcc_lo, 0, v2
	v_cmp_ne_u32_e64 s0, 0, v19
	v_cndmask_b32_e32 v9, v9, v21, vcc_lo
	v_cndmask_b32_e32 v2, v10, v22, vcc_lo
	v_xor_b32_e32 v10, s2, v35
	v_cndmask_b32_e64 v9, v17, v9, s0
	v_cndmask_b32_e64 v2, v18, v2, s0
	v_xor_b32_e32 v9, v9, v10
	v_xor_b32_e32 v2, v2, v10
	v_sub_co_u32 v9, vcc_lo, v9, v10
	v_sub_co_ci_u32_e64 v10, null, v2, v10, vcc_lo
.LBB3_15:                               ;   in Loop: Header=BB3_5 Depth=1
	s_andn2_saveexec_b32 s0, s96
	s_cbranch_execz .LBB3_17
; %bb.16:                               ;   in Loop: Header=BB3_5 Depth=1
	v_rcp_iflag_f32_e32 v2, v23
	s_sub_i32 s1, 0, s38
	v_mul_f32_e32 v2, 0x4f7ffffe, v2
	v_cvt_u32_f32_e32 v2, v2
	v_mul_lo_u32 v9, s1, v2
	v_mul_hi_u32 v9, v2, v9
	v_add_nc_u32_e32 v2, v2, v9
	v_mul_hi_u32 v2, v40, v2
	v_mul_lo_u32 v9, v2, s38
	v_add_nc_u32_e32 v10, 1, v2
	v_sub_nc_u32_e32 v9, v40, v9
	v_subrev_nc_u32_e32 v17, s38, v9
	v_cmp_le_u32_e32 vcc_lo, s38, v9
	v_cndmask_b32_e32 v9, v9, v17, vcc_lo
	v_cndmask_b32_e32 v2, v2, v10, vcc_lo
	v_cmp_le_u32_e32 vcc_lo, s38, v9
	v_add_nc_u32_e32 v10, 1, v2
	v_cndmask_b32_e32 v9, v2, v10, vcc_lo
	v_mov_b32_e32 v10, v1
.LBB3_17:                               ;   in Loop: Header=BB3_5 Depth=1
	s_or_b32 exec_lo, exec_lo, s0
	v_mul_lo_u32 v2, v10, s12
	v_mul_lo_u32 v19, v9, s13
	v_mad_u64_u32 v[17:18], null, v9, s12, 0
	s_mov_b32 s0, exec_lo
	v_add3_u32 v18, v18, v19, v2
	v_mul_lo_u32 v2, v10, s38
	v_mul_lo_u32 v19, v9, s39
	v_mad_u64_u32 v[9:10], null, v9, s38, 0
	v_lshlrev_b64 v[17:18], 3, v[17:18]
	v_add3_u32 v2, v10, v19, v2
	v_sub_co_u32 v9, vcc_lo, v7, v9
	v_sub_co_ci_u32_e64 v2, null, v8, v2, vcc_lo
	v_add_co_u32 v9, vcc_lo, v3, v9
	v_add_co_ci_u32_e64 v2, null, v4, v2, vcc_lo
	v_mul_lo_u32 v19, v9, s15
	v_mad_u64_u32 v[9:10], null, v9, s14, 0
	v_mul_lo_u32 v2, v2, s14
	v_add3_u32 v10, v10, v19, v2
	v_add_co_u32 v2, vcc_lo, s36, v17
	v_add_co_ci_u32_e64 v18, null, s37, v18, vcc_lo
	v_lshlrev_b64 v[9:10], 3, v[9:10]
	v_add_co_u32 v17, vcc_lo, v2, v9
	v_add_co_ci_u32_e64 v18, null, v18, v10, vcc_lo
	v_add_co_u32 v2, vcc_lo, v11, 2
	v_add_co_ci_u32_e64 v9, null, 0, v12, vcc_lo
	global_load_dwordx2 v[17:18], v[17:18], off
	v_mul_lo_u32 v20, s9, v2
	v_mul_lo_u32 v19, s8, v9
	v_mad_u64_u32 v[9:10], null, s8, v2, 0
	v_add3_u32 v10, v10, v19, v20
	v_add_co_u32 v42, vcc_lo, v3, v9
                                        ; implicit-def: $vgpr19_vgpr20
	v_add_co_ci_u32_e64 v41, null, v4, v10, vcc_lo
	v_or_b32_e32 v2, s39, v41
	v_ashrrev_i32_e32 v37, 31, v41
	v_cmpx_ne_u64_e32 0, v[1:2]
	s_xor_b32 s96, exec_lo, s0
	s_cbranch_execz .LBB3_19
; %bb.18:                               ;   in Loop: Header=BB3_5 Depth=1
	s_ashr_i32 s2, s39, 31
	v_add_co_u32 v20, vcc_lo, v42, v37
	s_add_u32 s0, s38, s2
	s_mov_b32 s3, s2
	s_addc_u32 s1, s39, s2
	v_add_co_ci_u32_e64 v21, null, v41, v37, vcc_lo
	s_xor_b64 s[0:1], s[0:1], s[2:3]
	v_cvt_f32_u32_e32 v2, s0
	v_cvt_f32_u32_e32 v19, s1
	s_sub_u32 s49, 0, s0
	s_subb_u32 s54, 0, s1
	v_xor_b32_e32 v26, v21, v37
	v_fmac_f32_e32 v2, 0x4f800000, v19
	v_rcp_f32_e32 v2, v2
	v_mul_f32_e32 v2, 0x5f7ffffc, v2
	v_mul_f32_e32 v19, 0x2f800000, v2
	v_trunc_f32_e32 v19, v19
	v_fmac_f32_e32 v2, 0xcf800000, v19
	v_cvt_u32_f32_e32 v19, v19
	v_cvt_u32_f32_e32 v2, v2
	v_readfirstlane_b32 s3, v19
	v_readfirstlane_b32 s48, v2
	s_mul_i32 s55, s49, s3
	v_xor_b32_e32 v2, v20, v37
	s_mul_hi_u32 s69, s49, s48
	s_mul_i32 s68, s54, s48
	s_add_i32 s55, s69, s55
	s_mul_i32 s91, s49, s48
	s_add_i32 s55, s55, s68
	s_mul_hi_u32 s69, s48, s91
	s_mul_i32 s99, s48, s55
	s_mul_hi_u32 s93, s3, s91
	s_mul_i32 s68, s3, s91
	s_mul_hi_u32 s91, s48, s55
	s_add_u32 s69, s69, s99
	s_addc_u32 s91, 0, s91
	s_mul_hi_u32 s104, s3, s55
	s_add_u32 s68, s69, s68
	s_mul_i32 s55, s3, s55
	s_addc_u32 s68, s91, s93
	s_addc_u32 s69, s104, 0
	s_add_u32 s55, s68, s55
	s_addc_u32 s68, 0, s69
	s_add_u32 s48, s48, s55
	s_cselect_b32 s55, -1, 0
	s_mul_hi_u32 s69, s49, s48
	s_cmp_lg_u32 s55, 0
	s_mul_i32 s55, s49, s48
	s_addc_u32 s3, s3, s68
	s_mul_i32 s54, s54, s48
	s_mul_i32 s49, s49, s3
	s_mul_hi_u32 s68, s48, s55
	s_add_i32 s49, s69, s49
	s_mul_hi_u32 s69, s3, s55
	s_add_i32 s49, s49, s54
	s_mul_i32 s54, s3, s55
	s_mul_i32 s93, s48, s49
	s_mul_hi_u32 s91, s48, s49
	s_add_u32 s68, s68, s93
	s_addc_u32 s91, 0, s91
	s_mul_hi_u32 s55, s3, s49
	s_add_u32 s54, s68, s54
	s_mul_i32 s49, s3, s49
	s_addc_u32 s54, s91, s69
	s_addc_u32 s55, s55, 0
	s_add_u32 s49, s54, s49
	s_addc_u32 s54, 0, s55
	s_add_u32 s48, s48, s49
	s_cselect_b32 s49, -1, 0
	v_mul_hi_u32 v27, v2, s48
	s_cmp_lg_u32 s49, 0
	v_mad_u64_u32 v[21:22], null, v26, s48, 0
	s_addc_u32 s3, s3, s54
	v_mad_u64_u32 v[19:20], null, v2, s3, 0
	v_mad_u64_u32 v[24:25], null, v26, s3, 0
	v_add_co_u32 v19, vcc_lo, v27, v19
	v_add_co_ci_u32_e64 v20, null, 0, v20, vcc_lo
	v_add_co_u32 v19, vcc_lo, v19, v21
	v_add_co_ci_u32_e32 v19, vcc_lo, v20, v22, vcc_lo
	v_add_co_ci_u32_e32 v20, vcc_lo, 0, v25, vcc_lo
	v_add_co_u32 v21, vcc_lo, v19, v24
	v_add_co_ci_u32_e64 v22, null, 0, v20, vcc_lo
	v_mul_lo_u32 v24, s1, v21
	v_mad_u64_u32 v[19:20], null, s0, v21, 0
	v_mul_lo_u32 v25, s0, v22
	v_sub_co_u32 v2, vcc_lo, v2, v19
	v_add3_u32 v20, v20, v25, v24
	v_sub_nc_u32_e32 v24, v26, v20
	v_sub_co_ci_u32_e64 v19, null, v26, v20, vcc_lo
	v_subrev_co_ci_u32_e64 v20, null, s1, v24, vcc_lo
	v_cmp_le_u32_e32 vcc_lo, s0, v2
	v_cndmask_b32_e64 v24, 0, -1, vcc_lo
	v_sub_co_u32 v2, vcc_lo, v2, s0
	v_subrev_co_ci_u32_e64 v20, null, 0, v20, vcc_lo
	v_cmp_le_u32_e32 vcc_lo, s1, v19
	v_cmp_le_u32_e64 s0, s0, v2
	v_cndmask_b32_e64 v25, 0, -1, vcc_lo
	v_cndmask_b32_e64 v2, 0, -1, s0
	v_cmp_le_u32_e64 s0, s1, v20
	v_cmp_eq_u32_e32 vcc_lo, s1, v19
	v_cndmask_b32_e64 v19, 0, -1, s0
	v_add_co_u32 v26, s0, v21, 2
	v_add_co_ci_u32_e64 v27, null, 0, v22, s0
	v_cmp_eq_u32_e64 s0, s1, v20
	v_cndmask_b32_e32 v24, v25, v24, vcc_lo
	v_cndmask_b32_e64 v2, v19, v2, s0
	v_add_co_u32 v19, s0, v21, 1
	v_add_co_ci_u32_e64 v20, null, 0, v22, s0
	v_cmp_ne_u32_e32 vcc_lo, 0, v2
	v_cmp_ne_u32_e64 s0, 0, v24
	v_cndmask_b32_e32 v19, v19, v26, vcc_lo
	v_cndmask_b32_e32 v2, v20, v27, vcc_lo
	v_xor_b32_e32 v20, s2, v37
	v_cndmask_b32_e64 v19, v21, v19, s0
	v_cndmask_b32_e64 v2, v22, v2, s0
	v_xor_b32_e32 v19, v19, v20
	v_xor_b32_e32 v2, v2, v20
	v_sub_co_u32 v19, vcc_lo, v19, v20
	v_sub_co_ci_u32_e64 v20, null, v2, v20, vcc_lo
.LBB3_19:                               ;   in Loop: Header=BB3_5 Depth=1
	s_andn2_saveexec_b32 s0, s96
	s_cbranch_execz .LBB3_21
; %bb.20:                               ;   in Loop: Header=BB3_5 Depth=1
	v_rcp_iflag_f32_e32 v2, v23
	s_sub_i32 s1, 0, s38
	v_mul_f32_e32 v2, 0x4f7ffffe, v2
	v_cvt_u32_f32_e32 v2, v2
	v_mul_lo_u32 v19, s1, v2
	v_mul_hi_u32 v19, v2, v19
	v_add_nc_u32_e32 v2, v2, v19
	v_mul_hi_u32 v2, v42, v2
	v_mul_lo_u32 v19, v2, s38
	v_add_nc_u32_e32 v20, 1, v2
	v_sub_nc_u32_e32 v19, v42, v19
	v_subrev_nc_u32_e32 v21, s38, v19
	v_cmp_le_u32_e32 vcc_lo, s38, v19
	v_cndmask_b32_e32 v19, v19, v21, vcc_lo
	v_cndmask_b32_e32 v2, v2, v20, vcc_lo
	v_cmp_le_u32_e32 vcc_lo, s38, v19
	v_add_nc_u32_e32 v20, 1, v2
	v_cndmask_b32_e32 v19, v2, v20, vcc_lo
	v_mov_b32_e32 v20, v1
.LBB3_21:                               ;   in Loop: Header=BB3_5 Depth=1
	s_or_b32 exec_lo, exec_lo, s0
	v_mul_lo_u32 v2, v20, s12
	v_mul_lo_u32 v24, v19, s13
	v_mad_u64_u32 v[21:22], null, v19, s12, 0
	s_mov_b32 s0, exec_lo
	v_add3_u32 v22, v22, v24, v2
	v_mul_lo_u32 v2, v20, s38
	v_mul_lo_u32 v24, v19, s39
	v_mad_u64_u32 v[19:20], null, v19, s38, 0
	v_lshlrev_b64 v[21:22], 3, v[21:22]
	v_add3_u32 v2, v20, v24, v2
	v_sub_co_u32 v19, vcc_lo, v9, v19
	v_sub_co_ci_u32_e64 v2, null, v10, v2, vcc_lo
	v_add_co_u32 v19, vcc_lo, v3, v19
	v_add_co_ci_u32_e64 v2, null, v4, v2, vcc_lo
	v_mul_lo_u32 v24, v19, s15
	v_mad_u64_u32 v[19:20], null, v19, s14, 0
	v_mul_lo_u32 v2, v2, s14
	v_add3_u32 v20, v20, v24, v2
	v_add_co_u32 v2, vcc_lo, s36, v21
	v_add_co_ci_u32_e64 v21, null, s37, v22, vcc_lo
	v_lshlrev_b64 v[19:20], 3, v[19:20]
	v_add_co_u32 v19, vcc_lo, v2, v19
	v_add_co_ci_u32_e64 v20, null, v21, v20, vcc_lo
	v_add_co_u32 v2, vcc_lo, v11, 3
	v_add_co_ci_u32_e64 v11, null, 0, v12, vcc_lo
	global_load_dwordx2 v[21:22], v[19:20], off
	v_mul_lo_u32 v20, s9, v2
	v_mul_lo_u32 v19, s8, v11
	v_mad_u64_u32 v[11:12], null, s8, v2, 0
	v_add3_u32 v12, v12, v19, v20
	v_add_co_u32 v44, vcc_lo, v3, v11
                                        ; implicit-def: $vgpr19_vgpr20
	v_add_co_ci_u32_e64 v43, null, v4, v12, vcc_lo
	v_or_b32_e32 v2, s39, v43
	v_ashrrev_i32_e32 v39, 31, v43
	v_cmpx_ne_u64_e32 0, v[1:2]
	s_xor_b32 s96, exec_lo, s0
	s_cbranch_execz .LBB3_23
; %bb.22:                               ;   in Loop: Header=BB3_5 Depth=1
	s_ashr_i32 s2, s39, 31
	v_add_co_u32 v20, vcc_lo, v44, v39
	s_add_u32 s0, s38, s2
	s_mov_b32 s3, s2
	s_addc_u32 s1, s39, s2
	v_add_co_ci_u32_e64 v23, null, v43, v39, vcc_lo
	s_xor_b64 s[0:1], s[0:1], s[2:3]
	v_cvt_f32_u32_e32 v2, s0
	v_cvt_f32_u32_e32 v19, s1
	s_sub_u32 s49, 0, s0
	s_subb_u32 s54, 0, s1
	v_xor_b32_e32 v27, v23, v39
	v_fmac_f32_e32 v2, 0x4f800000, v19
	v_rcp_f32_e32 v2, v2
	v_mul_f32_e32 v2, 0x5f7ffffc, v2
	v_mul_f32_e32 v19, 0x2f800000, v2
	v_trunc_f32_e32 v19, v19
	v_fmac_f32_e32 v2, 0xcf800000, v19
	v_cvt_u32_f32_e32 v19, v19
	v_cvt_u32_f32_e32 v2, v2
	v_readfirstlane_b32 s3, v19
	v_readfirstlane_b32 s48, v2
	s_mul_i32 s55, s49, s3
	v_xor_b32_e32 v2, v20, v39
	s_mul_hi_u32 s69, s49, s48
	s_mul_i32 s68, s54, s48
	s_add_i32 s55, s69, s55
	s_mul_i32 s91, s49, s48
	s_add_i32 s55, s55, s68
	s_mul_hi_u32 s69, s48, s91
	s_mul_i32 s99, s48, s55
	s_mul_hi_u32 s93, s3, s91
	s_mul_i32 s68, s3, s91
	s_mul_hi_u32 s91, s48, s55
	s_add_u32 s69, s69, s99
	s_addc_u32 s91, 0, s91
	s_mul_hi_u32 s104, s3, s55
	s_add_u32 s68, s69, s68
	s_mul_i32 s55, s3, s55
	s_addc_u32 s68, s91, s93
	s_addc_u32 s69, s104, 0
	s_add_u32 s55, s68, s55
	s_addc_u32 s68, 0, s69
	s_add_u32 s48, s48, s55
	s_cselect_b32 s55, -1, 0
	s_mul_hi_u32 s69, s49, s48
	s_cmp_lg_u32 s55, 0
	s_mul_i32 s55, s49, s48
	s_addc_u32 s3, s3, s68
	s_mul_i32 s54, s54, s48
	s_mul_i32 s49, s49, s3
	s_mul_hi_u32 s68, s48, s55
	s_add_i32 s49, s69, s49
	s_mul_hi_u32 s69, s3, s55
	s_add_i32 s49, s49, s54
	s_mul_i32 s54, s3, s55
	s_mul_i32 s93, s48, s49
	s_mul_hi_u32 s91, s48, s49
	s_add_u32 s68, s68, s93
	s_addc_u32 s91, 0, s91
	s_mul_hi_u32 s55, s3, s49
	s_add_u32 s54, s68, s54
	s_mul_i32 s49, s3, s49
	s_addc_u32 s54, s91, s69
	s_addc_u32 s55, s55, 0
	s_add_u32 s49, s54, s49
	s_addc_u32 s54, 0, s55
	s_add_u32 s48, s48, s49
	s_cselect_b32 s49, -1, 0
	v_mul_hi_u32 v28, v2, s48
	s_cmp_lg_u32 s49, 0
	v_mad_u64_u32 v[23:24], null, v27, s48, 0
	s_addc_u32 s3, s3, s54
	v_mad_u64_u32 v[19:20], null, v2, s3, 0
	v_mad_u64_u32 v[25:26], null, v27, s3, 0
	v_add_co_u32 v19, vcc_lo, v28, v19
	v_add_co_ci_u32_e64 v20, null, 0, v20, vcc_lo
	v_add_co_u32 v19, vcc_lo, v19, v23
	v_add_co_ci_u32_e32 v19, vcc_lo, v20, v24, vcc_lo
	v_add_co_ci_u32_e32 v20, vcc_lo, 0, v26, vcc_lo
	v_add_co_u32 v23, vcc_lo, v19, v25
	v_add_co_ci_u32_e64 v24, null, 0, v20, vcc_lo
	v_mul_lo_u32 v25, s1, v23
	v_mad_u64_u32 v[19:20], null, s0, v23, 0
	v_mul_lo_u32 v26, s0, v24
	v_sub_co_u32 v2, vcc_lo, v2, v19
	v_add3_u32 v20, v20, v26, v25
	v_sub_nc_u32_e32 v25, v27, v20
	v_sub_co_ci_u32_e64 v19, null, v27, v20, vcc_lo
	v_subrev_co_ci_u32_e64 v20, null, s1, v25, vcc_lo
	v_cmp_le_u32_e32 vcc_lo, s0, v2
	v_cndmask_b32_e64 v25, 0, -1, vcc_lo
	v_sub_co_u32 v2, vcc_lo, v2, s0
	v_subrev_co_ci_u32_e64 v20, null, 0, v20, vcc_lo
	v_cmp_le_u32_e32 vcc_lo, s1, v19
	v_cmp_le_u32_e64 s0, s0, v2
	v_cndmask_b32_e64 v26, 0, -1, vcc_lo
	v_cndmask_b32_e64 v2, 0, -1, s0
	v_cmp_le_u32_e64 s0, s1, v20
	v_cmp_eq_u32_e32 vcc_lo, s1, v19
	v_cndmask_b32_e64 v19, 0, -1, s0
	v_add_co_u32 v27, s0, v23, 2
	v_add_co_ci_u32_e64 v28, null, 0, v24, s0
	v_cmp_eq_u32_e64 s0, s1, v20
	v_cndmask_b32_e32 v25, v26, v25, vcc_lo
	v_cndmask_b32_e64 v2, v19, v2, s0
	v_add_co_u32 v19, s0, v23, 1
	v_add_co_ci_u32_e64 v20, null, 0, v24, s0
	v_cmp_ne_u32_e32 vcc_lo, 0, v2
	v_cmp_ne_u32_e64 s0, 0, v25
	v_cndmask_b32_e32 v19, v19, v27, vcc_lo
	v_cndmask_b32_e32 v2, v20, v28, vcc_lo
	v_xor_b32_e32 v20, s2, v39
	v_cndmask_b32_e64 v19, v23, v19, s0
	v_cndmask_b32_e64 v2, v24, v2, s0
                                        ; implicit-def: $vgpr23
	v_xor_b32_e32 v19, v19, v20
	v_xor_b32_e32 v2, v2, v20
	v_sub_co_u32 v19, vcc_lo, v19, v20
	v_sub_co_ci_u32_e64 v20, null, v2, v20, vcc_lo
.LBB3_23:                               ;   in Loop: Header=BB3_5 Depth=1
	s_andn2_saveexec_b32 s0, s96
	s_cbranch_execz .LBB3_25
; %bb.24:                               ;   in Loop: Header=BB3_5 Depth=1
	v_rcp_iflag_f32_e32 v2, v23
	s_sub_i32 s1, 0, s38
	v_mul_f32_e32 v2, 0x4f7ffffe, v2
	v_cvt_u32_f32_e32 v2, v2
	v_mul_lo_u32 v19, s1, v2
	v_mul_hi_u32 v19, v2, v19
	v_add_nc_u32_e32 v2, v2, v19
	v_mul_hi_u32 v2, v44, v2
	v_mul_lo_u32 v19, v2, s38
	v_add_nc_u32_e32 v20, 1, v2
	v_sub_nc_u32_e32 v19, v44, v19
	v_subrev_nc_u32_e32 v23, s38, v19
	v_cmp_le_u32_e32 vcc_lo, s38, v19
	v_cndmask_b32_e32 v19, v19, v23, vcc_lo
	v_cndmask_b32_e32 v2, v2, v20, vcc_lo
	v_cmp_le_u32_e32 vcc_lo, s38, v19
	v_add_nc_u32_e32 v20, 1, v2
	v_cndmask_b32_e32 v19, v2, v20, vcc_lo
	v_mov_b32_e32 v20, v1
.LBB3_25:                               ;   in Loop: Header=BB3_5 Depth=1
	s_or_b32 exec_lo, exec_lo, s0
	v_mul_lo_u32 v2, v20, s12
	v_mul_lo_u32 v25, v19, s13
	v_mad_u64_u32 v[23:24], null, v19, s12, 0
	s_mov_b32 s0, exec_lo
	v_add3_u32 v24, v24, v25, v2
	v_mul_lo_u32 v2, v20, s38
	v_mul_lo_u32 v25, v19, s39
	v_mad_u64_u32 v[19:20], null, v19, s38, 0
	v_lshlrev_b64 v[23:24], 3, v[23:24]
	v_add3_u32 v2, v20, v25, v2
	v_sub_co_u32 v19, vcc_lo, v11, v19
	v_sub_co_ci_u32_e64 v2, null, v12, v2, vcc_lo
	v_add_co_u32 v19, vcc_lo, v3, v19
	v_add_co_ci_u32_e64 v2, null, v4, v2, vcc_lo
	v_mul_lo_u32 v25, v19, s15
	v_mad_u64_u32 v[19:20], null, v19, s14, 0
	v_mul_lo_u32 v2, v2, s14
	v_add3_u32 v20, v20, v25, v2
	v_add_co_u32 v2, vcc_lo, s36, v23
	v_add_co_ci_u32_e64 v23, null, s37, v24, vcc_lo
	v_lshlrev_b64 v[19:20], 3, v[19:20]
	v_add_co_u32 v19, vcc_lo, v2, v19
	v_add_co_ci_u32_e64 v20, null, v23, v20, vcc_lo
	s_waitcnt lgkmcnt(0)
	v_or_b32_e32 v2, s95, v34
                                        ; implicit-def: $vgpr23_vgpr24
	global_load_dwordx2 v[19:20], v[19:20], off
	v_cmpx_ne_u64_e32 0, v[1:2]
	s_xor_b32 s96, exec_lo, s0
	s_cbranch_execz .LBB3_27
; %bb.26:                               ;   in Loop: Header=BB3_5 Depth=1
	s_ashr_i32 s2, s95, 31
	v_add_co_u32 v24, vcc_lo, v36, v33
	s_add_u32 s0, s94, s2
	s_mov_b32 s3, s2
	s_addc_u32 s1, s95, s2
	v_add_co_ci_u32_e64 v25, null, v34, v33, vcc_lo
	s_xor_b64 s[0:1], s[0:1], s[2:3]
	v_cvt_f32_u32_e32 v2, s0
	v_cvt_f32_u32_e32 v23, s1
	s_sub_u32 s49, 0, s0
	s_subb_u32 s54, 0, s1
	v_xor_b32_e32 v29, v25, v33
	v_fmac_f32_e32 v2, 0x4f800000, v23
	v_rcp_f32_e32 v2, v2
	v_mul_f32_e32 v2, 0x5f7ffffc, v2
	v_mul_f32_e32 v23, 0x2f800000, v2
	v_trunc_f32_e32 v23, v23
	v_fmac_f32_e32 v2, 0xcf800000, v23
	v_cvt_u32_f32_e32 v23, v23
	v_cvt_u32_f32_e32 v2, v2
	v_readfirstlane_b32 s3, v23
	v_readfirstlane_b32 s48, v2
	s_mul_i32 s55, s49, s3
	v_xor_b32_e32 v2, v24, v33
	s_mul_hi_u32 s69, s49, s48
	s_mul_i32 s68, s54, s48
	s_add_i32 s55, s69, s55
	s_mul_i32 s91, s49, s48
	s_add_i32 s55, s55, s68
	s_mul_hi_u32 s69, s48, s91
	s_mul_i32 s99, s48, s55
	s_mul_hi_u32 s93, s3, s91
	s_mul_i32 s68, s3, s91
	s_mul_hi_u32 s91, s48, s55
	s_add_u32 s69, s69, s99
	s_addc_u32 s91, 0, s91
	s_mul_hi_u32 s104, s3, s55
	s_add_u32 s68, s69, s68
	s_mul_i32 s55, s3, s55
	s_addc_u32 s68, s91, s93
	s_addc_u32 s69, s104, 0
	s_add_u32 s55, s68, s55
	s_addc_u32 s68, 0, s69
	s_add_u32 s48, s48, s55
	s_cselect_b32 s55, -1, 0
	s_mul_hi_u32 s69, s49, s48
	s_cmp_lg_u32 s55, 0
	s_mul_i32 s55, s49, s48
	s_addc_u32 s3, s3, s68
	s_mul_i32 s54, s54, s48
	s_mul_i32 s49, s49, s3
	s_mul_hi_u32 s68, s48, s55
	s_add_i32 s49, s69, s49
	s_mul_hi_u32 s69, s3, s55
	s_add_i32 s49, s49, s54
	s_mul_i32 s54, s3, s55
	s_mul_i32 s93, s48, s49
	s_mul_hi_u32 s91, s48, s49
	s_add_u32 s68, s68, s93
	s_addc_u32 s91, 0, s91
	s_mul_hi_u32 s55, s3, s49
	s_add_u32 s54, s68, s54
	s_mul_i32 s49, s3, s49
	s_addc_u32 s54, s91, s69
	s_addc_u32 s55, s55, 0
	s_add_u32 s49, s54, s49
	s_addc_u32 s54, 0, s55
	s_add_u32 s48, s48, s49
	s_cselect_b32 s49, -1, 0
	v_mul_hi_u32 v30, v2, s48
	s_cmp_lg_u32 s49, 0
	v_mad_u64_u32 v[25:26], null, v29, s48, 0
	s_addc_u32 s3, s3, s54
	v_mad_u64_u32 v[23:24], null, v2, s3, 0
	v_mad_u64_u32 v[27:28], null, v29, s3, 0
	v_add_co_u32 v23, vcc_lo, v30, v23
	v_add_co_ci_u32_e64 v24, null, 0, v24, vcc_lo
	v_add_co_u32 v23, vcc_lo, v23, v25
	v_add_co_ci_u32_e32 v23, vcc_lo, v24, v26, vcc_lo
	v_add_co_ci_u32_e32 v24, vcc_lo, 0, v28, vcc_lo
	v_add_co_u32 v25, vcc_lo, v23, v27
	v_add_co_ci_u32_e64 v26, null, 0, v24, vcc_lo
	v_mul_lo_u32 v27, s1, v25
	v_mad_u64_u32 v[23:24], null, s0, v25, 0
	v_mul_lo_u32 v28, s0, v26
	v_sub_co_u32 v2, vcc_lo, v2, v23
	v_add3_u32 v24, v24, v28, v27
	v_sub_nc_u32_e32 v27, v29, v24
	v_sub_co_ci_u32_e64 v23, null, v29, v24, vcc_lo
	v_subrev_co_ci_u32_e64 v24, null, s1, v27, vcc_lo
	v_cmp_le_u32_e32 vcc_lo, s0, v2
	v_cndmask_b32_e64 v27, 0, -1, vcc_lo
	v_sub_co_u32 v2, vcc_lo, v2, s0
	v_subrev_co_ci_u32_e64 v24, null, 0, v24, vcc_lo
	v_cmp_le_u32_e32 vcc_lo, s1, v23
	v_cmp_le_u32_e64 s0, s0, v2
	v_cndmask_b32_e64 v28, 0, -1, vcc_lo
	v_cndmask_b32_e64 v2, 0, -1, s0
	v_cmp_le_u32_e64 s0, s1, v24
	v_cmp_eq_u32_e32 vcc_lo, s1, v23
	v_cndmask_b32_e64 v23, 0, -1, s0
	v_add_co_u32 v29, s0, v25, 2
	v_add_co_ci_u32_e64 v30, null, 0, v26, s0
	v_cmp_eq_u32_e64 s0, s1, v24
	v_cndmask_b32_e32 v27, v28, v27, vcc_lo
	v_cndmask_b32_e64 v2, v23, v2, s0
	v_add_co_u32 v23, s0, v25, 1
	v_add_co_ci_u32_e64 v24, null, 0, v26, s0
	v_cmp_ne_u32_e32 vcc_lo, 0, v2
	v_cmp_ne_u32_e64 s0, 0, v27
	v_cndmask_b32_e32 v23, v23, v29, vcc_lo
	v_cndmask_b32_e32 v2, v24, v30, vcc_lo
	v_xor_b32_e32 v24, s2, v33
	v_cndmask_b32_e64 v23, v25, v23, s0
	v_cndmask_b32_e64 v2, v26, v2, s0
	v_xor_b32_e32 v23, v23, v24
	v_xor_b32_e32 v2, v2, v24
	v_sub_co_u32 v23, vcc_lo, v23, v24
	v_sub_co_ci_u32_e64 v24, null, v2, v24, vcc_lo
.LBB3_27:                               ;   in Loop: Header=BB3_5 Depth=1
	s_or_saveexec_b32 s0, s96
	v_cvt_f32_u32_e32 v29, s94
	s_xor_b32 exec_lo, exec_lo, s0
	s_cbranch_execz .LBB3_29
; %bb.28:                               ;   in Loop: Header=BB3_5 Depth=1
	v_rcp_iflag_f32_e32 v2, v29
	s_sub_i32 s1, 0, s94
	v_mul_f32_e32 v2, 0x4f7ffffe, v2
	v_cvt_u32_f32_e32 v2, v2
	v_mul_lo_u32 v23, s1, v2
	v_mul_hi_u32 v23, v2, v23
	v_add_nc_u32_e32 v2, v2, v23
	v_mul_hi_u32 v2, v36, v2
	v_mul_lo_u32 v23, v2, s94
	v_add_nc_u32_e32 v24, 1, v2
	v_sub_nc_u32_e32 v23, v36, v23
	v_subrev_nc_u32_e32 v25, s94, v23
	v_cmp_le_u32_e32 vcc_lo, s94, v23
	v_cndmask_b32_e32 v23, v23, v25, vcc_lo
	v_cndmask_b32_e32 v2, v2, v24, vcc_lo
	v_cmp_le_u32_e32 vcc_lo, s94, v23
	v_add_nc_u32_e32 v24, 1, v2
	v_cndmask_b32_e32 v23, v2, v24, vcc_lo
	v_mov_b32_e32 v24, v1
.LBB3_29:                               ;   in Loop: Header=BB3_5 Depth=1
	s_or_b32 exec_lo, exec_lo, s0
	v_mul_lo_u32 v2, v24, s28
	v_mul_lo_u32 v27, v23, s29
	v_mad_u64_u32 v[25:26], null, v23, s28, 0
	s_mov_b32 s0, exec_lo
	v_add3_u32 v26, v26, v27, v2
	v_mul_lo_u32 v2, v24, s94
	v_mul_lo_u32 v27, v23, s95
	v_mad_u64_u32 v[23:24], null, v23, s94, 0
	v_lshlrev_b64 v[25:26], 3, v[25:26]
	v_add3_u32 v2, v24, v27, v2
	v_sub_co_u32 v23, vcc_lo, v5, v23
	v_sub_co_ci_u32_e64 v2, null, v6, v2, vcc_lo
	v_add_co_u32 v23, vcc_lo, v3, v23
	v_add_co_ci_u32_e64 v2, null, v4, v2, vcc_lo
	v_mul_lo_u32 v27, v23, s31
	v_mad_u64_u32 v[23:24], null, v23, s30, 0
	v_mul_lo_u32 v2, v2, s30
	v_add3_u32 v24, v24, v27, v2
	v_add_co_u32 v2, vcc_lo, s40, v25
	v_add_co_ci_u32_e64 v25, null, s41, v26, vcc_lo
	v_lshlrev_b64 v[23:24], 3, v[23:24]
	v_add_co_u32 v23, vcc_lo, v2, v23
	v_add_co_ci_u32_e64 v24, null, v25, v24, vcc_lo
	v_or_b32_e32 v2, s95, v38
                                        ; implicit-def: $vgpr25_vgpr26
	global_load_dwordx2 v[23:24], v[23:24], off
	v_cmpx_ne_u64_e32 0, v[1:2]
	s_xor_b32 s96, exec_lo, s0
	s_cbranch_execz .LBB3_31
; %bb.30:                               ;   in Loop: Header=BB3_5 Depth=1
	s_ashr_i32 s2, s95, 31
	v_add_co_u32 v26, vcc_lo, v40, v35
	s_add_u32 s0, s94, s2
	s_mov_b32 s3, s2
	s_addc_u32 s1, s95, s2
	v_add_co_ci_u32_e64 v27, null, v38, v35, vcc_lo
	s_xor_b64 s[0:1], s[0:1], s[2:3]
	v_cvt_f32_u32_e32 v2, s0
	v_cvt_f32_u32_e32 v25, s1
	s_sub_u32 s49, 0, s0
	s_subb_u32 s54, 0, s1
	v_xor_b32_e32 v32, v27, v35
	v_fmac_f32_e32 v2, 0x4f800000, v25
	v_rcp_f32_e32 v2, v2
	v_mul_f32_e32 v2, 0x5f7ffffc, v2
	v_mul_f32_e32 v25, 0x2f800000, v2
	v_trunc_f32_e32 v25, v25
	v_fmac_f32_e32 v2, 0xcf800000, v25
	v_cvt_u32_f32_e32 v25, v25
	v_cvt_u32_f32_e32 v2, v2
	v_readfirstlane_b32 s3, v25
	v_readfirstlane_b32 s48, v2
	s_mul_i32 s55, s49, s3
	v_xor_b32_e32 v2, v26, v35
	s_mul_hi_u32 s69, s49, s48
	s_mul_i32 s68, s54, s48
	s_add_i32 s55, s69, s55
	s_mul_i32 s91, s49, s48
	s_add_i32 s55, s55, s68
	s_mul_hi_u32 s69, s48, s91
	s_mul_i32 s99, s48, s55
	s_mul_hi_u32 s93, s3, s91
	s_mul_i32 s68, s3, s91
	s_mul_hi_u32 s91, s48, s55
	s_add_u32 s69, s69, s99
	s_addc_u32 s91, 0, s91
	s_mul_hi_u32 s104, s3, s55
	s_add_u32 s68, s69, s68
	s_mul_i32 s55, s3, s55
	s_addc_u32 s68, s91, s93
	s_addc_u32 s69, s104, 0
	s_add_u32 s55, s68, s55
	s_addc_u32 s68, 0, s69
	s_add_u32 s48, s48, s55
	s_cselect_b32 s55, -1, 0
	s_mul_hi_u32 s69, s49, s48
	s_cmp_lg_u32 s55, 0
	s_mul_i32 s55, s49, s48
	s_addc_u32 s3, s3, s68
	s_mul_i32 s54, s54, s48
	s_mul_i32 s49, s49, s3
	s_mul_hi_u32 s68, s48, s55
	s_add_i32 s49, s69, s49
	s_mul_hi_u32 s69, s3, s55
	s_add_i32 s49, s49, s54
	s_mul_i32 s54, s3, s55
	s_mul_i32 s93, s48, s49
	s_mul_hi_u32 s91, s48, s49
	s_add_u32 s68, s68, s93
	s_addc_u32 s91, 0, s91
	s_mul_hi_u32 s55, s3, s49
	s_add_u32 s54, s68, s54
	s_mul_i32 s49, s3, s49
	s_addc_u32 s54, s91, s69
	s_addc_u32 s55, s55, 0
	s_add_u32 s49, s54, s49
	s_addc_u32 s54, 0, s55
	s_add_u32 s48, s48, s49
	s_cselect_b32 s49, -1, 0
	v_mul_hi_u32 v46, v2, s48
	s_cmp_lg_u32 s49, 0
	v_mad_u64_u32 v[27:28], null, v32, s48, 0
	s_addc_u32 s3, s3, s54
	v_mad_u64_u32 v[25:26], null, v2, s3, 0
	v_mad_u64_u32 v[30:31], null, v32, s3, 0
	v_add_co_u32 v25, vcc_lo, v46, v25
	v_add_co_ci_u32_e64 v26, null, 0, v26, vcc_lo
	v_add_co_u32 v25, vcc_lo, v25, v27
	v_add_co_ci_u32_e32 v25, vcc_lo, v26, v28, vcc_lo
	v_add_co_ci_u32_e32 v26, vcc_lo, 0, v31, vcc_lo
	v_add_co_u32 v27, vcc_lo, v25, v30
	v_add_co_ci_u32_e64 v28, null, 0, v26, vcc_lo
	v_mul_lo_u32 v30, s1, v27
	v_mad_u64_u32 v[25:26], null, s0, v27, 0
	v_mul_lo_u32 v31, s0, v28
	v_sub_co_u32 v2, vcc_lo, v2, v25
	v_add3_u32 v26, v26, v31, v30
	v_sub_nc_u32_e32 v30, v32, v26
	v_sub_co_ci_u32_e64 v25, null, v32, v26, vcc_lo
	v_subrev_co_ci_u32_e64 v26, null, s1, v30, vcc_lo
	v_cmp_le_u32_e32 vcc_lo, s0, v2
	v_cndmask_b32_e64 v30, 0, -1, vcc_lo
	v_sub_co_u32 v2, vcc_lo, v2, s0
	v_subrev_co_ci_u32_e64 v26, null, 0, v26, vcc_lo
	v_cmp_le_u32_e32 vcc_lo, s1, v25
	v_cmp_le_u32_e64 s0, s0, v2
	v_cndmask_b32_e64 v31, 0, -1, vcc_lo
	v_cndmask_b32_e64 v2, 0, -1, s0
	v_cmp_le_u32_e64 s0, s1, v26
	v_cmp_eq_u32_e32 vcc_lo, s1, v25
	v_cndmask_b32_e64 v25, 0, -1, s0
	v_add_co_u32 v32, s0, v27, 2
	v_add_co_ci_u32_e64 v46, null, 0, v28, s0
	v_cmp_eq_u32_e64 s0, s1, v26
	v_cndmask_b32_e32 v30, v31, v30, vcc_lo
	v_cndmask_b32_e64 v2, v25, v2, s0
	v_add_co_u32 v25, s0, v27, 1
	v_add_co_ci_u32_e64 v26, null, 0, v28, s0
	v_cmp_ne_u32_e32 vcc_lo, 0, v2
	v_cmp_ne_u32_e64 s0, 0, v30
	v_cndmask_b32_e32 v25, v25, v32, vcc_lo
	v_cndmask_b32_e32 v2, v26, v46, vcc_lo
	v_xor_b32_e32 v26, s2, v35
	v_cndmask_b32_e64 v25, v27, v25, s0
	v_cndmask_b32_e64 v2, v28, v2, s0
	v_xor_b32_e32 v25, v25, v26
	v_xor_b32_e32 v2, v2, v26
	v_sub_co_u32 v25, vcc_lo, v25, v26
	v_sub_co_ci_u32_e64 v26, null, v2, v26, vcc_lo
.LBB3_31:                               ;   in Loop: Header=BB3_5 Depth=1
	s_andn2_saveexec_b32 s0, s96
	s_cbranch_execz .LBB3_33
; %bb.32:                               ;   in Loop: Header=BB3_5 Depth=1
	v_rcp_iflag_f32_e32 v2, v29
	s_sub_i32 s1, 0, s94
	v_mul_f32_e32 v2, 0x4f7ffffe, v2
	v_cvt_u32_f32_e32 v2, v2
	v_mul_lo_u32 v25, s1, v2
	v_mul_hi_u32 v25, v2, v25
	v_add_nc_u32_e32 v2, v2, v25
	v_mul_hi_u32 v2, v40, v2
	v_mul_lo_u32 v25, v2, s94
	v_add_nc_u32_e32 v26, 1, v2
	v_sub_nc_u32_e32 v25, v40, v25
	v_subrev_nc_u32_e32 v27, s94, v25
	v_cmp_le_u32_e32 vcc_lo, s94, v25
	v_cndmask_b32_e32 v25, v25, v27, vcc_lo
	v_cndmask_b32_e32 v2, v2, v26, vcc_lo
	v_cmp_le_u32_e32 vcc_lo, s94, v25
	v_add_nc_u32_e32 v26, 1, v2
	v_cndmask_b32_e32 v25, v2, v26, vcc_lo
	v_mov_b32_e32 v26, v1
.LBB3_33:                               ;   in Loop: Header=BB3_5 Depth=1
	s_or_b32 exec_lo, exec_lo, s0
	v_mul_lo_u32 v2, v26, s28
	v_mul_lo_u32 v30, v25, s29
	v_mad_u64_u32 v[27:28], null, v25, s28, 0
	s_mov_b32 s0, exec_lo
	v_add3_u32 v28, v28, v30, v2
	v_mul_lo_u32 v2, v26, s94
	v_mul_lo_u32 v30, v25, s95
	v_mad_u64_u32 v[25:26], null, v25, s94, 0
	v_lshlrev_b64 v[27:28], 3, v[27:28]
	v_add3_u32 v2, v26, v30, v2
	v_sub_co_u32 v25, vcc_lo, v7, v25
	v_sub_co_ci_u32_e64 v2, null, v8, v2, vcc_lo
	v_add_co_u32 v25, vcc_lo, v3, v25
	v_add_co_ci_u32_e64 v2, null, v4, v2, vcc_lo
	v_mul_lo_u32 v30, v25, s31
	v_mad_u64_u32 v[25:26], null, v25, s30, 0
	v_mul_lo_u32 v2, v2, s30
	v_add3_u32 v26, v26, v30, v2
	v_add_co_u32 v2, vcc_lo, s40, v27
	v_add_co_ci_u32_e64 v27, null, s41, v28, vcc_lo
	v_lshlrev_b64 v[25:26], 3, v[25:26]
	v_add_co_u32 v25, vcc_lo, v2, v25
	v_add_co_ci_u32_e64 v26, null, v27, v26, vcc_lo
	v_or_b32_e32 v2, s95, v41
                                        ; implicit-def: $vgpr27_vgpr28
	global_load_dwordx2 v[25:26], v[25:26], off
	v_cmpx_ne_u64_e32 0, v[1:2]
	s_xor_b32 s96, exec_lo, s0
	s_cbranch_execz .LBB3_35
; %bb.34:                               ;   in Loop: Header=BB3_5 Depth=1
	s_ashr_i32 s2, s95, 31
	v_add_co_u32 v28, vcc_lo, v42, v37
	s_add_u32 s0, s94, s2
	s_mov_b32 s3, s2
	s_addc_u32 s1, s95, s2
	v_add_co_ci_u32_e64 v30, null, v41, v37, vcc_lo
	s_xor_b64 s[0:1], s[0:1], s[2:3]
	v_cvt_f32_u32_e32 v2, s0
	v_cvt_f32_u32_e32 v27, s1
	s_sub_u32 s49, 0, s0
	s_subb_u32 s54, 0, s1
	v_xor_b32_e32 v32, v30, v37
	v_fmac_f32_e32 v2, 0x4f800000, v27
	v_rcp_f32_e32 v2, v2
	v_mul_f32_e32 v2, 0x5f7ffffc, v2
	v_mul_f32_e32 v27, 0x2f800000, v2
	v_trunc_f32_e32 v27, v27
	v_fmac_f32_e32 v2, 0xcf800000, v27
	v_cvt_u32_f32_e32 v27, v27
	v_cvt_u32_f32_e32 v2, v2
	v_readfirstlane_b32 s3, v27
	v_readfirstlane_b32 s48, v2
	s_mul_i32 s55, s49, s3
	v_xor_b32_e32 v2, v28, v37
	s_mul_hi_u32 s69, s49, s48
	s_mul_i32 s68, s54, s48
	s_add_i32 s55, s69, s55
	s_mul_i32 s91, s49, s48
	s_add_i32 s55, s55, s68
	s_mul_hi_u32 s69, s48, s91
	s_mul_i32 s99, s48, s55
	s_mul_hi_u32 s93, s3, s91
	s_mul_i32 s68, s3, s91
	s_mul_hi_u32 s91, s48, s55
	s_add_u32 s69, s69, s99
	s_addc_u32 s91, 0, s91
	s_mul_hi_u32 s104, s3, s55
	s_add_u32 s68, s69, s68
	s_mul_i32 s55, s3, s55
	s_addc_u32 s68, s91, s93
	s_addc_u32 s69, s104, 0
	s_add_u32 s55, s68, s55
	s_addc_u32 s68, 0, s69
	s_add_u32 s48, s48, s55
	s_cselect_b32 s55, -1, 0
	s_mul_hi_u32 s69, s49, s48
	s_cmp_lg_u32 s55, 0
	s_mul_i32 s55, s49, s48
	s_addc_u32 s3, s3, s68
	s_mul_i32 s54, s54, s48
	s_mul_i32 s49, s49, s3
	s_mul_hi_u32 s68, s48, s55
	s_add_i32 s49, s69, s49
	s_mul_hi_u32 s69, s3, s55
	s_add_i32 s49, s49, s54
	s_mul_i32 s54, s3, s55
	s_mul_i32 s93, s48, s49
	s_mul_hi_u32 s91, s48, s49
	s_add_u32 s68, s68, s93
	s_addc_u32 s91, 0, s91
	s_mul_hi_u32 s55, s3, s49
	s_add_u32 s54, s68, s54
	s_mul_i32 s49, s3, s49
	s_addc_u32 s54, s91, s69
	s_addc_u32 s55, s55, 0
	s_add_u32 s49, s54, s49
	s_addc_u32 s54, 0, s55
	s_add_u32 s48, s48, s49
	s_cselect_b32 s49, -1, 0
	v_mul_hi_u32 v48, v2, s48
	s_cmp_lg_u32 s49, 0
	v_mad_u64_u32 v[30:31], null, v32, s48, 0
	s_addc_u32 s3, s3, s54
	v_mad_u64_u32 v[27:28], null, v2, s3, 0
	v_mad_u64_u32 v[46:47], null, v32, s3, 0
	v_add_co_u32 v27, vcc_lo, v48, v27
	v_add_co_ci_u32_e64 v28, null, 0, v28, vcc_lo
	v_add_co_u32 v27, vcc_lo, v27, v30
	v_add_co_ci_u32_e32 v27, vcc_lo, v28, v31, vcc_lo
	v_add_co_ci_u32_e32 v28, vcc_lo, 0, v47, vcc_lo
	v_add_co_u32 v30, vcc_lo, v27, v46
	v_add_co_ci_u32_e64 v31, null, 0, v28, vcc_lo
	v_mul_lo_u32 v46, s1, v30
	v_mad_u64_u32 v[27:28], null, s0, v30, 0
	v_mul_lo_u32 v47, s0, v31
	v_sub_co_u32 v2, vcc_lo, v2, v27
	v_add3_u32 v28, v28, v47, v46
	v_sub_nc_u32_e32 v46, v32, v28
	v_sub_co_ci_u32_e64 v27, null, v32, v28, vcc_lo
	v_subrev_co_ci_u32_e64 v28, null, s1, v46, vcc_lo
	v_cmp_le_u32_e32 vcc_lo, s0, v2
	v_cndmask_b32_e64 v32, 0, -1, vcc_lo
	v_sub_co_u32 v2, vcc_lo, v2, s0
	v_subrev_co_ci_u32_e64 v28, null, 0, v28, vcc_lo
	v_cmp_le_u32_e32 vcc_lo, s1, v27
	v_cmp_le_u32_e64 s0, s0, v2
	v_cndmask_b32_e64 v46, 0, -1, vcc_lo
	v_cndmask_b32_e64 v2, 0, -1, s0
	v_cmp_le_u32_e64 s0, s1, v28
	v_cmp_eq_u32_e32 vcc_lo, s1, v27
	v_cndmask_b32_e64 v27, 0, -1, s0
	v_add_co_u32 v47, s0, v30, 2
	v_add_co_ci_u32_e64 v48, null, 0, v31, s0
	v_cmp_eq_u32_e64 s0, s1, v28
	v_cndmask_b32_e32 v32, v46, v32, vcc_lo
	v_cndmask_b32_e64 v2, v27, v2, s0
	v_add_co_u32 v27, s0, v30, 1
	v_add_co_ci_u32_e64 v28, null, 0, v31, s0
	v_cmp_ne_u32_e32 vcc_lo, 0, v2
	v_cmp_ne_u32_e64 s0, 0, v32
	v_cndmask_b32_e32 v27, v27, v47, vcc_lo
	v_cndmask_b32_e32 v2, v28, v48, vcc_lo
	v_xor_b32_e32 v28, s2, v37
	v_cndmask_b32_e64 v27, v30, v27, s0
	v_cndmask_b32_e64 v2, v31, v2, s0
	v_xor_b32_e32 v27, v27, v28
	v_xor_b32_e32 v2, v2, v28
	v_sub_co_u32 v27, vcc_lo, v27, v28
	v_sub_co_ci_u32_e64 v28, null, v2, v28, vcc_lo
.LBB3_35:                               ;   in Loop: Header=BB3_5 Depth=1
	s_andn2_saveexec_b32 s0, s96
	s_cbranch_execz .LBB3_37
; %bb.36:                               ;   in Loop: Header=BB3_5 Depth=1
	v_rcp_iflag_f32_e32 v2, v29
	s_sub_i32 s1, 0, s94
	v_mul_f32_e32 v2, 0x4f7ffffe, v2
	v_cvt_u32_f32_e32 v2, v2
	v_mul_lo_u32 v27, s1, v2
	v_mul_hi_u32 v27, v2, v27
	v_add_nc_u32_e32 v2, v2, v27
	v_mul_hi_u32 v2, v42, v2
	v_mul_lo_u32 v27, v2, s94
	v_add_nc_u32_e32 v28, 1, v2
	v_sub_nc_u32_e32 v27, v42, v27
	v_subrev_nc_u32_e32 v30, s94, v27
	v_cmp_le_u32_e32 vcc_lo, s94, v27
	v_cndmask_b32_e32 v27, v27, v30, vcc_lo
	v_cndmask_b32_e32 v2, v2, v28, vcc_lo
	v_cmp_le_u32_e32 vcc_lo, s94, v27
	v_add_nc_u32_e32 v28, 1, v2
	v_cndmask_b32_e32 v27, v2, v28, vcc_lo
	v_mov_b32_e32 v28, v1
.LBB3_37:                               ;   in Loop: Header=BB3_5 Depth=1
	s_or_b32 exec_lo, exec_lo, s0
	v_mul_lo_u32 v2, v28, s28
	v_mul_lo_u32 v32, v27, s29
	v_mad_u64_u32 v[30:31], null, v27, s28, 0
	s_mov_b32 s0, exec_lo
	v_add3_u32 v31, v31, v32, v2
	v_mul_lo_u32 v2, v28, s94
	v_mul_lo_u32 v32, v27, s95
	v_mad_u64_u32 v[27:28], null, v27, s94, 0
	v_lshlrev_b64 v[30:31], 3, v[30:31]
	v_add3_u32 v2, v28, v32, v2
	v_sub_co_u32 v27, vcc_lo, v9, v27
	v_sub_co_ci_u32_e64 v2, null, v10, v2, vcc_lo
	v_add_co_u32 v27, vcc_lo, v3, v27
	v_add_co_ci_u32_e64 v2, null, v4, v2, vcc_lo
	v_mul_lo_u32 v32, v27, s31
	v_mad_u64_u32 v[27:28], null, v27, s30, 0
	v_mul_lo_u32 v2, v2, s30
	v_add3_u32 v28, v28, v32, v2
	v_add_co_u32 v2, vcc_lo, s40, v30
	v_add_co_ci_u32_e64 v30, null, s41, v31, vcc_lo
	v_lshlrev_b64 v[27:28], 3, v[27:28]
	v_add_co_u32 v27, vcc_lo, v2, v27
	v_add_co_ci_u32_e64 v28, null, v30, v28, vcc_lo
	v_or_b32_e32 v2, s95, v43
	global_load_dwordx2 v[31:32], v[27:28], off
                                        ; implicit-def: $vgpr27_vgpr28
	v_cmpx_ne_u64_e32 0, v[1:2]
	s_xor_b32 s96, exec_lo, s0
	s_cbranch_execz .LBB3_39
; %bb.38:                               ;   in Loop: Header=BB3_5 Depth=1
	s_ashr_i32 s2, s95, 31
	v_add_co_u32 v28, vcc_lo, v44, v39
	s_add_u32 s0, s94, s2
	s_mov_b32 s3, s2
	s_addc_u32 s1, s95, s2
	v_add_co_ci_u32_e64 v29, null, v43, v39, vcc_lo
	s_xor_b64 s[0:1], s[0:1], s[2:3]
	v_cvt_f32_u32_e32 v2, s0
	v_cvt_f32_u32_e32 v27, s1
	s_sub_u32 s49, 0, s0
	s_subb_u32 s54, 0, s1
	v_xor_b32_e32 v48, v29, v39
	v_fmac_f32_e32 v2, 0x4f800000, v27
	v_rcp_f32_e32 v2, v2
	v_mul_f32_e32 v2, 0x5f7ffffc, v2
	v_mul_f32_e32 v27, 0x2f800000, v2
	v_trunc_f32_e32 v27, v27
	v_fmac_f32_e32 v2, 0xcf800000, v27
	v_cvt_u32_f32_e32 v27, v27
	v_cvt_u32_f32_e32 v2, v2
	v_readfirstlane_b32 s3, v27
	v_readfirstlane_b32 s48, v2
	s_mul_i32 s55, s49, s3
	v_xor_b32_e32 v2, v28, v39
	s_mul_hi_u32 s69, s49, s48
	s_mul_i32 s68, s54, s48
	s_add_i32 s55, s69, s55
	s_mul_i32 s91, s49, s48
	s_add_i32 s55, s55, s68
	s_mul_hi_u32 s69, s48, s91
	s_mul_i32 s99, s48, s55
	s_mul_hi_u32 s93, s3, s91
	s_mul_i32 s68, s3, s91
	s_mul_hi_u32 s91, s48, s55
	s_add_u32 s69, s69, s99
	s_addc_u32 s91, 0, s91
	s_mul_hi_u32 s104, s3, s55
	s_add_u32 s68, s69, s68
	s_mul_i32 s55, s3, s55
	s_addc_u32 s68, s91, s93
	s_addc_u32 s69, s104, 0
	s_add_u32 s55, s68, s55
	s_addc_u32 s68, 0, s69
	s_add_u32 s48, s48, s55
	s_cselect_b32 s55, -1, 0
	s_mul_hi_u32 s69, s49, s48
	s_cmp_lg_u32 s55, 0
	s_mul_i32 s55, s49, s48
	s_addc_u32 s3, s3, s68
	s_mul_i32 s54, s54, s48
	s_mul_i32 s49, s49, s3
	s_mul_hi_u32 s68, s48, s55
	s_add_i32 s49, s69, s49
	s_mul_hi_u32 s69, s3, s55
	s_add_i32 s49, s49, s54
	s_mul_i32 s54, s3, s55
	s_mul_i32 s93, s48, s49
	s_mul_hi_u32 s91, s48, s49
	s_add_u32 s68, s68, s93
	s_addc_u32 s91, 0, s91
	s_mul_hi_u32 s55, s3, s49
	s_add_u32 s54, s68, s54
	s_mul_i32 s49, s3, s49
	s_addc_u32 s54, s91, s69
	s_addc_u32 s55, s55, 0
	s_add_u32 s49, s54, s49
	s_addc_u32 s54, 0, s55
	s_add_u32 s48, s48, s49
	s_cselect_b32 s49, -1, 0
	v_mul_hi_u32 v49, v2, s48
	s_cmp_lg_u32 s49, 0
	v_mad_u64_u32 v[29:30], null, v48, s48, 0
	s_addc_u32 s3, s3, s54
	v_mad_u64_u32 v[27:28], null, v2, s3, 0
	v_mad_u64_u32 v[46:47], null, v48, s3, 0
	v_add_co_u32 v27, vcc_lo, v49, v27
	v_add_co_ci_u32_e64 v28, null, 0, v28, vcc_lo
	v_add_co_u32 v27, vcc_lo, v27, v29
	v_add_co_ci_u32_e32 v27, vcc_lo, v28, v30, vcc_lo
	v_add_co_ci_u32_e32 v28, vcc_lo, 0, v47, vcc_lo
	v_add_co_u32 v29, vcc_lo, v27, v46
	v_add_co_ci_u32_e64 v30, null, 0, v28, vcc_lo
	v_mul_lo_u32 v46, s1, v29
	v_mad_u64_u32 v[27:28], null, s0, v29, 0
	v_mul_lo_u32 v47, s0, v30
	v_sub_co_u32 v2, vcc_lo, v2, v27
	v_add3_u32 v28, v28, v47, v46
	v_sub_nc_u32_e32 v46, v48, v28
	v_sub_co_ci_u32_e64 v27, null, v48, v28, vcc_lo
	v_subrev_co_ci_u32_e64 v28, null, s1, v46, vcc_lo
	v_cmp_le_u32_e32 vcc_lo, s0, v2
	v_cndmask_b32_e64 v46, 0, -1, vcc_lo
	v_sub_co_u32 v2, vcc_lo, v2, s0
	v_subrev_co_ci_u32_e64 v28, null, 0, v28, vcc_lo
	v_cmp_le_u32_e32 vcc_lo, s1, v27
	v_cmp_le_u32_e64 s0, s0, v2
	v_cndmask_b32_e64 v47, 0, -1, vcc_lo
	v_cndmask_b32_e64 v2, 0, -1, s0
	v_cmp_le_u32_e64 s0, s1, v28
	v_cmp_eq_u32_e32 vcc_lo, s1, v27
	v_cndmask_b32_e64 v27, 0, -1, s0
	v_add_co_u32 v48, s0, v29, 2
	v_add_co_ci_u32_e64 v49, null, 0, v30, s0
	v_cmp_eq_u32_e64 s0, s1, v28
	v_cndmask_b32_e32 v46, v47, v46, vcc_lo
	v_cndmask_b32_e64 v2, v27, v2, s0
	v_add_co_u32 v27, s0, v29, 1
	v_add_co_ci_u32_e64 v28, null, 0, v30, s0
	v_cmp_ne_u32_e32 vcc_lo, 0, v2
	v_cmp_ne_u32_e64 s0, 0, v46
	v_cndmask_b32_e32 v27, v27, v48, vcc_lo
	v_cndmask_b32_e32 v2, v28, v49, vcc_lo
	v_xor_b32_e32 v28, s2, v39
	v_cndmask_b32_e64 v27, v29, v27, s0
	v_cndmask_b32_e64 v2, v30, v2, s0
                                        ; implicit-def: $vgpr29
	v_xor_b32_e32 v27, v27, v28
	v_xor_b32_e32 v2, v2, v28
	v_sub_co_u32 v27, vcc_lo, v27, v28
	v_sub_co_ci_u32_e64 v28, null, v2, v28, vcc_lo
.LBB3_39:                               ;   in Loop: Header=BB3_5 Depth=1
	s_andn2_saveexec_b32 s0, s96
	s_cbranch_execz .LBB3_41
; %bb.40:                               ;   in Loop: Header=BB3_5 Depth=1
	v_rcp_iflag_f32_e32 v2, v29
	s_sub_i32 s1, 0, s94
	v_mul_f32_e32 v2, 0x4f7ffffe, v2
	v_cvt_u32_f32_e32 v2, v2
	v_mul_lo_u32 v27, s1, v2
	v_mul_hi_u32 v27, v2, v27
	v_add_nc_u32_e32 v2, v2, v27
	v_mul_hi_u32 v2, v44, v2
	v_mul_lo_u32 v27, v2, s94
	v_add_nc_u32_e32 v28, 1, v2
	v_sub_nc_u32_e32 v27, v44, v27
	v_subrev_nc_u32_e32 v29, s94, v27
	v_cmp_le_u32_e32 vcc_lo, s94, v27
	v_cndmask_b32_e32 v27, v27, v29, vcc_lo
	v_cndmask_b32_e32 v2, v2, v28, vcc_lo
	v_cmp_le_u32_e32 vcc_lo, s94, v27
	v_add_nc_u32_e32 v28, 1, v2
	v_cndmask_b32_e32 v27, v2, v28, vcc_lo
	v_mov_b32_e32 v28, v1
.LBB3_41:                               ;   in Loop: Header=BB3_5 Depth=1
	s_or_b32 exec_lo, exec_lo, s0
	v_mul_lo_u32 v2, v28, s28
	v_mul_lo_u32 v46, v27, s29
	v_mad_u64_u32 v[29:30], null, v27, s28, 0
	s_mov_b32 s0, exec_lo
	v_add3_u32 v30, v30, v46, v2
	v_mul_lo_u32 v2, v28, s94
	v_mul_lo_u32 v46, v27, s95
	v_mad_u64_u32 v[27:28], null, v27, s94, 0
	v_lshlrev_b64 v[29:30], 3, v[29:30]
	v_add3_u32 v2, v28, v46, v2
	v_sub_co_u32 v27, vcc_lo, v11, v27
	v_sub_co_ci_u32_e64 v2, null, v12, v2, vcc_lo
	v_add_co_u32 v27, vcc_lo, v3, v27
	v_add_co_ci_u32_e64 v2, null, v4, v2, vcc_lo
	v_mul_lo_u32 v46, v27, s31
	v_mad_u64_u32 v[27:28], null, v27, s30, 0
	v_mul_lo_u32 v2, v2, s30
	v_add3_u32 v28, v28, v46, v2
	v_add_co_u32 v2, vcc_lo, s40, v29
	v_add_co_ci_u32_e64 v29, null, s41, v30, vcc_lo
	v_lshlrev_b64 v[27:28], 3, v[27:28]
	v_add_co_u32 v27, vcc_lo, v2, v27
	v_add_co_ci_u32_e64 v28, null, v29, v28, vcc_lo
	v_or_b32_e32 v2, s63, v34
	global_load_dwordx2 v[29:30], v[27:28], off
                                        ; implicit-def: $vgpr27_vgpr28
	v_cmpx_ne_u64_e32 0, v[1:2]
	s_xor_b32 s96, exec_lo, s0
	s_cbranch_execz .LBB3_43
; %bb.42:                               ;   in Loop: Header=BB3_5 Depth=1
	s_ashr_i32 s2, s63, 31
	v_add_co_u32 v28, vcc_lo, v36, v33
	s_add_u32 s0, s62, s2
	s_mov_b32 s3, s2
	s_addc_u32 s1, s63, s2
	v_add_co_ci_u32_e64 v34, null, v34, v33, vcc_lo
	s_xor_b64 s[0:1], s[0:1], s[2:3]
	v_cvt_f32_u32_e32 v2, s0
	v_cvt_f32_u32_e32 v27, s1
	s_sub_u32 s49, 0, s0
	s_subb_u32 s54, 0, s1
	v_xor_b32_e32 v34, v34, v33
	v_fmac_f32_e32 v2, 0x4f800000, v27
	v_rcp_f32_e32 v2, v2
	v_mul_f32_e32 v2, 0x5f7ffffc, v2
	v_mul_f32_e32 v27, 0x2f800000, v2
	v_trunc_f32_e32 v27, v27
	v_fmac_f32_e32 v2, 0xcf800000, v27
	v_cvt_u32_f32_e32 v27, v27
	v_cvt_u32_f32_e32 v2, v2
	v_readfirstlane_b32 s3, v27
	v_readfirstlane_b32 s48, v2
	s_mul_i32 s55, s49, s3
	v_xor_b32_e32 v2, v28, v33
	s_mul_hi_u32 s69, s49, s48
	s_mul_i32 s68, s54, s48
	s_add_i32 s55, s69, s55
	s_mul_i32 s91, s49, s48
	s_add_i32 s55, s55, s68
	s_mul_hi_u32 s69, s48, s91
	s_mul_i32 s99, s48, s55
	s_mul_hi_u32 s93, s3, s91
	s_mul_i32 s68, s3, s91
	s_mul_hi_u32 s91, s48, s55
	s_add_u32 s69, s69, s99
	s_addc_u32 s91, 0, s91
	s_mul_hi_u32 s104, s3, s55
	s_add_u32 s68, s69, s68
	s_mul_i32 s55, s3, s55
	s_addc_u32 s68, s91, s93
	s_addc_u32 s69, s104, 0
	s_add_u32 s55, s68, s55
	s_addc_u32 s68, 0, s69
	s_add_u32 s48, s48, s55
	s_cselect_b32 s55, -1, 0
	s_mul_hi_u32 s69, s49, s48
	s_cmp_lg_u32 s55, 0
	s_mul_i32 s55, s49, s48
	s_addc_u32 s3, s3, s68
	s_mul_i32 s54, s54, s48
	s_mul_i32 s49, s49, s3
	s_mul_hi_u32 s68, s48, s55
	s_add_i32 s49, s69, s49
	s_mul_hi_u32 s69, s3, s55
	s_add_i32 s49, s49, s54
	s_mul_i32 s54, s3, s55
	s_mul_i32 s93, s48, s49
	s_mul_hi_u32 s91, s48, s49
	s_add_u32 s68, s68, s93
	s_addc_u32 s91, 0, s91
	s_mul_hi_u32 s55, s3, s49
	s_add_u32 s54, s68, s54
	s_mul_i32 s49, s3, s49
	s_addc_u32 s54, s91, s69
	s_addc_u32 s55, s55, 0
	s_add_u32 s49, s54, s49
	s_addc_u32 s54, 0, s55
	s_add_u32 s48, s48, s49
	s_cselect_b32 s49, -1, 0
	v_mul_hi_u32 v36, v2, s48
	s_cmp_lg_u32 s49, 0
	v_mad_u64_u32 v[46:47], null, v34, s48, 0
	s_addc_u32 s3, s3, s54
	v_mad_u64_u32 v[27:28], null, v2, s3, 0
	v_mad_u64_u32 v[48:49], null, v34, s3, 0
	v_add_co_u32 v27, vcc_lo, v36, v27
	v_add_co_ci_u32_e64 v28, null, 0, v28, vcc_lo
	v_add_co_u32 v27, vcc_lo, v27, v46
	v_add_co_ci_u32_e32 v27, vcc_lo, v28, v47, vcc_lo
	v_add_co_ci_u32_e32 v28, vcc_lo, 0, v49, vcc_lo
	v_add_co_u32 v36, vcc_lo, v27, v48
	v_add_co_ci_u32_e64 v46, null, 0, v28, vcc_lo
	v_mul_lo_u32 v47, s1, v36
	v_mad_u64_u32 v[27:28], null, s0, v36, 0
	v_mul_lo_u32 v48, s0, v46
	v_sub_co_u32 v2, vcc_lo, v2, v27
	v_add3_u32 v28, v28, v48, v47
	v_sub_nc_u32_e32 v47, v34, v28
	v_sub_co_ci_u32_e64 v27, null, v34, v28, vcc_lo
	v_subrev_co_ci_u32_e64 v28, null, s1, v47, vcc_lo
	v_cmp_le_u32_e32 vcc_lo, s0, v2
	v_cndmask_b32_e64 v34, 0, -1, vcc_lo
	v_sub_co_u32 v2, vcc_lo, v2, s0
	v_subrev_co_ci_u32_e64 v28, null, 0, v28, vcc_lo
	v_cmp_le_u32_e32 vcc_lo, s1, v27
	v_cndmask_b32_e64 v47, 0, -1, vcc_lo
	v_cmp_le_u32_e32 vcc_lo, s0, v2
	v_cndmask_b32_e64 v2, 0, -1, vcc_lo
	;; [unrolled: 2-line block ×3, first 2 shown]
	v_cmp_eq_u32_e32 vcc_lo, s1, v27
	v_cndmask_b32_e32 v27, v47, v34, vcc_lo
	v_cmp_eq_u32_e32 vcc_lo, s1, v28
	v_cmp_ne_u32_e64 s0, 0, v27
	v_cndmask_b32_e32 v2, v48, v2, vcc_lo
	v_add_co_u32 v28, vcc_lo, v36, 2
	v_add_co_ci_u32_e64 v34, null, 0, v46, vcc_lo
	v_add_co_u32 v47, vcc_lo, v36, 1
	v_add_co_ci_u32_e64 v48, null, 0, v46, vcc_lo
	v_cmp_ne_u32_e32 vcc_lo, 0, v2
	v_cndmask_b32_e32 v2, v47, v28, vcc_lo
	v_cndmask_b32_e32 v27, v48, v34, vcc_lo
	v_xor_b32_e32 v28, s2, v33
	v_cndmask_b32_e64 v2, v36, v2, s0
	v_cndmask_b32_e64 v27, v46, v27, s0
                                        ; implicit-def: $vgpr36
	v_xor_b32_e32 v2, v2, v28
	v_xor_b32_e32 v33, v27, v28
	v_sub_co_u32 v27, vcc_lo, v2, v28
	v_sub_co_ci_u32_e64 v28, null, v33, v28, vcc_lo
.LBB3_43:                               ;   in Loop: Header=BB3_5 Depth=1
	s_or_saveexec_b32 s0, s96
	v_cvt_f32_u32_e32 v46, s62
	s_xor_b32 exec_lo, exec_lo, s0
	s_cbranch_execz .LBB3_45
; %bb.44:                               ;   in Loop: Header=BB3_5 Depth=1
	v_rcp_iflag_f32_e32 v2, v46
	s_sub_i32 s1, 0, s62
	v_mul_f32_e32 v2, 0x4f7ffffe, v2
	v_cvt_u32_f32_e32 v2, v2
	v_mul_lo_u32 v27, s1, v2
	v_mul_hi_u32 v27, v2, v27
	v_add_nc_u32_e32 v2, v2, v27
	v_mul_hi_u32 v2, v36, v2
	v_mul_lo_u32 v27, v2, s62
	v_add_nc_u32_e32 v28, 1, v2
	v_sub_nc_u32_e32 v27, v36, v27
	v_subrev_nc_u32_e32 v33, s62, v27
	v_cmp_le_u32_e32 vcc_lo, s62, v27
	v_cndmask_b32_e32 v27, v27, v33, vcc_lo
	v_cndmask_b32_e32 v2, v2, v28, vcc_lo
	v_cmp_le_u32_e32 vcc_lo, s62, v27
	v_add_nc_u32_e32 v28, 1, v2
	v_cndmask_b32_e32 v27, v2, v28, vcc_lo
	v_mov_b32_e32 v28, v1
.LBB3_45:                               ;   in Loop: Header=BB3_5 Depth=1
	s_or_b32 exec_lo, exec_lo, s0
	v_or_b32_e32 v2, s63, v38
                                        ; implicit-def: $vgpr33_vgpr34
	s_mov_b32 s0, exec_lo
	v_cmpx_ne_u64_e32 0, v[1:2]
	s_xor_b32 s96, exec_lo, s0
	s_cbranch_execz .LBB3_47
; %bb.46:                               ;   in Loop: Header=BB3_5 Depth=1
	s_ashr_i32 s2, s63, 31
	v_add_co_u32 v34, vcc_lo, v40, v35
	s_add_u32 s0, s62, s2
	s_mov_b32 s3, s2
	s_addc_u32 s1, s63, s2
	v_add_co_ci_u32_e64 v36, null, v38, v35, vcc_lo
	s_xor_b64 s[0:1], s[0:1], s[2:3]
	v_cvt_f32_u32_e32 v2, s0
	v_cvt_f32_u32_e32 v33, s1
	s_sub_u32 s49, 0, s0
	s_subb_u32 s54, 0, s1
	v_xor_b32_e32 v36, v36, v35
	v_fmac_f32_e32 v2, 0x4f800000, v33
	v_rcp_f32_e32 v2, v2
	v_mul_f32_e32 v2, 0x5f7ffffc, v2
	v_mul_f32_e32 v33, 0x2f800000, v2
	v_trunc_f32_e32 v33, v33
	v_fmac_f32_e32 v2, 0xcf800000, v33
	v_cvt_u32_f32_e32 v33, v33
	v_cvt_u32_f32_e32 v2, v2
	v_readfirstlane_b32 s3, v33
	v_readfirstlane_b32 s48, v2
	s_mul_i32 s55, s49, s3
	v_xor_b32_e32 v2, v34, v35
	s_mul_hi_u32 s69, s49, s48
	s_mul_i32 s68, s54, s48
	s_add_i32 s55, s69, s55
	s_mul_i32 s91, s49, s48
	s_add_i32 s55, s55, s68
	s_mul_hi_u32 s69, s48, s91
	s_mul_i32 s99, s48, s55
	s_mul_hi_u32 s93, s3, s91
	s_mul_i32 s68, s3, s91
	s_mul_hi_u32 s91, s48, s55
	s_add_u32 s69, s69, s99
	s_addc_u32 s91, 0, s91
	s_mul_hi_u32 s104, s3, s55
	s_add_u32 s68, s69, s68
	s_mul_i32 s55, s3, s55
	s_addc_u32 s68, s91, s93
	s_addc_u32 s69, s104, 0
	s_add_u32 s55, s68, s55
	s_addc_u32 s68, 0, s69
	s_add_u32 s48, s48, s55
	s_cselect_b32 s55, -1, 0
	s_mul_hi_u32 s69, s49, s48
	s_cmp_lg_u32 s55, 0
	s_mul_i32 s55, s49, s48
	s_addc_u32 s3, s3, s68
	s_mul_i32 s54, s54, s48
	s_mul_i32 s49, s49, s3
	s_mul_hi_u32 s68, s48, s55
	s_add_i32 s49, s69, s49
	s_mul_hi_u32 s69, s3, s55
	s_add_i32 s49, s49, s54
	s_mul_i32 s54, s3, s55
	s_mul_i32 s93, s48, s49
	s_mul_hi_u32 s91, s48, s49
	s_add_u32 s68, s68, s93
	s_addc_u32 s91, 0, s91
	s_mul_hi_u32 s55, s3, s49
	s_add_u32 s54, s68, s54
	s_mul_i32 s49, s3, s49
	s_addc_u32 s54, s91, s69
	s_addc_u32 s55, s55, 0
	s_add_u32 s49, s54, s49
	s_addc_u32 s54, 0, s55
	s_add_u32 s48, s48, s49
	s_cselect_b32 s49, -1, 0
	v_mul_hi_u32 v38, v2, s48
	s_cmp_lg_u32 s49, 0
	v_mad_u64_u32 v[47:48], null, v36, s48, 0
	s_addc_u32 s3, s3, s54
	v_mad_u64_u32 v[33:34], null, v2, s3, 0
	v_mad_u64_u32 v[49:50], null, v36, s3, 0
	v_add_co_u32 v33, vcc_lo, v38, v33
	v_add_co_ci_u32_e64 v34, null, 0, v34, vcc_lo
	v_add_co_u32 v33, vcc_lo, v33, v47
	v_add_co_ci_u32_e32 v33, vcc_lo, v34, v48, vcc_lo
	v_add_co_ci_u32_e32 v34, vcc_lo, 0, v50, vcc_lo
	v_add_co_u32 v38, vcc_lo, v33, v49
	v_add_co_ci_u32_e64 v40, null, 0, v34, vcc_lo
	v_mul_lo_u32 v47, s1, v38
	v_mad_u64_u32 v[33:34], null, s0, v38, 0
	v_mul_lo_u32 v48, s0, v40
	v_sub_co_u32 v2, vcc_lo, v2, v33
	v_add3_u32 v34, v34, v48, v47
	v_sub_nc_u32_e32 v47, v36, v34
	v_sub_co_ci_u32_e64 v33, null, v36, v34, vcc_lo
	v_subrev_co_ci_u32_e64 v34, null, s1, v47, vcc_lo
	v_cmp_le_u32_e32 vcc_lo, s0, v2
	v_cndmask_b32_e64 v36, 0, -1, vcc_lo
	v_sub_co_u32 v2, vcc_lo, v2, s0
	v_subrev_co_ci_u32_e64 v34, null, 0, v34, vcc_lo
	v_cmp_le_u32_e32 vcc_lo, s1, v33
	v_cndmask_b32_e64 v47, 0, -1, vcc_lo
	v_cmp_le_u32_e32 vcc_lo, s0, v2
	v_cndmask_b32_e64 v2, 0, -1, vcc_lo
	;; [unrolled: 2-line block ×3, first 2 shown]
	v_cmp_eq_u32_e32 vcc_lo, s1, v33
	v_cndmask_b32_e32 v33, v47, v36, vcc_lo
	v_cmp_eq_u32_e32 vcc_lo, s1, v34
	v_cmp_ne_u32_e64 s0, 0, v33
	v_cndmask_b32_e32 v2, v48, v2, vcc_lo
	v_add_co_u32 v34, vcc_lo, v38, 2
	v_add_co_ci_u32_e64 v36, null, 0, v40, vcc_lo
	v_add_co_u32 v47, vcc_lo, v38, 1
	v_add_co_ci_u32_e64 v48, null, 0, v40, vcc_lo
	v_cmp_ne_u32_e32 vcc_lo, 0, v2
	v_cndmask_b32_e32 v2, v47, v34, vcc_lo
	v_cndmask_b32_e32 v33, v48, v36, vcc_lo
	v_xor_b32_e32 v34, s2, v35
	v_cndmask_b32_e64 v2, v38, v2, s0
	v_cndmask_b32_e64 v33, v40, v33, s0
                                        ; implicit-def: $vgpr40
	v_xor_b32_e32 v2, v2, v34
	v_xor_b32_e32 v35, v33, v34
	v_sub_co_u32 v33, vcc_lo, v2, v34
	v_sub_co_ci_u32_e64 v34, null, v35, v34, vcc_lo
.LBB3_47:                               ;   in Loop: Header=BB3_5 Depth=1
	s_andn2_saveexec_b32 s0, s96
	s_cbranch_execz .LBB3_49
; %bb.48:                               ;   in Loop: Header=BB3_5 Depth=1
	v_rcp_iflag_f32_e32 v2, v46
	s_sub_i32 s1, 0, s62
	v_mul_f32_e32 v2, 0x4f7ffffe, v2
	v_cvt_u32_f32_e32 v2, v2
	v_mul_lo_u32 v33, s1, v2
	v_mul_hi_u32 v33, v2, v33
	v_add_nc_u32_e32 v2, v2, v33
	v_mul_hi_u32 v2, v40, v2
	v_mul_lo_u32 v33, v2, s62
	v_add_nc_u32_e32 v34, 1, v2
	v_sub_nc_u32_e32 v33, v40, v33
	v_subrev_nc_u32_e32 v35, s62, v33
	v_cmp_le_u32_e32 vcc_lo, s62, v33
	v_cndmask_b32_e32 v33, v33, v35, vcc_lo
	v_cndmask_b32_e32 v2, v2, v34, vcc_lo
	v_cmp_le_u32_e32 vcc_lo, s62, v33
	v_add_nc_u32_e32 v34, 1, v2
	v_cndmask_b32_e32 v33, v2, v34, vcc_lo
	v_mov_b32_e32 v34, v1
.LBB3_49:                               ;   in Loop: Header=BB3_5 Depth=1
	s_or_b32 exec_lo, exec_lo, s0
	v_or_b32_e32 v2, s63, v41
                                        ; implicit-def: $vgpr35_vgpr36
	s_mov_b32 s0, exec_lo
	v_cmpx_ne_u64_e32 0, v[1:2]
	s_xor_b32 s96, exec_lo, s0
	s_cbranch_execz .LBB3_51
; %bb.50:                               ;   in Loop: Header=BB3_5 Depth=1
	s_ashr_i32 s2, s63, 31
	v_add_co_u32 v36, vcc_lo, v42, v37
	s_add_u32 s0, s62, s2
	s_mov_b32 s3, s2
	s_addc_u32 s1, s63, s2
	v_add_co_ci_u32_e64 v38, null, v41, v37, vcc_lo
	s_xor_b64 s[0:1], s[0:1], s[2:3]
	v_cvt_f32_u32_e32 v2, s0
	v_cvt_f32_u32_e32 v35, s1
	s_sub_u32 s49, 0, s0
	s_subb_u32 s54, 0, s1
	v_xor_b32_e32 v38, v38, v37
	v_fmac_f32_e32 v2, 0x4f800000, v35
	v_rcp_f32_e32 v2, v2
	v_mul_f32_e32 v2, 0x5f7ffffc, v2
	v_mul_f32_e32 v35, 0x2f800000, v2
	v_trunc_f32_e32 v35, v35
	v_fmac_f32_e32 v2, 0xcf800000, v35
	v_cvt_u32_f32_e32 v35, v35
	v_cvt_u32_f32_e32 v2, v2
	v_readfirstlane_b32 s3, v35
	v_readfirstlane_b32 s48, v2
	s_mul_i32 s55, s49, s3
	v_xor_b32_e32 v2, v36, v37
	s_mul_hi_u32 s69, s49, s48
	s_mul_i32 s68, s54, s48
	s_add_i32 s55, s69, s55
	s_mul_i32 s91, s49, s48
	s_add_i32 s55, s55, s68
	s_mul_hi_u32 s69, s48, s91
	s_mul_i32 s99, s48, s55
	s_mul_hi_u32 s93, s3, s91
	s_mul_i32 s68, s3, s91
	s_mul_hi_u32 s91, s48, s55
	s_add_u32 s69, s69, s99
	s_addc_u32 s91, 0, s91
	s_mul_hi_u32 s104, s3, s55
	s_add_u32 s68, s69, s68
	s_mul_i32 s55, s3, s55
	s_addc_u32 s68, s91, s93
	s_addc_u32 s69, s104, 0
	s_add_u32 s55, s68, s55
	s_addc_u32 s68, 0, s69
	s_add_u32 s48, s48, s55
	s_cselect_b32 s55, -1, 0
	s_mul_hi_u32 s69, s49, s48
	s_cmp_lg_u32 s55, 0
	s_mul_i32 s55, s49, s48
	s_addc_u32 s3, s3, s68
	s_mul_i32 s54, s54, s48
	s_mul_i32 s49, s49, s3
	s_mul_hi_u32 s68, s48, s55
	s_add_i32 s49, s69, s49
	s_mul_hi_u32 s69, s3, s55
	s_add_i32 s49, s49, s54
	s_mul_i32 s54, s3, s55
	s_mul_i32 s93, s48, s49
	s_mul_hi_u32 s91, s48, s49
	s_add_u32 s68, s68, s93
	s_addc_u32 s91, 0, s91
	s_mul_hi_u32 s55, s3, s49
	s_add_u32 s54, s68, s54
	s_mul_i32 s49, s3, s49
	s_addc_u32 s54, s91, s69
	s_addc_u32 s55, s55, 0
	s_add_u32 s49, s54, s49
	s_addc_u32 s54, 0, s55
	s_add_u32 s48, s48, s49
	s_cselect_b32 s49, -1, 0
	v_mul_hi_u32 v42, v2, s48
	s_cmp_lg_u32 s49, 0
	v_mad_u64_u32 v[40:41], null, v38, s48, 0
	s_addc_u32 s3, s3, s54
	v_mad_u64_u32 v[35:36], null, v2, s3, 0
	v_mad_u64_u32 v[47:48], null, v38, s3, 0
	v_add_co_u32 v35, vcc_lo, v42, v35
	v_add_co_ci_u32_e64 v36, null, 0, v36, vcc_lo
	v_add_co_u32 v35, vcc_lo, v35, v40
	v_add_co_ci_u32_e32 v35, vcc_lo, v36, v41, vcc_lo
	v_add_co_ci_u32_e32 v36, vcc_lo, 0, v48, vcc_lo
	v_add_co_u32 v40, vcc_lo, v35, v47
	v_add_co_ci_u32_e64 v41, null, 0, v36, vcc_lo
	v_mul_lo_u32 v42, s1, v40
	v_mad_u64_u32 v[35:36], null, s0, v40, 0
	v_mul_lo_u32 v47, s0, v41
	v_sub_co_u32 v2, vcc_lo, v2, v35
	v_add3_u32 v36, v36, v47, v42
	v_sub_nc_u32_e32 v42, v38, v36
	v_sub_co_ci_u32_e64 v35, null, v38, v36, vcc_lo
	v_subrev_co_ci_u32_e64 v36, null, s1, v42, vcc_lo
	v_cmp_le_u32_e32 vcc_lo, s0, v2
	v_cndmask_b32_e64 v38, 0, -1, vcc_lo
	v_sub_co_u32 v2, vcc_lo, v2, s0
	v_subrev_co_ci_u32_e64 v36, null, 0, v36, vcc_lo
	v_cmp_le_u32_e32 vcc_lo, s1, v35
	v_cndmask_b32_e64 v42, 0, -1, vcc_lo
	v_cmp_le_u32_e32 vcc_lo, s0, v2
	v_cndmask_b32_e64 v2, 0, -1, vcc_lo
	;; [unrolled: 2-line block ×3, first 2 shown]
	v_cmp_eq_u32_e32 vcc_lo, s1, v35
	v_cndmask_b32_e32 v35, v42, v38, vcc_lo
	v_cmp_eq_u32_e32 vcc_lo, s1, v36
	v_cmp_ne_u32_e64 s0, 0, v35
	v_cndmask_b32_e32 v2, v47, v2, vcc_lo
	v_add_co_u32 v36, vcc_lo, v40, 2
	v_add_co_ci_u32_e64 v38, null, 0, v41, vcc_lo
	v_add_co_u32 v42, vcc_lo, v40, 1
	v_add_co_ci_u32_e64 v47, null, 0, v41, vcc_lo
	v_cmp_ne_u32_e32 vcc_lo, 0, v2
	v_cndmask_b32_e32 v2, v42, v36, vcc_lo
	v_cndmask_b32_e32 v35, v47, v38, vcc_lo
	v_xor_b32_e32 v36, s2, v37
                                        ; implicit-def: $vgpr42
	v_cndmask_b32_e64 v2, v40, v2, s0
	v_cndmask_b32_e64 v35, v41, v35, s0
	v_xor_b32_e32 v2, v2, v36
	v_xor_b32_e32 v37, v35, v36
	v_sub_co_u32 v35, vcc_lo, v2, v36
	v_sub_co_ci_u32_e64 v36, null, v37, v36, vcc_lo
.LBB3_51:                               ;   in Loop: Header=BB3_5 Depth=1
	s_andn2_saveexec_b32 s0, s96
	s_cbranch_execz .LBB3_53
; %bb.52:                               ;   in Loop: Header=BB3_5 Depth=1
	v_rcp_iflag_f32_e32 v2, v46
	s_sub_i32 s1, 0, s62
	v_mul_f32_e32 v2, 0x4f7ffffe, v2
	v_cvt_u32_f32_e32 v2, v2
	v_mul_lo_u32 v35, s1, v2
	v_mul_hi_u32 v35, v2, v35
	v_add_nc_u32_e32 v2, v2, v35
	v_mul_hi_u32 v2, v42, v2
	v_mul_lo_u32 v35, v2, s62
	v_add_nc_u32_e32 v36, 1, v2
	v_sub_nc_u32_e32 v35, v42, v35
	v_subrev_nc_u32_e32 v37, s62, v35
	v_cmp_le_u32_e32 vcc_lo, s62, v35
	v_cndmask_b32_e32 v35, v35, v37, vcc_lo
	v_cndmask_b32_e32 v2, v2, v36, vcc_lo
	v_cmp_le_u32_e32 vcc_lo, s62, v35
	v_add_nc_u32_e32 v36, 1, v2
	v_cndmask_b32_e32 v35, v2, v36, vcc_lo
	v_mov_b32_e32 v36, v1
.LBB3_53:                               ;   in Loop: Header=BB3_5 Depth=1
	s_or_b32 exec_lo, exec_lo, s0
	v_or_b32_e32 v2, s63, v43
                                        ; implicit-def: $vgpr37_vgpr38
	s_mov_b32 s0, exec_lo
	v_cmpx_ne_u64_e32 0, v[1:2]
	s_xor_b32 s96, exec_lo, s0
	s_cbranch_execz .LBB3_55
; %bb.54:                               ;   in Loop: Header=BB3_5 Depth=1
	s_ashr_i32 s2, s63, 31
	v_add_co_u32 v38, vcc_lo, v44, v39
	s_add_u32 s0, s62, s2
	s_mov_b32 s3, s2
	s_addc_u32 s1, s63, s2
	v_add_co_ci_u32_e64 v40, null, v43, v39, vcc_lo
	s_xor_b64 s[0:1], s[0:1], s[2:3]
	v_cvt_f32_u32_e32 v2, s0
	v_cvt_f32_u32_e32 v37, s1
	s_sub_u32 s49, 0, s0
	s_subb_u32 s54, 0, s1
	v_xor_b32_e32 v44, v40, v39
	v_fmac_f32_e32 v2, 0x4f800000, v37
	v_rcp_f32_e32 v2, v2
	v_mul_f32_e32 v2, 0x5f7ffffc, v2
	v_mul_f32_e32 v37, 0x2f800000, v2
	v_trunc_f32_e32 v37, v37
	v_fmac_f32_e32 v2, 0xcf800000, v37
	v_cvt_u32_f32_e32 v37, v37
	v_cvt_u32_f32_e32 v2, v2
	v_readfirstlane_b32 s3, v37
	v_readfirstlane_b32 s48, v2
	s_mul_i32 s55, s49, s3
	v_xor_b32_e32 v2, v38, v39
	s_mul_hi_u32 s69, s49, s48
	s_mul_i32 s68, s54, s48
	s_add_i32 s55, s69, s55
	s_mul_i32 s91, s49, s48
	s_add_i32 s55, s55, s68
	s_mul_hi_u32 s69, s48, s91
	s_mul_i32 s99, s48, s55
	s_mul_hi_u32 s93, s3, s91
	s_mul_i32 s68, s3, s91
	s_mul_hi_u32 s91, s48, s55
	s_add_u32 s69, s69, s99
	s_addc_u32 s91, 0, s91
	s_mul_hi_u32 s104, s3, s55
	s_add_u32 s68, s69, s68
	s_mul_i32 s55, s3, s55
	s_addc_u32 s68, s91, s93
	s_addc_u32 s69, s104, 0
	s_add_u32 s55, s68, s55
	s_addc_u32 s68, 0, s69
	s_add_u32 s48, s48, s55
	s_cselect_b32 s55, -1, 0
	s_mul_hi_u32 s69, s49, s48
	s_cmp_lg_u32 s55, 0
	s_mul_i32 s55, s49, s48
	s_addc_u32 s3, s3, s68
	s_mul_i32 s54, s54, s48
	s_mul_i32 s49, s49, s3
	s_mul_hi_u32 s68, s48, s55
	s_add_i32 s49, s69, s49
	s_mul_hi_u32 s69, s3, s55
	s_add_i32 s49, s49, s54
	s_mul_i32 s54, s3, s55
	s_mul_i32 s93, s48, s49
	s_mul_hi_u32 s91, s48, s49
	s_add_u32 s68, s68, s93
	s_addc_u32 s91, 0, s91
	s_mul_hi_u32 s55, s3, s49
	s_add_u32 s54, s68, s54
	s_mul_i32 s49, s3, s49
	s_addc_u32 s54, s91, s69
	s_addc_u32 s55, s55, 0
	s_add_u32 s49, s54, s49
	s_addc_u32 s54, 0, s55
	s_add_u32 s48, s48, s49
	s_cselect_b32 s49, -1, 0
	v_mul_hi_u32 v46, v2, s48
	s_cmp_lg_u32 s49, 0
	v_mad_u64_u32 v[40:41], null, v44, s48, 0
	s_addc_u32 s3, s3, s54
	v_mad_u64_u32 v[37:38], null, v2, s3, 0
	v_mad_u64_u32 v[42:43], null, v44, s3, 0
	v_add_co_u32 v37, vcc_lo, v46, v37
	v_add_co_ci_u32_e64 v38, null, 0, v38, vcc_lo
                                        ; implicit-def: $vgpr46
	v_add_co_u32 v37, vcc_lo, v37, v40
	v_add_co_ci_u32_e32 v37, vcc_lo, v38, v41, vcc_lo
	v_add_co_ci_u32_e32 v38, vcc_lo, 0, v43, vcc_lo
	v_add_co_u32 v40, vcc_lo, v37, v42
	v_add_co_ci_u32_e64 v41, null, 0, v38, vcc_lo
	v_mul_lo_u32 v42, s1, v40
	v_mad_u64_u32 v[37:38], null, s0, v40, 0
	v_mul_lo_u32 v43, s0, v41
	v_sub_co_u32 v2, vcc_lo, v2, v37
	v_add3_u32 v38, v38, v43, v42
	v_sub_nc_u32_e32 v42, v44, v38
	v_sub_co_ci_u32_e64 v37, null, v44, v38, vcc_lo
	v_subrev_co_ci_u32_e64 v38, null, s1, v42, vcc_lo
	v_cmp_le_u32_e32 vcc_lo, s0, v2
	v_cndmask_b32_e64 v42, 0, -1, vcc_lo
	v_sub_co_u32 v2, vcc_lo, v2, s0
	v_subrev_co_ci_u32_e64 v38, null, 0, v38, vcc_lo
	v_cmp_le_u32_e32 vcc_lo, s1, v37
	v_cndmask_b32_e64 v43, 0, -1, vcc_lo
	v_cmp_le_u32_e32 vcc_lo, s0, v2
	v_cndmask_b32_e64 v2, 0, -1, vcc_lo
	;; [unrolled: 2-line block ×3, first 2 shown]
	v_cmp_eq_u32_e32 vcc_lo, s1, v37
	v_cndmask_b32_e32 v37, v43, v42, vcc_lo
	v_cmp_eq_u32_e32 vcc_lo, s1, v38
	v_cmp_ne_u32_e64 s0, 0, v37
	v_cndmask_b32_e32 v2, v44, v2, vcc_lo
	v_add_co_u32 v38, vcc_lo, v40, 2
	v_add_co_ci_u32_e64 v42, null, 0, v41, vcc_lo
	v_add_co_u32 v43, vcc_lo, v40, 1
	v_add_co_ci_u32_e64 v44, null, 0, v41, vcc_lo
	v_cmp_ne_u32_e32 vcc_lo, 0, v2
	v_cndmask_b32_e32 v2, v43, v38, vcc_lo
	v_cndmask_b32_e32 v37, v44, v42, vcc_lo
	v_xor_b32_e32 v38, s2, v39
                                        ; implicit-def: $vgpr44
	v_cndmask_b32_e64 v2, v40, v2, s0
	v_cndmask_b32_e64 v37, v41, v37, s0
	v_xor_b32_e32 v2, v2, v38
	v_xor_b32_e32 v39, v37, v38
	v_sub_co_u32 v37, vcc_lo, v2, v38
	v_sub_co_ci_u32_e64 v38, null, v39, v38, vcc_lo
.LBB3_55:                               ;   in Loop: Header=BB3_5 Depth=1
	s_andn2_saveexec_b32 s0, s96
	s_cbranch_execz .LBB3_57
; %bb.56:                               ;   in Loop: Header=BB3_5 Depth=1
	v_rcp_iflag_f32_e32 v2, v46
	s_sub_i32 s1, 0, s62
	v_mul_f32_e32 v2, 0x4f7ffffe, v2
	v_cvt_u32_f32_e32 v2, v2
	v_mul_lo_u32 v37, s1, v2
	v_mul_hi_u32 v37, v2, v37
	v_add_nc_u32_e32 v2, v2, v37
	v_mul_hi_u32 v2, v44, v2
	v_mul_lo_u32 v37, v2, s62
	v_add_nc_u32_e32 v38, 1, v2
	v_sub_nc_u32_e32 v37, v44, v37
	v_subrev_nc_u32_e32 v39, s62, v37
	v_cmp_le_u32_e32 vcc_lo, s62, v37
	v_cndmask_b32_e32 v2, v2, v38, vcc_lo
	v_cndmask_b32_e32 v37, v37, v39, vcc_lo
	v_add_nc_u32_e32 v38, 1, v2
	v_cmp_le_u32_e32 vcc_lo, s62, v37
	v_cndmask_b32_e32 v37, v2, v38, vcc_lo
	v_mov_b32_e32 v38, v1
.LBB3_57:                               ;   in Loop: Header=BB3_5 Depth=1
	s_or_b32 exec_lo, exec_lo, s0
	v_or_b32_e32 v2, s51, v4
                                        ; implicit-def: $vgpr39_vgpr40
	s_mov_b32 s0, exec_lo
	v_cmpx_ne_u64_e32 0, v[1:2]
	s_xor_b32 s96, exec_lo, s0
	s_cbranch_execz .LBB3_59
; %bb.58:                               ;   in Loop: Header=BB3_5 Depth=1
	s_ashr_i32 s2, s51, 31
	v_add_co_u32 v40, vcc_lo, v3, v45
	s_add_u32 s0, s50, s2
	s_mov_b32 s3, s2
	s_addc_u32 s1, s51, s2
	v_add_co_ci_u32_e64 v41, null, v4, v45, vcc_lo
	s_xor_b64 s[0:1], s[0:1], s[2:3]
	v_cvt_f32_u32_e32 v2, s0
	v_cvt_f32_u32_e32 v39, s1
	s_sub_u32 s49, 0, s0
	s_subb_u32 s54, 0, s1
	v_xor_b32_e32 v46, v41, v45
	v_fmac_f32_e32 v2, 0x4f800000, v39
	v_rcp_f32_e32 v2, v2
	v_mul_f32_e32 v2, 0x5f7ffffc, v2
	v_mul_f32_e32 v39, 0x2f800000, v2
	v_trunc_f32_e32 v39, v39
	v_fmac_f32_e32 v2, 0xcf800000, v39
	v_cvt_u32_f32_e32 v39, v39
	v_cvt_u32_f32_e32 v2, v2
	v_readfirstlane_b32 s3, v39
	v_readfirstlane_b32 s48, v2
	s_mul_i32 s55, s49, s3
	v_xor_b32_e32 v2, v40, v45
	s_mul_hi_u32 s69, s49, s48
	s_mul_i32 s68, s54, s48
	s_add_i32 s55, s69, s55
	s_mul_i32 s91, s49, s48
	s_add_i32 s55, s55, s68
	s_mul_hi_u32 s69, s48, s91
	s_mul_i32 s99, s48, s55
	s_mul_hi_u32 s93, s3, s91
	s_mul_i32 s68, s3, s91
	s_mul_hi_u32 s91, s48, s55
	s_add_u32 s69, s69, s99
	s_addc_u32 s91, 0, s91
	s_mul_hi_u32 s104, s3, s55
	s_add_u32 s68, s69, s68
	s_mul_i32 s55, s3, s55
	s_addc_u32 s68, s91, s93
	s_addc_u32 s69, s104, 0
	s_add_u32 s55, s68, s55
	s_addc_u32 s68, 0, s69
	s_add_u32 s48, s48, s55
	s_cselect_b32 s55, -1, 0
	s_mul_hi_u32 s69, s49, s48
	s_cmp_lg_u32 s55, 0
	s_mul_i32 s55, s49, s48
	s_addc_u32 s3, s3, s68
	s_mul_i32 s54, s54, s48
	s_mul_i32 s49, s49, s3
	s_mul_hi_u32 s68, s48, s55
	s_add_i32 s49, s69, s49
	s_mul_hi_u32 s69, s3, s55
	s_add_i32 s49, s49, s54
	s_mul_i32 s54, s3, s55
	s_mul_i32 s93, s48, s49
	s_mul_hi_u32 s91, s48, s49
	s_add_u32 s68, s68, s93
	s_addc_u32 s91, 0, s91
	s_mul_hi_u32 s55, s3, s49
	s_add_u32 s54, s68, s54
	s_mul_i32 s49, s3, s49
	s_addc_u32 s54, s91, s69
	s_addc_u32 s55, s55, 0
	s_add_u32 s49, s54, s49
	s_addc_u32 s54, 0, s55
	s_add_u32 s48, s48, s49
	s_cselect_b32 s49, -1, 0
	v_mul_hi_u32 v47, v2, s48
	s_cmp_lg_u32 s49, 0
	v_mad_u64_u32 v[41:42], null, v46, s48, 0
	s_addc_u32 s3, s3, s54
	v_mad_u64_u32 v[39:40], null, v2, s3, 0
	v_mad_u64_u32 v[43:44], null, v46, s3, 0
	v_add_co_u32 v39, vcc_lo, v47, v39
	v_add_co_ci_u32_e64 v40, null, 0, v40, vcc_lo
	v_add_co_u32 v39, vcc_lo, v39, v41
	v_add_co_ci_u32_e32 v39, vcc_lo, v40, v42, vcc_lo
	v_add_co_ci_u32_e32 v40, vcc_lo, 0, v44, vcc_lo
	v_add_co_u32 v41, vcc_lo, v39, v43
	v_add_co_ci_u32_e64 v42, null, 0, v40, vcc_lo
	v_mul_lo_u32 v43, s1, v41
	v_mad_u64_u32 v[39:40], null, s0, v41, 0
	v_mul_lo_u32 v44, s0, v42
	v_sub_co_u32 v2, vcc_lo, v2, v39
	v_add3_u32 v40, v40, v44, v43
	v_sub_nc_u32_e32 v43, v46, v40
	v_sub_co_ci_u32_e64 v39, null, v46, v40, vcc_lo
	v_subrev_co_ci_u32_e64 v40, null, s1, v43, vcc_lo
	v_cmp_le_u32_e32 vcc_lo, s0, v2
	v_cndmask_b32_e64 v43, 0, -1, vcc_lo
	v_sub_co_u32 v2, vcc_lo, v2, s0
	v_subrev_co_ci_u32_e64 v40, null, 0, v40, vcc_lo
	v_cmp_le_u32_e32 vcc_lo, s1, v39
	v_cmp_le_u32_e64 s0, s0, v2
	v_cndmask_b32_e64 v44, 0, -1, vcc_lo
	v_cndmask_b32_e64 v2, 0, -1, s0
	v_cmp_le_u32_e64 s0, s1, v40
	v_cmp_eq_u32_e32 vcc_lo, s1, v39
	v_cndmask_b32_e64 v39, 0, -1, s0
	v_add_co_u32 v46, s0, v41, 2
	v_add_co_ci_u32_e64 v47, null, 0, v42, s0
	v_cmp_eq_u32_e64 s0, s1, v40
	v_cndmask_b32_e32 v43, v44, v43, vcc_lo
	v_cndmask_b32_e64 v2, v39, v2, s0
	v_add_co_u32 v39, s0, v41, 1
	v_add_co_ci_u32_e64 v40, null, 0, v42, s0
	v_cmp_ne_u32_e32 vcc_lo, 0, v2
	v_cmp_ne_u32_e64 s0, 0, v43
	v_cndmask_b32_e32 v39, v39, v46, vcc_lo
	v_cndmask_b32_e32 v2, v40, v47, vcc_lo
	v_xor_b32_e32 v40, s2, v45
	v_cndmask_b32_e64 v39, v41, v39, s0
	v_cndmask_b32_e64 v2, v42, v2, s0
	v_xor_b32_e32 v39, v39, v40
	v_xor_b32_e32 v2, v2, v40
	v_sub_co_u32 v39, vcc_lo, v39, v40
	v_sub_co_ci_u32_e64 v40, null, v2, v40, vcc_lo
.LBB3_59:                               ;   in Loop: Header=BB3_5 Depth=1
	s_andn2_saveexec_b32 s0, s96
	s_cbranch_execz .LBB3_61
; %bb.60:                               ;   in Loop: Header=BB3_5 Depth=1
	v_cvt_f32_u32_e32 v2, s50
	s_sub_i32 s1, 0, s50
	v_rcp_iflag_f32_e32 v2, v2
	v_mul_f32_e32 v2, 0x4f7ffffe, v2
	v_cvt_u32_f32_e32 v2, v2
	v_mul_lo_u32 v39, s1, v2
	v_mul_hi_u32 v39, v2, v39
	v_add_nc_u32_e32 v2, v2, v39
	v_mul_hi_u32 v2, v3, v2
	v_mul_lo_u32 v39, v2, s50
	v_add_nc_u32_e32 v40, 1, v2
	v_sub_nc_u32_e32 v39, v3, v39
	v_subrev_nc_u32_e32 v41, s50, v39
	v_cmp_le_u32_e32 vcc_lo, s50, v39
	v_cndmask_b32_e32 v39, v39, v41, vcc_lo
	v_cndmask_b32_e32 v2, v2, v40, vcc_lo
	v_cmp_le_u32_e32 vcc_lo, s50, v39
	v_add_nc_u32_e32 v40, 1, v2
	v_cndmask_b32_e32 v39, v2, v40, vcc_lo
	v_mov_b32_e32 v40, v1
.LBB3_61:                               ;   in Loop: Header=BB3_5 Depth=1
	s_or_b32 exec_lo, exec_lo, s0
	v_readlane_b32 s0, v69, 9
	v_mul_lo_u32 v2, s92, v40
	v_mad_u64_u32 v[41:42], null, s92, v39, v[3:4]
	v_mul_lo_u32 v44, v40, s16
	v_mul_lo_u32 v43, s0, v39
	;; [unrolled: 1-line block ×3, first 2 shown]
	v_mad_u64_u32 v[39:40], null, v39, s16, 0
	v_readlane_b32 s0, v69, 0
	v_readlane_b32 s1, v69, 1
	v_add3_u32 v2, v43, v42, v2
	v_mul_lo_u32 v43, v41, s19
	v_mad_u64_u32 v[41:42], null, v41, s18, 0
	v_add3_u32 v40, v40, v46, v44
	v_mul_lo_u32 v2, v2, s18
	v_lshlrev_b64 v[39:40], 3, v[39:40]
	v_add3_u32 v42, v42, v43, v2
	v_add_co_u32 v2, vcc_lo, s0, v39
	v_add_co_ci_u32_e64 v40, null, s1, v40, vcc_lo
	v_lshlrev_b64 v[41:42], 3, v[41:42]
	s_mov_b32 s0, exec_lo
	v_add_co_u32 v39, vcc_lo, v2, v41
	v_add_co_ci_u32_e64 v40, null, v40, v42, vcc_lo
	v_or_b32_e32 v2, s53, v4
                                        ; implicit-def: $vgpr41_vgpr42
	global_load_dwordx2 v[39:40], v[39:40], off
	v_cmpx_ne_u64_e32 0, v[1:2]
	s_xor_b32 s96, exec_lo, s0
	s_cbranch_execz .LBB3_63
; %bb.62:                               ;   in Loop: Header=BB3_5 Depth=1
	s_ashr_i32 s2, s53, 31
	v_add_co_u32 v42, vcc_lo, v3, v45
	s_add_u32 s0, s52, s2
	s_mov_b32 s3, s2
	s_addc_u32 s1, s53, s2
	v_add_co_ci_u32_e64 v43, null, v4, v45, vcc_lo
	s_xor_b64 s[0:1], s[0:1], s[2:3]
	v_cvt_f32_u32_e32 v2, s0
	v_cvt_f32_u32_e32 v41, s1
	s_sub_u32 s49, 0, s0
	s_subb_u32 s54, 0, s1
	v_xor_b32_e32 v48, v43, v45
	v_fmac_f32_e32 v2, 0x4f800000, v41
	v_rcp_f32_e32 v2, v2
	v_mul_f32_e32 v2, 0x5f7ffffc, v2
	v_mul_f32_e32 v41, 0x2f800000, v2
	v_trunc_f32_e32 v41, v41
	v_fmac_f32_e32 v2, 0xcf800000, v41
	v_cvt_u32_f32_e32 v41, v41
	v_cvt_u32_f32_e32 v2, v2
	v_readfirstlane_b32 s3, v41
	v_readfirstlane_b32 s48, v2
	s_mul_i32 s55, s49, s3
	v_xor_b32_e32 v2, v42, v45
	s_mul_hi_u32 s69, s49, s48
	s_mul_i32 s68, s54, s48
	s_add_i32 s55, s69, s55
	s_mul_i32 s91, s49, s48
	s_add_i32 s55, s55, s68
	s_mul_hi_u32 s69, s48, s91
	s_mul_i32 s99, s48, s55
	s_mul_hi_u32 s93, s3, s91
	s_mul_i32 s68, s3, s91
	s_mul_hi_u32 s91, s48, s55
	s_add_u32 s69, s69, s99
	s_addc_u32 s91, 0, s91
	s_mul_hi_u32 s104, s3, s55
	s_add_u32 s68, s69, s68
	s_mul_i32 s55, s3, s55
	s_addc_u32 s68, s91, s93
	s_addc_u32 s69, s104, 0
	s_add_u32 s55, s68, s55
	s_addc_u32 s68, 0, s69
	s_add_u32 s48, s48, s55
	s_cselect_b32 s55, -1, 0
	s_mul_hi_u32 s69, s49, s48
	s_cmp_lg_u32 s55, 0
	s_mul_i32 s55, s49, s48
	s_addc_u32 s3, s3, s68
	s_mul_i32 s54, s54, s48
	s_mul_i32 s49, s49, s3
	s_mul_hi_u32 s68, s48, s55
	s_add_i32 s49, s69, s49
	s_mul_hi_u32 s69, s3, s55
	s_add_i32 s49, s49, s54
	s_mul_i32 s54, s3, s55
	s_mul_i32 s93, s48, s49
	s_mul_hi_u32 s91, s48, s49
	s_add_u32 s68, s68, s93
	s_addc_u32 s91, 0, s91
	s_mul_hi_u32 s55, s3, s49
	s_add_u32 s54, s68, s54
	s_mul_i32 s49, s3, s49
	s_addc_u32 s54, s91, s69
	s_addc_u32 s55, s55, 0
	s_add_u32 s49, s54, s49
	s_addc_u32 s54, 0, s55
	s_add_u32 s48, s48, s49
	s_cselect_b32 s49, -1, 0
	v_mul_hi_u32 v49, v2, s48
	s_cmp_lg_u32 s49, 0
	v_mad_u64_u32 v[43:44], null, v48, s48, 0
	s_addc_u32 s3, s3, s54
	v_mad_u64_u32 v[41:42], null, v2, s3, 0
	v_mad_u64_u32 v[46:47], null, v48, s3, 0
	v_add_co_u32 v41, vcc_lo, v49, v41
	v_add_co_ci_u32_e64 v42, null, 0, v42, vcc_lo
	v_add_co_u32 v41, vcc_lo, v41, v43
	v_add_co_ci_u32_e32 v41, vcc_lo, v42, v44, vcc_lo
	v_add_co_ci_u32_e32 v42, vcc_lo, 0, v47, vcc_lo
	v_add_co_u32 v43, vcc_lo, v41, v46
	v_add_co_ci_u32_e64 v44, null, 0, v42, vcc_lo
	v_mul_lo_u32 v46, s1, v43
	v_mad_u64_u32 v[41:42], null, s0, v43, 0
	v_mul_lo_u32 v47, s0, v44
	v_sub_co_u32 v2, vcc_lo, v2, v41
	v_add3_u32 v42, v42, v47, v46
	v_sub_nc_u32_e32 v46, v48, v42
	v_sub_co_ci_u32_e64 v41, null, v48, v42, vcc_lo
	v_subrev_co_ci_u32_e64 v42, null, s1, v46, vcc_lo
	v_cmp_le_u32_e32 vcc_lo, s0, v2
	v_cndmask_b32_e64 v46, 0, -1, vcc_lo
	v_sub_co_u32 v2, vcc_lo, v2, s0
	v_subrev_co_ci_u32_e64 v42, null, 0, v42, vcc_lo
	v_cmp_le_u32_e32 vcc_lo, s1, v41
	v_cmp_le_u32_e64 s0, s0, v2
	v_cndmask_b32_e64 v47, 0, -1, vcc_lo
	v_cndmask_b32_e64 v2, 0, -1, s0
	v_cmp_le_u32_e64 s0, s1, v42
	v_cmp_eq_u32_e32 vcc_lo, s1, v41
	v_cndmask_b32_e64 v41, 0, -1, s0
	v_add_co_u32 v48, s0, v43, 2
	v_add_co_ci_u32_e64 v49, null, 0, v44, s0
	v_cmp_eq_u32_e64 s0, s1, v42
	v_cndmask_b32_e32 v46, v47, v46, vcc_lo
	v_cndmask_b32_e64 v2, v41, v2, s0
	v_add_co_u32 v41, s0, v43, 1
	v_add_co_ci_u32_e64 v42, null, 0, v44, s0
	v_cmp_ne_u32_e32 vcc_lo, 0, v2
	v_cmp_ne_u32_e64 s0, 0, v46
	v_cndmask_b32_e32 v41, v41, v48, vcc_lo
	v_cndmask_b32_e32 v2, v42, v49, vcc_lo
	v_xor_b32_e32 v42, s2, v45
	v_cndmask_b32_e64 v41, v43, v41, s0
	v_cndmask_b32_e64 v2, v44, v2, s0
	v_xor_b32_e32 v41, v41, v42
	v_xor_b32_e32 v2, v2, v42
	v_sub_co_u32 v41, vcc_lo, v41, v42
	v_sub_co_ci_u32_e64 v42, null, v2, v42, vcc_lo
.LBB3_63:                               ;   in Loop: Header=BB3_5 Depth=1
	s_andn2_saveexec_b32 s0, s96
	s_cbranch_execz .LBB3_65
; %bb.64:                               ;   in Loop: Header=BB3_5 Depth=1
	v_cvt_f32_u32_e32 v2, s52
	s_sub_i32 s1, 0, s52
	v_rcp_iflag_f32_e32 v2, v2
	v_mul_f32_e32 v2, 0x4f7ffffe, v2
	v_cvt_u32_f32_e32 v2, v2
	v_mul_lo_u32 v41, s1, v2
	v_mul_hi_u32 v41, v2, v41
	v_add_nc_u32_e32 v2, v2, v41
	v_mul_hi_u32 v2, v3, v2
	v_mul_lo_u32 v41, v2, s52
	v_add_nc_u32_e32 v42, 1, v2
	v_sub_nc_u32_e32 v41, v3, v41
	v_subrev_nc_u32_e32 v43, s52, v41
	v_cmp_le_u32_e32 vcc_lo, s52, v41
	v_cndmask_b32_e32 v41, v41, v43, vcc_lo
	v_cndmask_b32_e32 v2, v2, v42, vcc_lo
	v_cmp_le_u32_e32 vcc_lo, s52, v41
	v_add_nc_u32_e32 v42, 1, v2
	v_cndmask_b32_e32 v41, v2, v42, vcc_lo
	v_mov_b32_e32 v42, v1
.LBB3_65:                               ;   in Loop: Header=BB3_5 Depth=1
	s_or_b32 exec_lo, exec_lo, s0
	v_or_b32_e32 v2, s57, v4
                                        ; implicit-def: $vgpr43_vgpr44
	s_mov_b32 s0, exec_lo
	v_cmpx_ne_u64_e32 0, v[1:2]
	s_xor_b32 s96, exec_lo, s0
	s_cbranch_execz .LBB3_67
; %bb.66:                               ;   in Loop: Header=BB3_5 Depth=1
	s_ashr_i32 s2, s57, 31
	v_add_co_u32 v44, vcc_lo, v3, v45
	s_add_u32 s0, s56, s2
	s_mov_b32 s3, s2
	s_addc_u32 s1, s57, s2
	v_add_co_ci_u32_e64 v46, null, v4, v45, vcc_lo
	s_xor_b64 s[0:1], s[0:1], s[2:3]
	v_cvt_f32_u32_e32 v2, s0
	v_cvt_f32_u32_e32 v43, s1
	s_sub_u32 s49, 0, s0
	s_subb_u32 s54, 0, s1
	v_xor_b32_e32 v50, v46, v45
	v_fmac_f32_e32 v2, 0x4f800000, v43
	v_rcp_f32_e32 v2, v2
	v_mul_f32_e32 v2, 0x5f7ffffc, v2
	v_mul_f32_e32 v43, 0x2f800000, v2
	v_trunc_f32_e32 v43, v43
	v_fmac_f32_e32 v2, 0xcf800000, v43
	v_cvt_u32_f32_e32 v43, v43
	v_cvt_u32_f32_e32 v2, v2
	v_readfirstlane_b32 s3, v43
	v_readfirstlane_b32 s48, v2
	s_mul_i32 s55, s49, s3
	v_xor_b32_e32 v2, v44, v45
	s_mul_hi_u32 s69, s49, s48
	s_mul_i32 s68, s54, s48
	s_add_i32 s55, s69, s55
	s_mul_i32 s91, s49, s48
	s_add_i32 s55, s55, s68
	s_mul_hi_u32 s69, s48, s91
	s_mul_i32 s99, s48, s55
	s_mul_hi_u32 s93, s3, s91
	s_mul_i32 s68, s3, s91
	s_mul_hi_u32 s91, s48, s55
	s_add_u32 s69, s69, s99
	s_addc_u32 s91, 0, s91
	s_mul_hi_u32 s104, s3, s55
	s_add_u32 s68, s69, s68
	s_mul_i32 s55, s3, s55
	s_addc_u32 s68, s91, s93
	s_addc_u32 s69, s104, 0
	s_add_u32 s55, s68, s55
	s_addc_u32 s68, 0, s69
	s_add_u32 s48, s48, s55
	s_cselect_b32 s55, -1, 0
	s_mul_hi_u32 s69, s49, s48
	s_cmp_lg_u32 s55, 0
	s_mul_i32 s55, s49, s48
	s_addc_u32 s3, s3, s68
	s_mul_i32 s54, s54, s48
	s_mul_i32 s49, s49, s3
	s_mul_hi_u32 s68, s48, s55
	s_add_i32 s49, s69, s49
	s_mul_hi_u32 s69, s3, s55
	s_add_i32 s49, s49, s54
	s_mul_i32 s54, s3, s55
	s_mul_i32 s93, s48, s49
	s_mul_hi_u32 s91, s48, s49
	s_add_u32 s68, s68, s93
	s_addc_u32 s91, 0, s91
	s_mul_hi_u32 s55, s3, s49
	s_add_u32 s54, s68, s54
	s_mul_i32 s49, s3, s49
	s_addc_u32 s54, s91, s69
	s_addc_u32 s55, s55, 0
	s_add_u32 s49, s54, s49
	s_addc_u32 s54, 0, s55
	s_add_u32 s48, s48, s49
	s_cselect_b32 s49, -1, 0
	v_mul_hi_u32 v51, v2, s48
	s_cmp_lg_u32 s49, 0
	v_mad_u64_u32 v[46:47], null, v50, s48, 0
	s_addc_u32 s3, s3, s54
	v_mad_u64_u32 v[43:44], null, v2, s3, 0
	v_mad_u64_u32 v[48:49], null, v50, s3, 0
	v_add_co_u32 v43, vcc_lo, v51, v43
	v_add_co_ci_u32_e64 v44, null, 0, v44, vcc_lo
	v_add_co_u32 v43, vcc_lo, v43, v46
	v_add_co_ci_u32_e32 v43, vcc_lo, v44, v47, vcc_lo
	v_add_co_ci_u32_e32 v44, vcc_lo, 0, v49, vcc_lo
	v_add_co_u32 v46, vcc_lo, v43, v48
	v_add_co_ci_u32_e64 v47, null, 0, v44, vcc_lo
	v_mul_lo_u32 v48, s1, v46
	v_mad_u64_u32 v[43:44], null, s0, v46, 0
	v_mul_lo_u32 v49, s0, v47
	v_sub_co_u32 v2, vcc_lo, v2, v43
	v_add3_u32 v44, v44, v49, v48
	v_sub_nc_u32_e32 v48, v50, v44
	v_sub_co_ci_u32_e64 v43, null, v50, v44, vcc_lo
	v_subrev_co_ci_u32_e64 v44, null, s1, v48, vcc_lo
	v_cmp_le_u32_e32 vcc_lo, s0, v2
	v_cndmask_b32_e64 v48, 0, -1, vcc_lo
	v_sub_co_u32 v2, vcc_lo, v2, s0
	v_subrev_co_ci_u32_e64 v44, null, 0, v44, vcc_lo
	v_cmp_le_u32_e32 vcc_lo, s1, v43
	v_cmp_le_u32_e64 s0, s0, v2
	v_cndmask_b32_e64 v49, 0, -1, vcc_lo
	v_cndmask_b32_e64 v2, 0, -1, s0
	v_cmp_le_u32_e64 s0, s1, v44
	v_cmp_eq_u32_e32 vcc_lo, s1, v43
	v_cndmask_b32_e64 v43, 0, -1, s0
	v_add_co_u32 v50, s0, v46, 2
	v_add_co_ci_u32_e64 v51, null, 0, v47, s0
	v_cmp_eq_u32_e64 s0, s1, v44
	v_cndmask_b32_e32 v48, v49, v48, vcc_lo
	v_cndmask_b32_e64 v2, v43, v2, s0
	v_add_co_u32 v43, s0, v46, 1
	v_add_co_ci_u32_e64 v44, null, 0, v47, s0
	v_cmp_ne_u32_e32 vcc_lo, 0, v2
	v_cmp_ne_u32_e64 s0, 0, v48
	v_cndmask_b32_e32 v43, v43, v50, vcc_lo
	v_cndmask_b32_e32 v2, v44, v51, vcc_lo
	v_xor_b32_e32 v44, s2, v45
	v_cndmask_b32_e64 v43, v46, v43, s0
	v_cndmask_b32_e64 v2, v47, v2, s0
	v_xor_b32_e32 v43, v43, v44
	v_xor_b32_e32 v2, v2, v44
	v_sub_co_u32 v43, vcc_lo, v43, v44
	v_sub_co_ci_u32_e64 v44, null, v2, v44, vcc_lo
.LBB3_67:                               ;   in Loop: Header=BB3_5 Depth=1
	s_andn2_saveexec_b32 s0, s96
	s_cbranch_execz .LBB3_2
; %bb.68:                               ;   in Loop: Header=BB3_5 Depth=1
	v_cvt_f32_u32_e32 v2, s56
	s_sub_i32 s1, 0, s56
	v_rcp_iflag_f32_e32 v2, v2
	v_mul_f32_e32 v2, 0x4f7ffffe, v2
	v_cvt_u32_f32_e32 v2, v2
	v_mul_lo_u32 v43, s1, v2
	v_mul_hi_u32 v43, v2, v43
	v_add_nc_u32_e32 v2, v2, v43
	v_mul_hi_u32 v2, v3, v2
	v_mul_lo_u32 v43, v2, s56
	v_add_nc_u32_e32 v44, 1, v2
	v_sub_nc_u32_e32 v43, v3, v43
	v_subrev_nc_u32_e32 v45, s56, v43
	v_cmp_le_u32_e32 vcc_lo, s56, v43
	v_cndmask_b32_e32 v43, v43, v45, vcc_lo
	v_cndmask_b32_e32 v2, v2, v44, vcc_lo
	v_cmp_le_u32_e32 vcc_lo, s56, v43
	v_add_nc_u32_e32 v44, 1, v2
	v_cndmask_b32_e32 v43, v2, v44, vcc_lo
	v_mov_b32_e32 v44, v1
	s_branch .LBB3_2
.LBB3_69:                               ;   in Loop: Header=BB3_5 Depth=1
	v_mov_b32_e32 v55, 0
	v_mov_b32_e32 v47, 0
	;; [unrolled: 1-line block ×16, first 2 shown]
	s_branch .LBB3_4
.LBB3_70:
	s_endpgm
	.section	.rodata,"a",@progbits
	.p2align	6, 0x0
	.amdhsa_kernel _ZN2at6native12_GLOBAL__N_16kernel17lstm_cell_forwardIddlLi2EEEvNS_4cuda6detail10TensorInfoIT_T1_EES9_S9_S9_S9_S9_S9_S9_S8_S8_
		.amdhsa_group_segment_fixed_size 0
		.amdhsa_private_segment_fixed_size 0
		.amdhsa_kernarg_size 3600
		.amdhsa_user_sgpr_count 6
		.amdhsa_user_sgpr_private_segment_buffer 1
		.amdhsa_user_sgpr_dispatch_ptr 0
		.amdhsa_user_sgpr_queue_ptr 0
		.amdhsa_user_sgpr_kernarg_segment_ptr 1
		.amdhsa_user_sgpr_dispatch_id 0
		.amdhsa_user_sgpr_flat_scratch_init 0
		.amdhsa_user_sgpr_private_segment_size 0
		.amdhsa_wavefront_size32 1
		.amdhsa_uses_dynamic_stack 0
		.amdhsa_system_sgpr_private_segment_wavefront_offset 0
		.amdhsa_system_sgpr_workgroup_id_x 1
		.amdhsa_system_sgpr_workgroup_id_y 0
		.amdhsa_system_sgpr_workgroup_id_z 0
		.amdhsa_system_sgpr_workgroup_info 0
		.amdhsa_system_vgpr_workitem_id 0
		.amdhsa_next_free_vgpr 70
		.amdhsa_next_free_sgpr 105
		.amdhsa_reserve_vcc 1
		.amdhsa_reserve_flat_scratch 0
		.amdhsa_float_round_mode_32 0
		.amdhsa_float_round_mode_16_64 0
		.amdhsa_float_denorm_mode_32 3
		.amdhsa_float_denorm_mode_16_64 3
		.amdhsa_dx10_clamp 1
		.amdhsa_ieee_mode 1
		.amdhsa_fp16_overflow 0
		.amdhsa_workgroup_processor_mode 1
		.amdhsa_memory_ordered 1
		.amdhsa_forward_progress 1
		.amdhsa_shared_vgpr_count 0
		.amdhsa_exception_fp_ieee_invalid_op 0
		.amdhsa_exception_fp_denorm_src 0
		.amdhsa_exception_fp_ieee_div_zero 0
		.amdhsa_exception_fp_ieee_overflow 0
		.amdhsa_exception_fp_ieee_underflow 0
		.amdhsa_exception_fp_ieee_inexact 0
		.amdhsa_exception_int_div_zero 0
	.end_amdhsa_kernel
	.section	.text._ZN2at6native12_GLOBAL__N_16kernel17lstm_cell_forwardIddlLi2EEEvNS_4cuda6detail10TensorInfoIT_T1_EES9_S9_S9_S9_S9_S9_S9_S8_S8_,"axG",@progbits,_ZN2at6native12_GLOBAL__N_16kernel17lstm_cell_forwardIddlLi2EEEvNS_4cuda6detail10TensorInfoIT_T1_EES9_S9_S9_S9_S9_S9_S9_S8_S8_,comdat
.Lfunc_end3:
	.size	_ZN2at6native12_GLOBAL__N_16kernel17lstm_cell_forwardIddlLi2EEEvNS_4cuda6detail10TensorInfoIT_T1_EES9_S9_S9_S9_S9_S9_S9_S8_S8_, .Lfunc_end3-_ZN2at6native12_GLOBAL__N_16kernel17lstm_cell_forwardIddlLi2EEEvNS_4cuda6detail10TensorInfoIT_T1_EES9_S9_S9_S9_S9_S9_S9_S8_S8_
                                        ; -- End function
	.set _ZN2at6native12_GLOBAL__N_16kernel17lstm_cell_forwardIddlLi2EEEvNS_4cuda6detail10TensorInfoIT_T1_EES9_S9_S9_S9_S9_S9_S9_S8_S8_.num_vgpr, 70
	.set _ZN2at6native12_GLOBAL__N_16kernel17lstm_cell_forwardIddlLi2EEEvNS_4cuda6detail10TensorInfoIT_T1_EES9_S9_S9_S9_S9_S9_S9_S8_S8_.num_agpr, 0
	.set _ZN2at6native12_GLOBAL__N_16kernel17lstm_cell_forwardIddlLi2EEEvNS_4cuda6detail10TensorInfoIT_T1_EES9_S9_S9_S9_S9_S9_S9_S8_S8_.numbered_sgpr, 105
	.set _ZN2at6native12_GLOBAL__N_16kernel17lstm_cell_forwardIddlLi2EEEvNS_4cuda6detail10TensorInfoIT_T1_EES9_S9_S9_S9_S9_S9_S9_S8_S8_.num_named_barrier, 0
	.set _ZN2at6native12_GLOBAL__N_16kernel17lstm_cell_forwardIddlLi2EEEvNS_4cuda6detail10TensorInfoIT_T1_EES9_S9_S9_S9_S9_S9_S9_S8_S8_.private_seg_size, 0
	.set _ZN2at6native12_GLOBAL__N_16kernel17lstm_cell_forwardIddlLi2EEEvNS_4cuda6detail10TensorInfoIT_T1_EES9_S9_S9_S9_S9_S9_S9_S8_S8_.uses_vcc, 1
	.set _ZN2at6native12_GLOBAL__N_16kernel17lstm_cell_forwardIddlLi2EEEvNS_4cuda6detail10TensorInfoIT_T1_EES9_S9_S9_S9_S9_S9_S9_S8_S8_.uses_flat_scratch, 0
	.set _ZN2at6native12_GLOBAL__N_16kernel17lstm_cell_forwardIddlLi2EEEvNS_4cuda6detail10TensorInfoIT_T1_EES9_S9_S9_S9_S9_S9_S9_S8_S8_.has_dyn_sized_stack, 0
	.set _ZN2at6native12_GLOBAL__N_16kernel17lstm_cell_forwardIddlLi2EEEvNS_4cuda6detail10TensorInfoIT_T1_EES9_S9_S9_S9_S9_S9_S9_S8_S8_.has_recursion, 0
	.set _ZN2at6native12_GLOBAL__N_16kernel17lstm_cell_forwardIddlLi2EEEvNS_4cuda6detail10TensorInfoIT_T1_EES9_S9_S9_S9_S9_S9_S9_S8_S8_.has_indirect_call, 0
	.section	.AMDGPU.csdata,"",@progbits
; Kernel info:
; codeLenInByte = 20044
; TotalNumSgprs: 107
; NumVgprs: 70
; ScratchSize: 0
; MemoryBound: 0
; FloatMode: 240
; IeeeMode: 1
; LDSByteSize: 0 bytes/workgroup (compile time only)
; SGPRBlocks: 0
; VGPRBlocks: 8
; NumSGPRsForWavesPerEU: 107
; NumVGPRsForWavesPerEU: 70
; Occupancy: 12
; WaveLimiterHint : 1
; COMPUTE_PGM_RSRC2:SCRATCH_EN: 0
; COMPUTE_PGM_RSRC2:USER_SGPR: 6
; COMPUTE_PGM_RSRC2:TRAP_HANDLER: 0
; COMPUTE_PGM_RSRC2:TGID_X_EN: 1
; COMPUTE_PGM_RSRC2:TGID_Y_EN: 0
; COMPUTE_PGM_RSRC2:TGID_Z_EN: 0
; COMPUTE_PGM_RSRC2:TIDIG_COMP_CNT: 0
	.section	.text._ZN2at6native12_GLOBAL__N_16kernel17lstm_cell_forwardIffiLi1EEEvNS_4cuda6detail10TensorInfoIT_T1_EES9_S9_S9_S9_S9_S9_S9_S8_S8_,"axG",@progbits,_ZN2at6native12_GLOBAL__N_16kernel17lstm_cell_forwardIffiLi1EEEvNS_4cuda6detail10TensorInfoIT_T1_EES9_S9_S9_S9_S9_S9_S9_S8_S8_,comdat
	.globl	_ZN2at6native12_GLOBAL__N_16kernel17lstm_cell_forwardIffiLi1EEEvNS_4cuda6detail10TensorInfoIT_T1_EES9_S9_S9_S9_S9_S9_S9_S8_S8_ ; -- Begin function _ZN2at6native12_GLOBAL__N_16kernel17lstm_cell_forwardIffiLi1EEEvNS_4cuda6detail10TensorInfoIT_T1_EES9_S9_S9_S9_S9_S9_S9_S8_S8_
	.p2align	8
	.type	_ZN2at6native12_GLOBAL__N_16kernel17lstm_cell_forwardIffiLi1EEEvNS_4cuda6detail10TensorInfoIT_T1_EES9_S9_S9_S9_S9_S9_S9_S8_S8_,@function
_ZN2at6native12_GLOBAL__N_16kernel17lstm_cell_forwardIffiLi1EEEvNS_4cuda6detail10TensorInfoIT_T1_EES9_S9_S9_S9_S9_S9_S9_S8_S8_: ; @_ZN2at6native12_GLOBAL__N_16kernel17lstm_cell_forwardIffiLi1EEEvNS_4cuda6detail10TensorInfoIT_T1_EES9_S9_S9_S9_S9_S9_S9_S8_S8_
; %bb.0:
	s_clause 0x1
	s_load_dword s7, s[4:5], 0x6d4
	s_load_dwordx2 s[2:3], s[4:5], 0x6c0
	s_add_u32 s0, s4, 0x6c8
	s_addc_u32 s1, s5, 0
	s_waitcnt lgkmcnt(0)
	s_and_b32 s28, s7, 0xffff
	v_mad_u64_u32 v[0:1], null, s6, s28, v[0:1]
	s_mov_b32 s6, exec_lo
	v_cmpx_gt_i32_e64 s3, v0
	s_cbranch_execz .LBB4_13
; %bb.1:
	s_clause 0x3
	s_load_dwordx2 s[6:7], s[4:5], 0x1b0
	s_load_dword s22, s[4:5], 0x21c
	s_load_dwordx2 s[8:9], s[4:5], 0x288
	s_load_dword s23, s[4:5], 0x2f4
	s_load_dword s0, s[0:1], 0x0
	s_clause 0x8
	s_load_dwordx2 s[10:11], s[4:5], 0x360
	s_load_dword s31, s[4:5], 0x3cc
	s_load_dwordx2 s[12:13], s[4:5], 0x438
	s_load_dword s33, s[4:5], 0x4a4
	s_load_dword s34, s[4:5], 0x57c
	s_load_dwordx2 s[14:15], s[4:5], 0x0
	s_load_dword s1, s[4:5], 0x6c
	s_load_dwordx2 s[16:17], s[4:5], 0xd8
	s_load_dword s26, s[4:5], 0x144
	s_mul_i32 s27, s2, 3
	s_mov_b32 s35, 0xbbbac73d
	s_waitcnt lgkmcnt(0)
	s_cmp_lg_u64 s[6:7], 0
	s_cselect_b32 s24, -1, 0
	s_abs_i32 s25, s2
	v_mul_lo_u32 v3, v0, s33
	v_cvt_f32_u32_e32 v1, s25
	s_sub_i32 s18, 0, s25
	v_mul_lo_u32 v5, v0, s34
	s_mul_i32 s28, s0, s28
	s_ashr_i32 s29, s2, 31
	v_rcp_iflag_f32_e32 v1, v1
	s_sub_i32 s30, 0, s2
	s_mul_i32 s33, s28, s33
	s_mul_i32 s34, s28, s34
	v_mul_f32_e32 v1, 0x4f7ffffe, v1
	v_cvt_u32_f32_e32 v2, v1
	v_mul_lo_u32 v1, s18, v2
	s_clause 0x2
	s_load_dwordx2 s[18:19], s[4:5], 0x510
	s_load_dwordx2 s[20:21], s[4:5], 0x5e8
	s_load_dword s4, s[4:5], 0x654
	s_mov_b32 s5, 0
	v_mul_hi_u32 v4, v2, v1
	v_mul_lo_u32 v1, v0, s31
	s_mul_i32 s31, s28, s31
	v_add_nc_u32_e32 v12, v2, v4
	s_branch .LBB4_3
.LBB4_2:                                ;   in Loop: Header=BB4_3 Depth=1
	s_or_b32 exec_lo, exec_lo, s0
	v_add_f32_e32 v4, v4, v7
	v_bfi_b32 v26, 0x7fffffff, v9, v17
	s_waitcnt lgkmcnt(0)
	v_mul_lo_u32 v20, v6, s4
	v_ashrrev_i32_e32 v6, 31, v5
	v_add_nc_u32_e32 v0, s28, v0
	v_add_f32_e32 v4, v4, v14
	v_mul_lo_u32 v18, v8, s4
	v_add_nc_u32_e32 v1, s31, v1
	v_lshlrev_b64 v[22:23], 2, v[5:6]
	v_add_nc_u32_e32 v5, s34, v5
	v_add_f32_e32 v4, v15, v4
	v_ashrrev_i32_e32 v21, 31, v20
	v_ashrrev_i32_e32 v19, 31, v18
	v_mul_f32_e32 v7, 0xbfb8aa3b, v4
	v_cmp_nlt_f32_e32 vcc_lo, 0x42ce8ed0, v4
	v_lshlrev_b64 v[20:21], 2, v[20:21]
	v_lshlrev_b64 v[18:19], 2, v[18:19]
	v_fma_f32 v14, 0xbfb8aa3b, v4, -v7
	v_rndne_f32_e32 v15, v7
	v_fmac_f32_e32 v14, 0xb2a5705f, v4
	v_sub_f32_e32 v7, v7, v15
	v_add_f32_e32 v7, v7, v14
	v_cvt_i32_f32_e32 v14, v15
	v_exp_f32_e32 v7, v7
	v_ldexp_f32 v7, v7, v14
	v_mul_lo_u32 v14, v2, s4
	v_cndmask_b32_e32 v7, 0, v7, vcc_lo
	v_cmp_ngt_f32_e32 vcc_lo, 0xc2b17218, v4
	v_ashrrev_i32_e32 v15, 31, v14
	v_cndmask_b32_e32 v4, 0x7f800000, v7, vcc_lo
	v_mul_lo_u32 v7, v10, s4
	v_cmp_le_i32_e32 vcc_lo, s3, v0
	v_lshlrev_b64 v[14:15], 2, v[14:15]
	v_add_f32_e32 v24, 1.0, v4
	v_ashrrev_i32_e32 v4, 31, v3
	s_or_b32 s5, vcc_lo, s5
	v_ashrrev_i32_e32 v8, 31, v7
	v_div_scale_f32 v25, null, v24, v24, 1.0
	v_lshlrev_b64 v[9:10], 2, v[3:4]
	v_div_scale_f32 v27, s0, 1.0, v24, 1.0
	v_rcp_f32_e32 v2, v25
	v_add_nc_u32_e32 v3, s33, v3
	v_add_co_u32 v9, vcc_lo, s12, v9
	v_add_co_ci_u32_e64 v10, null, s13, v10, vcc_lo
	v_add_co_u32 v22, vcc_lo, s18, v22
	v_add_co_ci_u32_e64 v23, null, s19, v23, vcc_lo
	v_fma_f32 v4, -v25, v2, 1.0
	v_fmac_f32_e32 v2, v4, v2
	v_mul_f32_e32 v4, v27, v2
	v_fma_f32 v6, -v25, v4, v27
	v_fmac_f32_e32 v4, v6, v2
	v_lshlrev_b64 v[6:7], 2, v[7:8]
	v_fma_f32 v8, -v25, v4, v27
	v_add_co_u32 v6, vcc_lo, s20, v6
	v_add_co_ci_u32_e64 v7, null, s21, v7, vcc_lo
	s_mov_b32 vcc_lo, s0
	v_div_fmas_f32 v2, v8, v2, v4
	v_add_co_u32 v14, vcc_lo, s20, v14
	v_add_co_ci_u32_e64 v15, null, s21, v15, vcc_lo
	v_div_fixup_f32 v2, v2, v24, 1.0
	v_add_co_u32 v18, vcc_lo, s20, v18
	v_add_co_ci_u32_e64 v19, null, s21, v19, vcc_lo
	v_mul_f32_e32 v4, v2, v26
	v_add_co_u32 v20, vcc_lo, s20, v20
	v_add_co_ci_u32_e64 v21, null, s21, v21, vcc_lo
	global_store_dword v[9:10], v4, off
	global_store_dword v[22:23], v17, off
	;; [unrolled: 1-line block ×6, first 2 shown]
	s_andn2_b32 exec_lo, exec_lo, s5
	s_cbranch_execz .LBB4_13
.LBB4_3:                                ; =>This Inner Loop Header: Depth=1
	v_sub_nc_u32_e32 v2, 0, v0
	v_max_i32_e32 v2, v0, v2
	v_mul_hi_u32 v4, v2, v12
	v_mul_lo_u32 v6, v4, s25
	v_sub_nc_u32_e32 v2, v2, v6
	v_add_nc_u32_e32 v6, 1, v4
	v_subrev_nc_u32_e32 v7, s25, v2
	v_cmp_le_u32_e32 vcc_lo, s25, v2
	v_cndmask_b32_e32 v4, v4, v6, vcc_lo
	v_cndmask_b32_e32 v2, v2, v7, vcc_lo
	v_ashrrev_i32_e32 v6, 31, v0
	v_add_nc_u32_e32 v7, 1, v4
	v_cmp_le_u32_e32 vcc_lo, s25, v2
	v_xor_b32_e32 v18, s29, v6
	v_cndmask_b32_e32 v2, v4, v7, vcc_lo
	v_mul_i32_i24_e32 v4, 3, v18
	v_xor_b32_e32 v19, v2, v18
	v_ashrrev_i32_e32 v2, 31, v1
	v_lshl_add_u32 v6, v19, 1, v19
	v_sub_nc_u32_e32 v20, v19, v18
	v_lshlrev_b64 v[13:14], 2, v[1:2]
	v_sub_nc_u32_e32 v4, v6, v4
	v_mad_u64_u32 v[10:11], null, s27, v20, v[0:1]
	v_add_co_u32 v23, vcc_lo, s10, v13
	v_mul_lo_u32 v2, s2, v4
	v_add_nc_u32_e32 v6, 2, v4
	v_add_nc_u32_e32 v4, 3, v4
	v_add_co_ci_u32_e64 v24, null, s11, v14, vcc_lo
	v_mul_lo_u32 v15, v10, s1
	v_mul_lo_u32 v21, v10, s26
	v_mad_u64_u32 v[8:9], null, s2, v6, v[0:1]
	v_add3_u32 v2, v2, s2, v0
	v_mad_u64_u32 v[6:7], null, s2, v4, v[0:1]
	v_ashrrev_i32_e32 v16, 31, v15
	v_mul_lo_u32 v13, v2, s1
	v_ashrrev_i32_e32 v22, 31, v21
	v_mul_lo_u32 v25, v8, s1
	v_mul_lo_u32 v29, v2, s26
	;; [unrolled: 1-line block ×3, first 2 shown]
	v_lshlrev_b64 v[15:16], 2, v[15:16]
	v_lshlrev_b64 v[21:22], 2, v[21:22]
	v_mul_lo_u32 v31, v8, s26
	v_ashrrev_i32_e32 v14, 31, v13
	v_mul_lo_u32 v33, v6, s26
	v_ashrrev_i32_e32 v26, 31, v25
	v_add_co_u32 v15, vcc_lo, s14, v15
	v_ashrrev_i32_e32 v28, 31, v27
	v_add_co_ci_u32_e64 v16, null, s15, v16, vcc_lo
	v_add_co_u32 v35, vcc_lo, s16, v21
	v_lshlrev_b64 v[13:14], 2, v[13:14]
	v_ashrrev_i32_e32 v30, 31, v29
	v_add_co_ci_u32_e64 v36, null, s17, v22, vcc_lo
	v_lshlrev_b64 v[21:22], 2, v[25:26]
	v_ashrrev_i32_e32 v32, 31, v31
	v_lshlrev_b64 v[25:26], 2, v[27:28]
	v_ashrrev_i32_e32 v34, 31, v33
	v_lshlrev_b64 v[27:28], 2, v[29:30]
	v_add_co_u32 v13, vcc_lo, s14, v13
	v_lshlrev_b64 v[29:30], 2, v[31:32]
	v_add_co_ci_u32_e64 v14, null, s15, v14, vcc_lo
	v_add_co_u32 v21, vcc_lo, s14, v21
	v_lshlrev_b64 v[31:32], 2, v[33:34]
	v_add_co_ci_u32_e64 v22, null, s15, v22, vcc_lo
	v_add_co_u32 v25, vcc_lo, s14, v25
	v_add_co_ci_u32_e64 v26, null, s15, v26, vcc_lo
	v_add_co_u32 v27, vcc_lo, s16, v27
	;; [unrolled: 2-line block ×4, first 2 shown]
	v_add_co_ci_u32_e64 v32, null, s17, v32, vcc_lo
	s_clause 0x3
	global_load_dword v16, v[15:16], off
	global_load_dword v11, v[13:14], off
	;; [unrolled: 1-line block ×4, first 2 shown]
	s_clause 0x3
	global_load_dword v17, v[35:36], off
	global_load_dword v13, v[27:28], off
	;; [unrolled: 1-line block ×5, first 2 shown]
	v_mov_b32_e32 v23, 0
	v_mov_b32_e32 v27, 0
	v_mov_b32_e32 v15, 0
	v_mov_b32_e32 v24, 0
	v_mov_b32_e32 v14, 0
	v_mov_b32_e32 v28, 0
	v_mov_b32_e32 v25, 0
	v_mov_b32_e32 v26, 0
	s_andn2_b32 vcc_lo, exec_lo, s24
	s_cbranch_vccnz .LBB4_5
; %bb.4:                                ;   in Loop: Header=BB4_3 Depth=1
	v_sub_nc_u32_e32 v18, v18, v19
	v_mad_u64_u32 v[14:15], null, s30, v20, v[0:1]
	v_mul_lo_u32 v15, s2, v18
	v_add_nc_u32_e32 v19, 2, v18
	v_add_nc_u32_e32 v20, 3, v18
	v_mul_lo_u32 v18, v14, s22
	v_mul_lo_u32 v14, v14, s23
	v_mad_u64_u32 v[23:24], null, s2, v19, v[0:1]
	v_add3_u32 v28, v15, s2, v0
	v_mad_u64_u32 v[24:25], null, s2, v20, v[0:1]
	v_ashrrev_i32_e32 v19, 31, v18
	v_mul_lo_u32 v25, v28, s22
	v_mul_lo_u32 v27, v23, s22
	;; [unrolled: 1-line block ×3, first 2 shown]
	v_ashrrev_i32_e32 v15, 31, v14
	v_mul_lo_u32 v29, v24, s22
	v_lshlrev_b64 v[18:19], 2, v[18:19]
	v_mul_lo_u32 v23, v23, s23
	v_lshlrev_b64 v[14:15], 2, v[14:15]
	v_ashrrev_i32_e32 v26, 31, v25
	v_ashrrev_i32_e32 v28, 31, v27
	v_add_co_u32 v18, vcc_lo, s6, v18
	v_ashrrev_i32_e32 v30, 31, v29
	v_lshlrev_b64 v[25:26], 2, v[25:26]
	v_lshlrev_b64 v[27:28], 2, v[27:28]
	v_add_co_ci_u32_e64 v19, null, s7, v19, vcc_lo
	v_lshlrev_b64 v[29:30], 2, v[29:30]
	v_ashrrev_i32_e32 v32, 31, v31
	v_add_co_u32 v33, vcc_lo, s6, v25
	v_mul_lo_u32 v25, v24, s23
	v_add_co_ci_u32_e64 v34, null, s7, v26, vcc_lo
	v_add_co_u32 v27, vcc_lo, s6, v27
	v_ashrrev_i32_e32 v24, 31, v23
	v_add_co_ci_u32_e64 v28, null, s7, v28, vcc_lo
	v_add_co_u32 v29, vcc_lo, s6, v29
	v_ashrrev_i32_e32 v26, 31, v25
	v_add_co_ci_u32_e64 v30, null, s7, v30, vcc_lo
	v_lshlrev_b64 v[31:32], 2, v[31:32]
	v_add_co_u32 v35, vcc_lo, s8, v14
	v_add_co_ci_u32_e64 v36, null, s9, v15, vcc_lo
	v_lshlrev_b64 v[14:15], 2, v[23:24]
	v_lshlrev_b64 v[23:24], 2, v[25:26]
	v_add_co_u32 v31, vcc_lo, s8, v31
	v_add_co_ci_u32_e64 v32, null, s9, v32, vcc_lo
	v_add_co_u32 v37, vcc_lo, s8, v14
	v_add_co_ci_u32_e64 v38, null, s9, v15, vcc_lo
	;; [unrolled: 2-line block ×3, first 2 shown]
	s_clause 0x3
	global_load_dword v26, v[18:19], off
	global_load_dword v25, v[33:34], off
	;; [unrolled: 1-line block ×4, first 2 shown]
	s_clause 0x3
	global_load_dword v24, v[35:36], off
	global_load_dword v23, v[31:32], off
	;; [unrolled: 1-line block ×4, first 2 shown]
.LBB4_5:                                ;   in Loop: Header=BB4_3 Depth=1
	s_waitcnt vmcnt(2)
	v_add_f32_e32 v18, v21, v22
                                        ; implicit-def: $vgpr19
	v_add_f32_e32 v18, v18, v28
	s_waitcnt vmcnt(1)
	v_add_f32_e32 v18, v27, v18
	v_cmp_ngt_f32_e64 s0, 0x3f200000, |v18|
	s_and_saveexec_b32 s36, s0
	s_xor_b32 s0, exec_lo, s36
	s_cbranch_execz .LBB4_7
; %bb.6:                                ;   in Loop: Header=BB4_3 Depth=1
	v_add_f32_e64 v19, |v18|, |v18|
	v_mul_f32_e32 v20, 0x3fb8aa3b, v19
	v_cmp_ngt_f32_e32 vcc_lo, 0xc2ce8ed0, v19
	v_rndne_f32_e32 v21, v20
	v_fma_f32 v22, 0x3fb8aa3b, v19, -v20
	v_sub_f32_e32 v20, v20, v21
	v_fmac_f32_e32 v22, 0x32a5705f, v19
	v_cvt_i32_f32_e32 v21, v21
	v_add_f32_e32 v20, v20, v22
	v_exp_f32_e32 v20, v20
	v_ldexp_f32 v20, v20, v21
	v_cndmask_b32_e32 v20, 0, v20, vcc_lo
	v_cmp_nlt_f32_e32 vcc_lo, 0x42b17218, v19
	v_cndmask_b32_e32 v19, 0x7f800000, v20, vcc_lo
	v_add_f32_e32 v19, 1.0, v19
	v_rcp_f32_e32 v19, v19
	v_fma_f32 v19, v19, -2.0, 1.0
.LBB4_7:                                ;   in Loop: Header=BB4_3 Depth=1
	s_andn2_saveexec_b32 s0, s0
	s_cbranch_execz .LBB4_9
; %bb.8:                                ;   in Loop: Header=BB4_3 Depth=1
	v_mul_f32_e32 v19, v18, v18
	v_fmaak_f32 v20, s35, v19, 0x3ca908c9
	v_fmaak_f32 v20, v19, v20, 0xbd5c1c4e
	;; [unrolled: 1-line block ×4, first 2 shown]
	v_mul_f32_e64 v20, |v18|, v20
	v_fma_f32 v19, v19, v20, |v18|
.LBB4_9:                                ;   in Loop: Header=BB4_3 Depth=1
	s_or_b32 exec_lo, exec_lo, s0
	v_add_f32_e32 v16, v16, v17
	v_add_f32_e32 v11, v11, v13
	;; [unrolled: 1-line block ×6, first 2 shown]
	v_mul_f32_e32 v16, 0xbfb8aa3b, v13
	v_mul_f32_e32 v17, 0xbfb8aa3b, v11
	v_cmp_nlt_f32_e32 vcc_lo, 0x42ce8ed0, v13
	v_fma_f32 v20, 0xbfb8aa3b, v13, -v16
	v_rndne_f32_e32 v21, v16
	v_fma_f32 v22, 0xbfb8aa3b, v11, -v17
	v_rndne_f32_e32 v23, v17
	v_fmac_f32_e32 v20, 0xb2a5705f, v13
	v_sub_f32_e32 v16, v16, v21
	v_fmac_f32_e32 v22, 0xb2a5705f, v11
	v_sub_f32_e32 v17, v17, v23
	v_add_f32_e32 v16, v16, v20
	v_cvt_i32_f32_e32 v20, v21
	v_add_f32_e32 v17, v17, v22
	v_cvt_i32_f32_e32 v21, v23
	v_exp_f32_e32 v16, v16
	v_exp_f32_e32 v17, v17
	v_ldexp_f32 v16, v16, v20
	v_ldexp_f32 v17, v17, v21
	v_cndmask_b32_e32 v16, 0, v16, vcc_lo
	v_cmp_nlt_f32_e32 vcc_lo, 0x42ce8ed0, v11
	v_cndmask_b32_e32 v17, 0, v17, vcc_lo
	v_cmp_ngt_f32_e32 vcc_lo, 0xc2b17218, v13
	v_cndmask_b32_e32 v13, 0x7f800000, v16, vcc_lo
	v_cmp_ngt_f32_e32 vcc_lo, 0xc2b17218, v11
	v_add_f32_e32 v13, 1.0, v13
	v_cndmask_b32_e32 v11, 0x7f800000, v17, vcc_lo
	v_div_scale_f32 v24, vcc_lo, 1.0, v13, 1.0
	v_add_f32_e32 v16, 1.0, v11
	v_div_scale_f32 v11, null, v13, v13, 1.0
	v_div_scale_f32 v17, null, v16, v16, 1.0
	v_rcp_f32_e32 v20, v11
	v_rcp_f32_e32 v21, v17
	v_fma_f32 v22, -v11, v20, 1.0
	v_fma_f32 v23, -v17, v21, 1.0
	v_fmac_f32_e32 v20, v22, v20
	v_div_scale_f32 v22, s0, 1.0, v16, 1.0
	v_fmac_f32_e32 v21, v23, v21
	v_mul_f32_e32 v23, v24, v20
	v_mul_f32_e32 v25, v22, v21
	v_fma_f32 v26, -v11, v23, v24
	v_fma_f32 v27, -v17, v25, v22
	v_fmac_f32_e32 v23, v26, v20
	v_fmac_f32_e32 v25, v27, v21
	v_fma_f32 v11, -v11, v23, v24
	v_fma_f32 v17, -v17, v25, v22
	v_div_fmas_f32 v11, v11, v20, v23
	s_mov_b32 vcc_lo, s0
	v_div_fmas_f32 v17, v17, v21, v25
	v_div_fixup_f32 v11, v11, v13, 1.0
	v_bfi_b32 v13, 0x7fffffff, v19, v18
	v_div_fixup_f32 v16, v17, v16, 1.0
	v_mul_f32_e32 v17, v11, v13
	s_waitcnt vmcnt(0)
	v_fmac_f32_e32 v17, v9, v16
                                        ; implicit-def: $vgpr9
	v_cmp_ngt_f32_e64 s0, 0x3f200000, |v17|
	s_and_saveexec_b32 s36, s0
	s_xor_b32 s0, exec_lo, s36
	s_cbranch_execz .LBB4_11
; %bb.10:                               ;   in Loop: Header=BB4_3 Depth=1
	v_add_f32_e64 v9, |v17|, |v17|
	v_mul_f32_e32 v18, 0x3fb8aa3b, v9
	v_cmp_ngt_f32_e32 vcc_lo, 0xc2ce8ed0, v9
	v_rndne_f32_e32 v19, v18
	v_fma_f32 v20, 0x3fb8aa3b, v9, -v18
	v_sub_f32_e32 v18, v18, v19
	v_fmac_f32_e32 v20, 0x32a5705f, v9
	v_cvt_i32_f32_e32 v19, v19
	v_add_f32_e32 v18, v18, v20
	v_exp_f32_e32 v18, v18
	v_ldexp_f32 v18, v18, v19
	v_cndmask_b32_e32 v18, 0, v18, vcc_lo
	v_cmp_nlt_f32_e32 vcc_lo, 0x42b17218, v9
	v_cndmask_b32_e32 v9, 0x7f800000, v18, vcc_lo
	v_add_f32_e32 v9, 1.0, v9
	v_rcp_f32_e32 v9, v9
	v_fma_f32 v9, v9, -2.0, 1.0
.LBB4_11:                               ;   in Loop: Header=BB4_3 Depth=1
	s_andn2_saveexec_b32 s0, s0
	s_cbranch_execz .LBB4_2
; %bb.12:                               ;   in Loop: Header=BB4_3 Depth=1
	v_mul_f32_e32 v9, v17, v17
	v_fmaak_f32 v18, s35, v9, 0x3ca908c9
	v_fmaak_f32 v18, v9, v18, 0xbd5c1c4e
	;; [unrolled: 1-line block ×4, first 2 shown]
	v_mul_f32_e64 v18, |v17|, v18
	v_fma_f32 v9, v9, v18, |v17|
	s_branch .LBB4_2
.LBB4_13:
	s_endpgm
	.section	.rodata,"a",@progbits
	.p2align	6, 0x0
	.amdhsa_kernel _ZN2at6native12_GLOBAL__N_16kernel17lstm_cell_forwardIffiLi1EEEvNS_4cuda6detail10TensorInfoIT_T1_EES9_S9_S9_S9_S9_S9_S9_S8_S8_
		.amdhsa_group_segment_fixed_size 0
		.amdhsa_private_segment_fixed_size 0
		.amdhsa_kernarg_size 1992
		.amdhsa_user_sgpr_count 6
		.amdhsa_user_sgpr_private_segment_buffer 1
		.amdhsa_user_sgpr_dispatch_ptr 0
		.amdhsa_user_sgpr_queue_ptr 0
		.amdhsa_user_sgpr_kernarg_segment_ptr 1
		.amdhsa_user_sgpr_dispatch_id 0
		.amdhsa_user_sgpr_flat_scratch_init 0
		.amdhsa_user_sgpr_private_segment_size 0
		.amdhsa_wavefront_size32 1
		.amdhsa_uses_dynamic_stack 0
		.amdhsa_system_sgpr_private_segment_wavefront_offset 0
		.amdhsa_system_sgpr_workgroup_id_x 1
		.amdhsa_system_sgpr_workgroup_id_y 0
		.amdhsa_system_sgpr_workgroup_id_z 0
		.amdhsa_system_sgpr_workgroup_info 0
		.amdhsa_system_vgpr_workitem_id 0
		.amdhsa_next_free_vgpr 41
		.amdhsa_next_free_sgpr 37
		.amdhsa_reserve_vcc 1
		.amdhsa_reserve_flat_scratch 0
		.amdhsa_float_round_mode_32 0
		.amdhsa_float_round_mode_16_64 0
		.amdhsa_float_denorm_mode_32 3
		.amdhsa_float_denorm_mode_16_64 3
		.amdhsa_dx10_clamp 1
		.amdhsa_ieee_mode 1
		.amdhsa_fp16_overflow 0
		.amdhsa_workgroup_processor_mode 1
		.amdhsa_memory_ordered 1
		.amdhsa_forward_progress 1
		.amdhsa_shared_vgpr_count 0
		.amdhsa_exception_fp_ieee_invalid_op 0
		.amdhsa_exception_fp_denorm_src 0
		.amdhsa_exception_fp_ieee_div_zero 0
		.amdhsa_exception_fp_ieee_overflow 0
		.amdhsa_exception_fp_ieee_underflow 0
		.amdhsa_exception_fp_ieee_inexact 0
		.amdhsa_exception_int_div_zero 0
	.end_amdhsa_kernel
	.section	.text._ZN2at6native12_GLOBAL__N_16kernel17lstm_cell_forwardIffiLi1EEEvNS_4cuda6detail10TensorInfoIT_T1_EES9_S9_S9_S9_S9_S9_S9_S8_S8_,"axG",@progbits,_ZN2at6native12_GLOBAL__N_16kernel17lstm_cell_forwardIffiLi1EEEvNS_4cuda6detail10TensorInfoIT_T1_EES9_S9_S9_S9_S9_S9_S9_S8_S8_,comdat
.Lfunc_end4:
	.size	_ZN2at6native12_GLOBAL__N_16kernel17lstm_cell_forwardIffiLi1EEEvNS_4cuda6detail10TensorInfoIT_T1_EES9_S9_S9_S9_S9_S9_S9_S8_S8_, .Lfunc_end4-_ZN2at6native12_GLOBAL__N_16kernel17lstm_cell_forwardIffiLi1EEEvNS_4cuda6detail10TensorInfoIT_T1_EES9_S9_S9_S9_S9_S9_S9_S8_S8_
                                        ; -- End function
	.set _ZN2at6native12_GLOBAL__N_16kernel17lstm_cell_forwardIffiLi1EEEvNS_4cuda6detail10TensorInfoIT_T1_EES9_S9_S9_S9_S9_S9_S9_S8_S8_.num_vgpr, 41
	.set _ZN2at6native12_GLOBAL__N_16kernel17lstm_cell_forwardIffiLi1EEEvNS_4cuda6detail10TensorInfoIT_T1_EES9_S9_S9_S9_S9_S9_S9_S8_S8_.num_agpr, 0
	.set _ZN2at6native12_GLOBAL__N_16kernel17lstm_cell_forwardIffiLi1EEEvNS_4cuda6detail10TensorInfoIT_T1_EES9_S9_S9_S9_S9_S9_S9_S8_S8_.numbered_sgpr, 37
	.set _ZN2at6native12_GLOBAL__N_16kernel17lstm_cell_forwardIffiLi1EEEvNS_4cuda6detail10TensorInfoIT_T1_EES9_S9_S9_S9_S9_S9_S9_S8_S8_.num_named_barrier, 0
	.set _ZN2at6native12_GLOBAL__N_16kernel17lstm_cell_forwardIffiLi1EEEvNS_4cuda6detail10TensorInfoIT_T1_EES9_S9_S9_S9_S9_S9_S9_S8_S8_.private_seg_size, 0
	.set _ZN2at6native12_GLOBAL__N_16kernel17lstm_cell_forwardIffiLi1EEEvNS_4cuda6detail10TensorInfoIT_T1_EES9_S9_S9_S9_S9_S9_S9_S8_S8_.uses_vcc, 1
	.set _ZN2at6native12_GLOBAL__N_16kernel17lstm_cell_forwardIffiLi1EEEvNS_4cuda6detail10TensorInfoIT_T1_EES9_S9_S9_S9_S9_S9_S9_S8_S8_.uses_flat_scratch, 0
	.set _ZN2at6native12_GLOBAL__N_16kernel17lstm_cell_forwardIffiLi1EEEvNS_4cuda6detail10TensorInfoIT_T1_EES9_S9_S9_S9_S9_S9_S9_S8_S8_.has_dyn_sized_stack, 0
	.set _ZN2at6native12_GLOBAL__N_16kernel17lstm_cell_forwardIffiLi1EEEvNS_4cuda6detail10TensorInfoIT_T1_EES9_S9_S9_S9_S9_S9_S9_S8_S8_.has_recursion, 0
	.set _ZN2at6native12_GLOBAL__N_16kernel17lstm_cell_forwardIffiLi1EEEvNS_4cuda6detail10TensorInfoIT_T1_EES9_S9_S9_S9_S9_S9_S9_S8_S8_.has_indirect_call, 0
	.section	.AMDGPU.csdata,"",@progbits
; Kernel info:
; codeLenInByte = 2600
; TotalNumSgprs: 39
; NumVgprs: 41
; ScratchSize: 0
; MemoryBound: 0
; FloatMode: 240
; IeeeMode: 1
; LDSByteSize: 0 bytes/workgroup (compile time only)
; SGPRBlocks: 0
; VGPRBlocks: 5
; NumSGPRsForWavesPerEU: 39
; NumVGPRsForWavesPerEU: 41
; Occupancy: 16
; WaveLimiterHint : 1
; COMPUTE_PGM_RSRC2:SCRATCH_EN: 0
; COMPUTE_PGM_RSRC2:USER_SGPR: 6
; COMPUTE_PGM_RSRC2:TRAP_HANDLER: 0
; COMPUTE_PGM_RSRC2:TGID_X_EN: 1
; COMPUTE_PGM_RSRC2:TGID_Y_EN: 0
; COMPUTE_PGM_RSRC2:TGID_Z_EN: 0
; COMPUTE_PGM_RSRC2:TIDIG_COMP_CNT: 0
	.section	.text._ZN2at6native12_GLOBAL__N_16kernel17lstm_cell_forwardIffiLi2EEEvNS_4cuda6detail10TensorInfoIT_T1_EES9_S9_S9_S9_S9_S9_S9_S8_S8_,"axG",@progbits,_ZN2at6native12_GLOBAL__N_16kernel17lstm_cell_forwardIffiLi2EEEvNS_4cuda6detail10TensorInfoIT_T1_EES9_S9_S9_S9_S9_S9_S9_S8_S8_,comdat
	.globl	_ZN2at6native12_GLOBAL__N_16kernel17lstm_cell_forwardIffiLi2EEEvNS_4cuda6detail10TensorInfoIT_T1_EES9_S9_S9_S9_S9_S9_S9_S8_S8_ ; -- Begin function _ZN2at6native12_GLOBAL__N_16kernel17lstm_cell_forwardIffiLi2EEEvNS_4cuda6detail10TensorInfoIT_T1_EES9_S9_S9_S9_S9_S9_S9_S8_S8_
	.p2align	8
	.type	_ZN2at6native12_GLOBAL__N_16kernel17lstm_cell_forwardIffiLi2EEEvNS_4cuda6detail10TensorInfoIT_T1_EES9_S9_S9_S9_S9_S9_S9_S8_S8_,@function
_ZN2at6native12_GLOBAL__N_16kernel17lstm_cell_forwardIffiLi2EEEvNS_4cuda6detail10TensorInfoIT_T1_EES9_S9_S9_S9_S9_S9_S9_S8_S8_: ; @_ZN2at6native12_GLOBAL__N_16kernel17lstm_cell_forwardIffiLi2EEEvNS_4cuda6detail10TensorInfoIT_T1_EES9_S9_S9_S9_S9_S9_S9_S8_S8_
; %bb.0:
	s_clause 0x1
	s_load_dword s2, s[4:5], 0x6d4
	s_load_dwordx2 s[8:9], s[4:5], 0x6c0
	s_add_u32 s0, s4, 0x6c8
	s_addc_u32 s1, s5, 0
	s_mov_b32 s3, exec_lo
	s_waitcnt lgkmcnt(0)
	s_and_b32 s2, s2, 0xffff
	v_mad_u64_u32 v[0:1], null, s6, s2, v[0:1]
	v_cmpx_gt_i32_e64 s9, v0
	s_cbranch_execz .LBB5_13
; %bb.1:
	s_clause 0x7
	s_load_dwordx2 s[6:7], s[4:5], 0x1b0
	s_load_dwordx2 s[10:11], s[4:5], 0x0
	s_load_dword s3, s[4:5], 0xc
	s_load_dwordx2 s[12:13], s[4:5], 0x6c
	s_load_dwordx2 s[14:15], s[4:5], 0xd8
	s_load_dword s33, s[4:5], 0xe4
	s_load_dwordx2 s[16:17], s[4:5], 0x144
	s_load_dword s36, s[4:5], 0x21c
	s_load_dword s43, s[0:1], 0x0
	s_clause 0xd
	s_load_dwordx2 s[18:19], s[4:5], 0x288
	s_load_dword s37, s[4:5], 0x2f4
	s_load_dwordx2 s[20:21], s[4:5], 0x360
	s_load_dword s0, s[4:5], 0x36c
	s_load_dword s1, s[4:5], 0x444
	;; [unrolled: 1-line block ×4, first 2 shown]
	s_load_dwordx2 s[22:23], s[4:5], 0x3cc
	s_load_dwordx2 s[24:25], s[4:5], 0x438
	;; [unrolled: 1-line block ×7, first 2 shown]
	s_mov_b32 s41, 0
	s_mul_i32 s56, s8, 3
	s_waitcnt lgkmcnt(0)
	s_cmp_lg_u64 s[6:7], 0
	s_mov_b32 s61, 0xbbbac73d
	s_cselect_b32 s39, -1, 0
	s_abs_i32 s40, s8
	s_abs_i32 s42, s3
	v_cvt_f32_u32_e32 v1, s40
	v_cvt_f32_u32_e32 v2, s42
	s_abs_i32 s45, s33
	s_mul_i32 s43, s43, s2
	v_cvt_f32_u32_e32 v3, s45
	v_rcp_iflag_f32_e32 v1, v1
	v_rcp_iflag_f32_e32 v2, v2
	s_sub_i32 s2, 0, s40
	s_abs_i32 s47, s0
	s_abs_i32 s46, s38
	v_rcp_iflag_f32_e32 v3, v3
	s_abs_i32 s48, s1
	s_abs_i32 s49, s60
	v_cvt_f32_u32_e32 v4, s46
	v_cvt_f32_u32_e32 v5, s47
	v_mul_f32_e32 v1, 0x4f7ffffe, v1
	v_cvt_f32_u32_e32 v6, s48
	v_cvt_f32_u32_e32 v8, s49
	v_mul_f32_e32 v2, 0x4f7ffffe, v2
	v_rcp_iflag_f32_e32 v4, v4
	v_cvt_u32_f32_e32 v1, v1
	v_rcp_iflag_f32_e32 v5, v5
	v_rcp_iflag_f32_e32 v6, v6
	;; [unrolled: 1-line block ×3, first 2 shown]
	v_cvt_u32_f32_e32 v2, v2
	v_mul_lo_u32 v7, s2, v1
	v_mul_f32_e32 v3, 0x4f7ffffe, v3
	s_sub_i32 s2, 0, s42
	s_sub_i32 s50, 0, s46
	v_mul_lo_u32 v9, s2, v2
	v_mul_f32_e32 v4, 0x4f7ffffe, v4
	v_cvt_u32_f32_e32 v10, v3
	s_sub_i32 s2, 0, s45
	v_mul_hi_u32 v7, v1, v7
	v_mul_f32_e32 v8, 0x4f7ffffe, v8
	v_cvt_u32_f32_e32 v11, v4
	s_ashr_i32 s44, s8, 31
	v_mul_hi_u32 v4, v2, v9
	s_ashr_i32 s51, s33, 31
	v_cvt_u32_f32_e32 v12, v8
	s_ashr_i32 s52, s38, 31
	v_add_nc_u32_e32 v3, v1, v7
	v_mul_f32_e32 v1, 0x4f7ffffe, v5
	v_mul_f32_e32 v5, 0x4f7ffffe, v6
	v_mul_lo_u32 v6, s2, v10
	s_sub_i32 s2, 0, s47
	v_mul_lo_u32 v7, s50, v11
	v_cvt_u32_f32_e32 v1, v1
	v_cvt_u32_f32_e32 v9, v5
	s_sub_i32 s50, 0, s48
	v_add_nc_u32_e32 v4, v2, v4
	s_ashr_i32 s53, s0, 31
	v_mul_lo_u32 v5, s2, v1
	s_sub_i32 s2, 0, s49
	v_mul_lo_u32 v8, s50, v9
	v_mul_hi_u32 v6, v10, v6
	v_mul_lo_u32 v13, s2, v12
	v_mul_hi_u32 v7, v11, v7
	s_ashr_i32 s50, s3, 31
	s_ashr_i32 s54, s1, 31
	v_mul_hi_u32 v2, v1, v5
	s_ashr_i32 s55, s60, 31
	v_mul_hi_u32 v8, v9, v8
	v_add_nc_u32_e32 v5, v10, v6
	v_mul_hi_u32 v10, v12, v13
	v_add_nc_u32_e32 v6, v11, v7
	s_sub_i32 s57, 0, s8
	s_sub_i32 s58, 0, s0
	v_add_nc_u32_e32 v7, v1, v2
	s_sub_i32 s59, 0, s1
	v_add_nc_u32_e32 v8, v9, v8
	;; [unrolled: 2-line block ×3, first 2 shown]
	s_branch .LBB5_3
.LBB5_2:                                ;   in Loop: Header=BB5_3 Depth=1
	s_or_b32 exec_lo, exec_lo, s0
	v_add_f32_e32 v26, v26, v27
	v_mul_hi_u32 v27, v14, v6
	v_mul_hi_u32 v31, v17, v6
	;; [unrolled: 1-line block ×3, first 2 shown]
	v_xor_b32_e32 v21, s52, v21
	v_add_f32_e32 v26, v26, v30
	v_mul_hi_u32 v30, v15, v6
	v_xor_b32_e32 v19, s52, v19
	v_xor_b32_e32 v20, s52, v20
	v_mul_lo_u32 v36, v27, s46
	v_add_f32_e32 v26, v29, v26
	v_add_nc_u32_e32 v37, 1, v27
	v_mul_lo_u32 v42, v31, s46
	v_mul_hi_u32 v29, v16, v6
	v_mul_lo_u32 v38, v30, s46
	v_mul_f32_e32 v34, 0xbfb8aa3b, v26
	v_cmp_ngt_f32_e64 s2, 0xc2b17218, v26
	v_sub_nc_u32_e32 v14, v14, v36
	v_add_nc_u32_e32 v41, 1, v30
	v_add_nc_u32_e32 v43, 1, v31
	v_fma_f32 v39, 0xbfb8aa3b, v26, -v34
	v_rndne_f32_e32 v40, v34
	v_cmp_le_u32_e32 vcc_lo, s46, v14
	v_sub_nc_u32_e32 v15, v15, v38
	v_subrev_nc_u32_e32 v38, s46, v14
	v_fmac_f32_e32 v39, 0xb2a5705f, v26
	v_sub_f32_e32 v34, v34, v40
	v_cndmask_b32_e32 v27, v27, v37, vcc_lo
	v_cvt_i32_f32_e32 v37, v40
	v_cndmask_b32_e32 v14, v14, v38, vcc_lo
	v_cmp_nlt_f32_e32 vcc_lo, 0x42ce8ed0, v26
	v_add_f32_e32 v34, v34, v39
	v_sub_nc_u32_e32 v17, v17, v42
	v_cmp_le_u32_e64 s0, s46, v15
	v_subrev_nc_u32_e32 v40, s46, v15
	v_add_nc_u32_e32 v38, 1, v27
	v_exp_f32_e32 v34, v34
	v_cmp_le_u32_e64 s1, s46, v17
	v_cndmask_b32_e64 v30, v30, v41, s0
	v_cndmask_b32_e64 v15, v15, v40, s0
	v_mul_lo_u32 v44, v29, s46
	v_mul_lo_u32 v46, v33, s48
	v_cndmask_b32_e64 v31, v31, v43, s1
	v_add_nc_u32_e32 v45, 1, v29
	v_cmp_le_u32_e64 s0, s46, v15
	v_add_nc_u32_e32 v47, 1, v33
	v_ldexp_f32 v34, v34, v37
	v_subrev_nc_u32_e32 v37, s46, v17
	v_sub_nc_u32_e32 v16, v16, v44
	v_sub_nc_u32_e32 v36, v11, v46
	v_mul_hi_u32 v35, v11, v9
	v_cndmask_b32_e32 v34, 0, v34, vcc_lo
	v_cndmask_b32_e64 v17, v17, v37, s1
	v_cmp_le_u32_e32 vcc_lo, s46, v16
	v_xor_b32_e32 v18, s52, v18
	v_xor_b32_e32 v32, s54, v10
	v_cndmask_b32_e64 v26, 0x7f800000, v34, s2
	v_cmp_le_u32_e64 s2, s46, v14
	v_add_nc_u32_e32 v34, 1, v30
	v_cndmask_b32_e32 v29, v29, v45, vcc_lo
	v_mul_lo_u32 v39, v35, s49
	v_add_f32_e32 v26, 1.0, v26
	v_cndmask_b32_e64 v14, v27, v38, s2
	v_add_nc_u32_e32 v38, 1, v31
	v_cndmask_b32_e64 v15, v30, v34, s0
	v_cmp_le_u32_e64 s0, s46, v17
	v_div_scale_f32 v37, null, v26, v26, 1.0
	v_xor_b32_e32 v14, v14, v21
	v_subrev_nc_u32_e32 v27, s46, v16
	v_cndmask_b32_e64 v17, v31, v38, s0
	v_cmp_le_u32_e64 s0, s48, v36
	v_xor_b32_e32 v15, v15, v19
	v_sub_nc_u32_e32 v14, v14, v21
	v_rcp_f32_e32 v21, v37
	v_cndmask_b32_e32 v16, v16, v27, vcc_lo
	v_cndmask_b32_e64 v31, v33, v47, s0
	v_add_nc_u32_e32 v27, 1, v29
	v_mul_lo_u32 v30, v14, s38
	v_sub_nc_u32_e32 v19, v15, v19
	v_div_scale_f32 v15, vcc_lo, 1.0, v26, 1.0
	v_cmp_le_u32_e64 s1, s46, v16
	v_xor_b32_e32 v17, v17, v20
	v_fma_f32 v33, -v37, v21, 1.0
	v_sub_nc_u32_e32 v11, v11, v39
	v_sub_nc_u32_e32 v12, v12, v30
	v_cndmask_b32_e64 v16, v29, v27, s1
	v_sub_nc_u32_e32 v17, v17, v20
	v_fmac_f32_e32 v21, v33, v21
	v_mul_lo_u32 v20, v19, s38
	v_add_nc_u32_e32 v12, v0, v12
	v_subrev_nc_u32_e32 v29, s48, v36
	v_mul_lo_u32 v30, v17, s38
	v_mul_f32_e32 v27, v15, v21
	v_xor_b32_e32 v16, v16, v18
	v_mul_lo_u32 v12, v12, s5
	v_sub_nc_u32_e32 v1, v1, v20
	v_fma_f32 v33, -v37, v27, v15
	v_cndmask_b32_e64 v20, v36, v29, s0
	v_sub_nc_u32_e32 v29, v16, v18
	v_sub_nc_u32_e32 v16, v13, v30
	v_add_nc_u32_e32 v1, v0, v1
	v_fmac_f32_e32 v27, v33, v21
	v_mad_u64_u32 v[12:13], null, v14, s4, v[12:13]
	v_add_nc_u32_e32 v14, 1, v31
	v_cmp_le_u32_e64 s0, s48, v20
	v_fma_f32 v13, -v37, v27, v15
	v_add_nc_u32_e32 v15, 1, v35
	v_mul_lo_u32 v1, v1, s5
	v_mul_lo_u32 v20, v29, s38
	v_cndmask_b32_e64 v14, v31, v14, s0
	v_div_fmas_f32 v18, v13, v21, v27
	v_subrev_nc_u32_e32 v13, s49, v11
	v_cmp_le_u32_e32 vcc_lo, s49, v11
	v_xor_b32_e32 v21, s55, v10
	v_xor_b32_e32 v14, v14, v32
	v_add_nc_u32_e32 v16, v0, v16
	v_cndmask_b32_e32 v15, v35, v15, vcc_lo
	v_cndmask_b32_e32 v11, v11, v13, vcc_lo
	v_sub_nc_u32_e32 v27, v14, v32
	v_mul_lo_u32 v10, v16, s5
	v_add_nc_u32_e32 v13, 1, v15
	v_cmp_le_u32_e32 vcc_lo, s49, v11
	v_cndmask_b32_e32 v11, v15, v13, vcc_lo
	v_mad_u64_u32 v[14:15], null, s59, v27, v[0:1]
	v_sub_nc_u32_e32 v15, v2, v20
	v_mad_u64_u32 v[1:2], null, v19, s4, v[1:2]
	v_xor_b32_e32 v11, v11, v21
	v_ashrrev_i32_e32 v13, 31, v12
	v_mul_lo_u32 v14, v14, s27
	v_sub_nc_u32_e32 v19, v11, v21
	v_mad_u64_u32 v[10:11], null, v17, s4, v[10:11]
	v_add_nc_u32_e32 v17, v0, v15
	v_div_fixup_f32 v21, v18, v26, 1.0
	v_mad_u64_u32 v[15:16], null, s60, v19, v[0:1]
	v_ashrrev_i32_e32 v2, 31, v1
	v_mul_lo_u32 v16, v17, s5
	v_ashrrev_i32_e32 v11, 31, v10
	v_lshlrev_b64 v[12:13], 2, v[12:13]
	v_add_nc_u32_e32 v0, s43, v0
	v_lshlrev_b64 v[1:2], 2, v[1:2]
	v_mad_u64_u32 v[17:18], null, v27, s26, v[14:15]
	v_mul_lo_u32 v14, v15, s31
	v_lshlrev_b64 v[10:11], 2, v[10:11]
	v_add_co_u32 v12, vcc_lo, s34, v12
	v_add_co_ci_u32_e64 v13, null, s35, v13, vcc_lo
	v_mad_u64_u32 v[15:16], null, v29, s4, v[16:17]
	v_ashrrev_i32_e32 v18, 31, v17
	v_add_co_u32 v1, vcc_lo, s34, v1
	v_add_co_ci_u32_e64 v2, null, s35, v2, vcc_lo
	v_lshlrev_b64 v[17:18], 2, v[17:18]
	v_mad_u64_u32 v[19:20], null, v19, s30, v[14:15]
	v_ashrrev_i32_e32 v16, 31, v15
	v_add_co_u32 v10, vcc_lo, s34, v10
	v_add_co_ci_u32_e64 v11, null, s35, v11, vcc_lo
	v_lshlrev_b64 v[14:15], 2, v[15:16]
	v_ashrrev_i32_e32 v20, 31, v19
	v_add_co_u32 v16, vcc_lo, s24, v17
	v_add_co_ci_u32_e64 v17, null, s25, v18, vcc_lo
	v_lshlrev_b64 v[19:20], 2, v[19:20]
	v_bfi_b32 v26, 0x7fffffff, v28, v25
	v_add_co_u32 v18, vcc_lo, s28, v19
	v_add_co_ci_u32_e64 v19, null, s29, v20, vcc_lo
	v_add_co_u32 v14, vcc_lo, s34, v14
	v_add_co_ci_u32_e64 v15, null, s35, v15, vcc_lo
	v_cmp_le_i32_e32 vcc_lo, s9, v0
	v_mul_f32_e32 v20, v21, v26
	global_store_dword v[16:17], v20, off
	global_store_dword v[18:19], v25, off
	;; [unrolled: 1-line block ×4, first 2 shown]
	s_or_b32 s41, vcc_lo, s41
	global_store_dword v[10:11], v22, off
	global_store_dword v[14:15], v21, off
	s_andn2_b32 exec_lo, exec_lo, s41
	s_cbranch_execz .LBB5_13
.LBB5_3:                                ; =>This Inner Loop Header: Depth=1
	v_sub_nc_u32_e32 v1, 0, v0
	v_max_i32_e32 v11, v0, v1
	v_mul_hi_u32 v1, v11, v3
	v_mul_lo_u32 v2, v1, s40
	v_add_nc_u32_e32 v10, 1, v1
	v_sub_nc_u32_e32 v2, v11, v2
	v_subrev_nc_u32_e32 v12, s40, v2
	v_cmp_le_u32_e32 vcc_lo, s40, v2
	v_cndmask_b32_e32 v1, v1, v10, vcc_lo
	v_cndmask_b32_e32 v2, v2, v12, vcc_lo
	v_ashrrev_i32_e32 v10, 31, v0
	v_add_nc_u32_e32 v12, 1, v1
	v_cmp_le_u32_e32 vcc_lo, s40, v2
	v_xor_b32_e32 v22, s44, v10
	v_cndmask_b32_e32 v1, v1, v12, vcc_lo
	v_xor_b32_e32 v23, v1, v22
	v_mul_i32_i24_e32 v1, 3, v22
	v_sub_nc_u32_e32 v24, v23, v22
	v_lshl_add_u32 v2, v23, 1, v23
	v_mul_lo_u32 v12, s56, v24
	v_sub_nc_u32_e32 v13, v2, v1
	v_mad_u64_u32 v[1:2], null, s8, v13, s[8:9]
	v_add_nc_u32_e32 v14, v0, v12
	v_add_nc_u32_e32 v2, 2, v13
	;; [unrolled: 1-line block ×3, first 2 shown]
	v_ashrrev_i32_e32 v21, 31, v14
	v_mul_lo_u32 v13, s8, v2
	v_mul_lo_u32 v2, s8, v15
	v_add_nc_u32_e32 v14, v0, v1
	v_add3_u32 v15, v21, v12, v0
	v_xor_b32_e32 v25, s50, v21
	v_xor_b32_e32 v27, s51, v21
	v_ashrrev_i32_e32 v19, 31, v14
	v_add_nc_u32_e32 v16, v0, v13
	v_xor_b32_e32 v14, v15, v21
	v_add_nc_u32_e32 v17, v0, v2
	v_add3_u32 v15, v19, v1, v0
	v_ashrrev_i32_e32 v20, 31, v16
	v_mul_hi_u32 v28, v14, v4
	v_mul_hi_u32 v32, v14, v5
	v_ashrrev_i32_e32 v18, 31, v17
	v_xor_b32_e32 v15, v15, v19
	v_add3_u32 v16, v20, v13, v0
	v_xor_b32_e32 v26, s50, v19
	v_xor_b32_e32 v29, s50, v20
	v_add3_u32 v31, v18, v2, v0
	v_mul_lo_u32 v34, v28, s42
	v_mul_hi_u32 v33, v15, v4
	v_mul_lo_u32 v38, v32, s45
	v_xor_b32_e32 v17, v16, v20
	v_add_nc_u32_e32 v37, 1, v28
	v_xor_b32_e32 v16, v31, v18
	v_add_nc_u32_e32 v39, 1, v32
	v_mul_hi_u32 v31, v15, v5
	v_sub_nc_u32_e32 v34, v14, v34
	v_mul_lo_u32 v44, v33, s42
	v_sub_nc_u32_e32 v38, v14, v38
	v_mul_hi_u32 v40, v17, v4
	v_mul_hi_u32 v41, v16, v4
	v_cmp_le_u32_e32 vcc_lo, s42, v34
	v_add_nc_u32_e32 v45, 1, v33
	v_cmp_le_u32_e64 s0, s45, v38
	v_mul_hi_u32 v42, v17, v5
	v_sub_nc_u32_e32 v44, v15, v44
	v_cndmask_b32_e32 v28, v28, v37, vcc_lo
	v_subrev_nc_u32_e32 v37, s42, v34
	v_cndmask_b32_e64 v32, v32, v39, s0
	v_subrev_nc_u32_e32 v39, s45, v38
	v_mul_lo_u32 v48, v40, s42
	v_mul_lo_u32 v50, v41, s42
	v_cndmask_b32_e32 v34, v34, v37, vcc_lo
	v_cmp_le_u32_e32 vcc_lo, s42, v44
	v_cndmask_b32_e64 v38, v38, v39, s0
	v_add_nc_u32_e32 v37, 1, v28
	v_add_nc_u32_e32 v39, 1, v32
	v_cmp_le_u32_e64 s1, s42, v34
	v_cndmask_b32_e32 v33, v33, v45, vcc_lo
	v_subrev_nc_u32_e32 v45, s42, v44
	v_sub_nc_u32_e32 v48, v17, v48
	v_cmp_le_u32_e64 s2, s45, v38
	v_add_nc_u32_e32 v49, 1, v40
	v_sub_nc_u32_e32 v50, v16, v50
	v_cndmask_b32_e32 v34, v44, v45, vcc_lo
	v_cndmask_b32_e64 v28, v28, v37, s1
	v_add_nc_u32_e32 v37, 1, v33
	v_cmp_le_u32_e32 vcc_lo, s42, v48
	v_subrev_nc_u32_e32 v44, s42, v48
	v_cndmask_b32_e64 v32, v32, v39, s2
	v_cmp_le_u32_e64 s2, s42, v34
	v_add_nc_u32_e32 v51, 1, v41
	v_cndmask_b32_e32 v40, v40, v49, vcc_lo
	v_cmp_le_u32_e64 s1, s42, v50
	v_subrev_nc_u32_e32 v45, s42, v50
	v_xor_b32_e32 v28, v28, v25
	v_cndmask_b32_e64 v33, v33, v37, s2
	v_cndmask_b32_e32 v34, v48, v44, vcc_lo
	v_mul_lo_u32 v46, v31, s45
	v_cndmask_b32_e64 v41, v41, v51, s1
	v_add_nc_u32_e32 v37, 1, v40
	v_cndmask_b32_e64 v38, v50, v45, s1
	v_sub_nc_u32_e32 v28, v28, v25
	v_xor_b32_e32 v25, v33, v26
	v_cmp_le_u32_e32 vcc_lo, s42, v34
	v_add_nc_u32_e32 v39, 1, v41
	v_mul_lo_u32 v52, v42, s45
	v_sub_nc_u32_e32 v46, v15, v46
	v_xor_b32_e32 v30, s50, v18
	v_cndmask_b32_e32 v33, v40, v37, vcc_lo
	v_cmp_le_u32_e32 vcc_lo, s42, v38
	v_sub_nc_u32_e32 v38, v25, v26
	v_mul_lo_u32 v37, v28, s3
	v_add_nc_u32_e32 v47, 1, v31
	v_cmp_le_u32_e64 s0, s45, v46
	v_cndmask_b32_e32 v34, v41, v39, vcc_lo
	v_mul_lo_u32 v39, v38, s3
	v_xor_b32_e32 v25, v33, v29
	v_sub_nc_u32_e32 v52, v17, v52
	v_cndmask_b32_e64 v31, v31, v47, s0
	v_xor_b32_e32 v34, v34, v30
	v_subrev_nc_u32_e32 v47, s45, v46
	v_sub_nc_u32_e32 v40, v25, v29
	v_sub_nc_u32_e32 v25, v12, v37
	;; [unrolled: 1-line block ×3, first 2 shown]
	v_add_nc_u32_e32 v53, 1, v42
	v_cmp_le_u32_e32 vcc_lo, s45, v52
	v_sub_nc_u32_e32 v34, v34, v30
	v_cndmask_b32_e64 v26, v46, v47, s0
	v_add_nc_u32_e32 v25, v0, v25
	v_add_nc_u32_e32 v39, v0, v39
	v_cndmask_b32_e32 v37, v42, v53, vcc_lo
	v_mul_lo_u32 v30, v40, s3
	v_mul_lo_u32 v42, v34, s3
	;; [unrolled: 1-line block ×3, first 2 shown]
	v_cmp_le_u32_e64 s0, s45, v26
	v_mul_lo_u32 v26, v39, s13
	v_subrev_nc_u32_e32 v29, s45, v52
	v_xor_b32_e32 v32, v32, v27
	v_add_nc_u32_e32 v33, 1, v31
	v_sub_nc_u32_e32 v30, v13, v30
	v_mul_hi_u32 v43, v16, v5
	v_cndmask_b32_e32 v44, v52, v29, vcc_lo
	v_sub_nc_u32_e32 v29, v2, v42
	v_sub_nc_u32_e32 v39, v32, v27
	v_mad_u64_u32 v[27:28], null, v28, s12, v[25:26]
	v_add_nc_u32_e32 v30, v0, v30
	v_add_nc_u32_e32 v28, v0, v29
	v_cndmask_b32_e64 v33, v31, v33, s0
	v_mul_lo_u32 v54, v43, s45
	v_xor_b32_e32 v35, s51, v19
	v_mul_lo_u32 v25, v30, s13
	v_mad_u64_u32 v[29:30], null, v38, s12, v[26:27]
	v_mul_lo_u32 v26, v28, s13
	v_ashrrev_i32_e32 v28, 31, v27
	v_add_nc_u32_e32 v42, 1, v37
	v_sub_nc_u32_e32 v54, v16, v54
	v_cmp_le_u32_e64 s0, s45, v44
	v_add_nc_u32_e32 v55, 1, v43
	v_ashrrev_i32_e32 v30, 31, v29
	v_lshlrev_b64 v[27:28], 2, v[27:28]
	v_mad_u64_u32 v[31:32], null, v40, s12, v[25:26]
	v_xor_b32_e32 v40, v33, v35
	v_lshlrev_b64 v[29:30], 2, v[29:30]
	v_subrev_nc_u32_e32 v41, s45, v54
	v_mad_u64_u32 v[25:26], null, v34, s12, v[26:27]
	v_add_co_u32 v27, vcc_lo, s10, v27
	v_ashrrev_i32_e32 v32, 31, v31
	v_add_co_ci_u32_e64 v28, null, s11, v28, vcc_lo
	v_add_co_u32 v29, vcc_lo, s10, v29
	v_lshlrev_b64 v[31:32], 2, v[31:32]
	v_add_co_ci_u32_e64 v30, null, s11, v30, vcc_lo
	v_xor_b32_e32 v36, s51, v20
	v_mul_lo_u32 v38, v39, s33
	v_add_co_u32 v33, vcc_lo, s10, v31
	v_add_co_ci_u32_e64 v34, null, s11, v32, vcc_lo
	v_cmp_le_u32_e32 vcc_lo, s45, v54
	v_cndmask_b32_e64 v31, v37, v42, s0
	v_sub_nc_u32_e32 v32, v40, v35
	v_mul_hi_u32 v40, v11, v7
	v_sub_nc_u32_e32 v38, v12, v38
	v_cndmask_b32_e32 v26, v43, v55, vcc_lo
	v_cndmask_b32_e32 v35, v54, v41, vcc_lo
	v_xor_b32_e32 v31, v31, v36
	v_mul_lo_u32 v41, v32, s33
	v_xor_b32_e32 v42, s51, v18
	v_add_nc_u32_e32 v37, 1, v26
	v_cmp_le_u32_e32 vcc_lo, s45, v35
	v_sub_nc_u32_e32 v43, v31, v36
	v_mul_lo_u32 v36, v40, s47
	v_add_nc_u32_e32 v31, v0, v38
	v_cndmask_b32_e32 v35, v26, v37, vcc_lo
	v_sub_nc_u32_e32 v38, v1, v41
	v_mul_lo_u32 v37, v43, s33
	v_mul_lo_u32 v31, v31, s17
	v_ashrrev_i32_e32 v26, 31, v25
	v_xor_b32_e32 v35, v35, v42
	v_sub_nc_u32_e32 v41, v11, v36
	v_add_nc_u32_e32 v38, v0, v38
	v_lshlrev_b64 v[25:26], 2, v[25:26]
	v_sub_nc_u32_e32 v45, v35, v42
	v_add_nc_u32_e32 v35, 1, v40
	v_cmp_le_u32_e32 vcc_lo, s47, v41
	v_subrev_nc_u32_e32 v44, s47, v41
	v_sub_nc_u32_e32 v37, v13, v37
	v_mul_lo_u32 v42, v45, s33
	v_cndmask_b32_e32 v40, v40, v35, vcc_lo
	v_mad_u64_u32 v[35:36], null, v39, s16, v[31:32]
	v_cndmask_b32_e32 v36, v41, v44, vcc_lo
	v_mul_lo_u32 v31, v38, s17
	v_add_nc_u32_e32 v38, 1, v40
	v_add_nc_u32_e32 v39, v0, v37
	v_sub_nc_u32_e32 v41, v2, v42
	v_cmp_le_u32_e32 vcc_lo, s47, v36
	v_xor_b32_e32 v42, s53, v10
	v_add_nc_u32_e32 v44, v0, v41
	v_cndmask_b32_e32 v36, v40, v38, vcc_lo
	v_add_co_u32 v37, vcc_lo, s10, v25
	v_mul_lo_u32 v25, v39, s17
	v_add_co_ci_u32_e64 v38, null, s11, v26, vcc_lo
	v_xor_b32_e32 v26, v36, v42
	v_mad_u64_u32 v[39:40], null, v32, s16, v[31:32]
	v_mul_lo_u32 v31, v44, s17
	v_ashrrev_i32_e32 v36, 31, v35
	v_sub_nc_u32_e32 v46, v26, v42
	v_mad_u64_u32 v[41:42], null, v43, s16, v[25:26]
	s_clause 0x3
	global_load_dword v32, v[27:28], off
	global_load_dword v25, v[29:30], off
	;; [unrolled: 1-line block ×4, first 2 shown]
	v_ashrrev_i32_e32 v40, 31, v39
	v_mad_u64_u32 v[43:44], null, s58, v46, v[0:1]
	v_lshlrev_b64 v[27:28], 2, v[35:36]
	v_ashrrev_i32_e32 v42, 31, v41
	v_lshlrev_b64 v[35:36], 2, v[39:40]
	v_mul_lo_u32 v29, v43, s23
	v_lshlrev_b64 v[39:40], 2, v[41:42]
	v_add_co_u32 v27, vcc_lo, s14, v27
	v_add_co_ci_u32_e64 v28, null, s15, v28, vcc_lo
	v_add_co_u32 v35, vcc_lo, s14, v35
	v_add_co_ci_u32_e64 v36, null, s15, v36, vcc_lo
	;; [unrolled: 2-line block ×3, first 2 shown]
	v_mov_b32_e32 v41, 0
	s_waitcnt vmcnt(3)
	v_mad_u64_u32 v[30:31], null, v45, s16, v[31:32]
	v_mad_u64_u32 v[37:38], null, v46, s22, v[29:30]
	v_ashrrev_i32_e32 v31, 31, v30
	v_lshlrev_b64 v[29:30], 2, v[30:31]
	v_ashrrev_i32_e32 v38, 31, v37
	v_lshlrev_b64 v[37:38], 2, v[37:38]
	v_add_co_u32 v29, vcc_lo, s14, v29
	v_add_co_ci_u32_e64 v30, null, s15, v30, vcc_lo
	v_add_co_u32 v37, vcc_lo, s20, v37
	v_add_co_ci_u32_e64 v38, null, s21, v38, vcc_lo
	s_clause 0x3
	global_load_dword v33, v[27:28], off
	global_load_dword v31, v[35:36], off
	;; [unrolled: 1-line block ×5, first 2 shown]
	v_mov_b32_e32 v36, 0
	v_mov_b32_e32 v40, 0
	;; [unrolled: 1-line block ×7, first 2 shown]
	s_andn2_b32 vcc_lo, exec_lo, s39
	s_cbranch_vccnz .LBB5_5
; %bb.4:                                ;   in Loop: Header=BB5_3 Depth=1
	v_sub_nc_u32_e32 v29, v22, v23
	v_mad_u64_u32 v[22:23], null, s57, v24, v[0:1]
	v_mul_lo_u32 v24, s8, v29
	v_add_nc_u32_e32 v30, 2, v29
	v_add_nc_u32_e32 v36, 3, v29
	v_mul_lo_u32 v23, v22, s36
	v_mad_u64_u32 v[29:30], null, s8, v30, v[0:1]
	v_add3_u32 v30, v24, s8, v0
	v_mad_u64_u32 v[36:37], null, s8, v36, v[0:1]
	v_mul_lo_u32 v37, v22, s37
	v_ashrrev_i32_e32 v24, 31, v23
	v_mul_lo_u32 v39, v30, s36
	v_mul_lo_u32 v22, v29, s36
	v_mul_lo_u32 v45, v30, s37
	v_mul_lo_u32 v29, v29, s37
	v_mul_lo_u32 v41, v36, s36
	v_lshlrev_b64 v[43:44], 2, v[23:24]
	v_ashrrev_i32_e32 v38, 31, v37
	v_mul_lo_u32 v36, v36, s37
	v_ashrrev_i32_e32 v40, 31, v39
	v_ashrrev_i32_e32 v23, 31, v22
	;; [unrolled: 1-line block ×3, first 2 shown]
	v_add_co_u32 v43, vcc_lo, s6, v43
	v_ashrrev_i32_e32 v42, 31, v41
	v_lshlrev_b64 v[39:40], 2, v[39:40]
	v_lshlrev_b64 v[22:23], 2, v[22:23]
	v_add_co_ci_u32_e64 v44, null, s7, v44, vcc_lo
	v_lshlrev_b64 v[41:42], 2, v[41:42]
	v_lshlrev_b64 v[37:38], 2, v[37:38]
	v_add_co_u32 v47, vcc_lo, s6, v39
	v_add_co_ci_u32_e64 v48, null, s7, v40, vcc_lo
	v_add_co_u32 v22, vcc_lo, s6, v22
	v_add_co_ci_u32_e64 v23, null, s7, v23, vcc_lo
	v_add_co_u32 v49, vcc_lo, s6, v41
	v_ashrrev_i32_e32 v30, 31, v29
	v_add_co_ci_u32_e64 v50, null, s7, v42, vcc_lo
	v_lshlrev_b64 v[39:40], 2, v[45:46]
	v_add_co_u32 v45, vcc_lo, s18, v37
	v_ashrrev_i32_e32 v37, 31, v36
	v_lshlrev_b64 v[29:30], 2, v[29:30]
	v_add_co_ci_u32_e64 v46, null, s19, v38, vcc_lo
	v_add_co_u32 v51, vcc_lo, s18, v39
	v_lshlrev_b64 v[36:37], 2, v[36:37]
	v_add_co_ci_u32_e64 v52, null, s19, v40, vcc_lo
	v_add_co_u32 v53, vcc_lo, s18, v29
	v_add_co_ci_u32_e64 v54, null, s19, v30, vcc_lo
	v_add_co_u32 v55, vcc_lo, s18, v36
	v_add_co_ci_u32_e64 v56, null, s19, v37, vcc_lo
	s_clause 0x3
	global_load_dword v39, v[43:44], off
	global_load_dword v38, v[47:48], off
	;; [unrolled: 1-line block ×4, first 2 shown]
	s_clause 0x3
	global_load_dword v37, v[45:46], off
	global_load_dword v36, v[51:52], off
	;; [unrolled: 1-line block ×4, first 2 shown]
.LBB5_5:                                ;   in Loop: Header=BB5_3 Depth=1
	s_waitcnt vmcnt(2)
	v_add_f32_e32 v22, v34, v35
                                        ; implicit-def: $vgpr24
	v_add_f32_e32 v22, v22, v41
	s_waitcnt vmcnt(1)
	v_add_f32_e32 v22, v40, v22
	v_cmp_ngt_f32_e64 s0, 0x3f200000, |v22|
	s_and_saveexec_b32 s1, s0
	s_xor_b32 s0, exec_lo, s1
	s_cbranch_execz .LBB5_7
; %bb.6:                                ;   in Loop: Header=BB5_3 Depth=1
	v_add_f32_e64 v23, |v22|, |v22|
	v_mul_f32_e32 v24, 0x3fb8aa3b, v23
	v_cmp_ngt_f32_e32 vcc_lo, 0xc2ce8ed0, v23
	v_rndne_f32_e32 v34, v24
	v_fma_f32 v35, 0x3fb8aa3b, v23, -v24
	v_sub_f32_e32 v24, v24, v34
	v_fmac_f32_e32 v35, 0x32a5705f, v23
	v_cvt_i32_f32_e32 v34, v34
	v_add_f32_e32 v24, v24, v35
	v_exp_f32_e32 v24, v24
	v_ldexp_f32 v24, v24, v34
	v_cndmask_b32_e32 v24, 0, v24, vcc_lo
	v_cmp_nlt_f32_e32 vcc_lo, 0x42b17218, v23
	v_cndmask_b32_e32 v23, 0x7f800000, v24, vcc_lo
	v_add_f32_e32 v23, 1.0, v23
	v_rcp_f32_e32 v23, v23
	v_fma_f32 v24, v23, -2.0, 1.0
.LBB5_7:                                ;   in Loop: Header=BB5_3 Depth=1
	s_andn2_saveexec_b32 s0, s0
	s_cbranch_execz .LBB5_9
; %bb.8:                                ;   in Loop: Header=BB5_3 Depth=1
	v_mul_f32_e32 v23, v22, v22
	v_fmaak_f32 v24, s61, v23, 0x3ca908c9
	v_fmaak_f32 v24, v23, v24, 0xbd5c1c4e
	;; [unrolled: 1-line block ×4, first 2 shown]
	v_mul_f32_e64 v24, |v22|, v24
	v_fma_f32 v24, v23, v24, |v22|
.LBB5_9:                                ;   in Loop: Header=BB5_3 Depth=1
	s_or_b32 exec_lo, exec_lo, s0
	v_add_f32_e32 v23, v32, v33
	v_add_f32_e32 v25, v25, v31
	v_bfi_b32 v22, 0x7fffffff, v24, v22
	v_add_f32_e32 v23, v23, v39
	v_add_f32_e32 v25, v25, v38
	;; [unrolled: 1-line block ×4, first 2 shown]
	v_mul_f32_e32 v31, 0xbfb8aa3b, v23
	v_mul_f32_e32 v32, 0xbfb8aa3b, v25
	v_cmp_nlt_f32_e32 vcc_lo, 0x42ce8ed0, v23
	v_fma_f32 v33, 0xbfb8aa3b, v23, -v31
	v_rndne_f32_e32 v34, v31
	v_fma_f32 v35, 0xbfb8aa3b, v25, -v32
	v_rndne_f32_e32 v36, v32
	v_fmac_f32_e32 v33, 0xb2a5705f, v23
	v_sub_f32_e32 v31, v31, v34
	v_fmac_f32_e32 v35, 0xb2a5705f, v25
	v_sub_f32_e32 v32, v32, v36
	v_add_f32_e32 v31, v31, v33
	v_cvt_i32_f32_e32 v33, v34
	v_add_f32_e32 v32, v32, v35
	v_cvt_i32_f32_e32 v34, v36
	v_exp_f32_e32 v31, v31
	v_exp_f32_e32 v32, v32
	v_ldexp_f32 v31, v31, v33
	v_ldexp_f32 v32, v32, v34
	v_cndmask_b32_e32 v31, 0, v31, vcc_lo
	v_cmp_nlt_f32_e32 vcc_lo, 0x42ce8ed0, v25
	v_cndmask_b32_e32 v32, 0, v32, vcc_lo
	v_cmp_ngt_f32_e32 vcc_lo, 0xc2b17218, v23
	v_cndmask_b32_e32 v23, 0x7f800000, v31, vcc_lo
	v_cmp_ngt_f32_e32 vcc_lo, 0xc2b17218, v25
	v_add_f32_e32 v23, 1.0, v23
	v_cndmask_b32_e32 v25, 0x7f800000, v32, vcc_lo
	v_div_scale_f32 v31, null, v23, v23, 1.0
	v_add_f32_e32 v25, 1.0, v25
	v_div_scale_f32 v37, vcc_lo, 1.0, v23, 1.0
	v_rcp_f32_e32 v33, v31
	v_div_scale_f32 v32, null, v25, v25, 1.0
	v_rcp_f32_e32 v34, v32
	v_fma_f32 v35, -v31, v33, 1.0
	v_fmac_f32_e32 v33, v35, v33
	v_div_scale_f32 v35, s0, 1.0, v25, 1.0
	v_fma_f32 v36, -v32, v34, 1.0
	v_fmac_f32_e32 v34, v36, v34
	v_mul_f32_e32 v36, v37, v33
	v_mul_f32_e32 v38, v35, v34
	v_fma_f32 v39, -v31, v36, v37
	v_fma_f32 v40, -v32, v38, v35
	v_fmac_f32_e32 v36, v39, v33
	v_fmac_f32_e32 v38, v40, v34
	v_fma_f32 v31, -v31, v36, v37
	v_fma_f32 v32, -v32, v38, v35
	v_div_fmas_f32 v31, v31, v33, v36
	s_mov_b32 vcc_lo, s0
	v_div_fmas_f32 v32, v32, v34, v38
	v_div_fixup_f32 v23, v31, v23, 1.0
	v_div_fixup_f32 v24, v32, v25, 1.0
	v_mul_f32_e32 v25, v23, v22
	s_waitcnt vmcnt(0)
	v_fmac_f32_e32 v25, v28, v24
                                        ; implicit-def: $vgpr28
	v_cmp_ngt_f32_e64 s0, 0x3f200000, |v25|
	s_and_saveexec_b32 s1, s0
	s_xor_b32 s0, exec_lo, s1
	s_cbranch_execz .LBB5_11
; %bb.10:                               ;   in Loop: Header=BB5_3 Depth=1
	v_add_f32_e64 v28, |v25|, |v25|
	v_mul_f32_e32 v31, 0x3fb8aa3b, v28
	v_cmp_ngt_f32_e32 vcc_lo, 0xc2ce8ed0, v28
	v_rndne_f32_e32 v32, v31
	v_fma_f32 v33, 0x3fb8aa3b, v28, -v31
	v_sub_f32_e32 v31, v31, v32
	v_fmac_f32_e32 v33, 0x32a5705f, v28
	v_cvt_i32_f32_e32 v32, v32
	v_add_f32_e32 v31, v31, v33
	v_exp_f32_e32 v31, v31
	v_ldexp_f32 v31, v31, v32
	v_cndmask_b32_e32 v31, 0, v31, vcc_lo
	v_cmp_nlt_f32_e32 vcc_lo, 0x42b17218, v28
	v_cndmask_b32_e32 v28, 0x7f800000, v31, vcc_lo
	v_add_f32_e32 v28, 1.0, v28
	v_rcp_f32_e32 v28, v28
	v_fma_f32 v28, v28, -2.0, 1.0
.LBB5_11:                               ;   in Loop: Header=BB5_3 Depth=1
	s_andn2_saveexec_b32 s0, s0
	s_cbranch_execz .LBB5_2
; %bb.12:                               ;   in Loop: Header=BB5_3 Depth=1
	v_mul_f32_e32 v28, v25, v25
	v_fmaak_f32 v31, s61, v28, 0x3ca908c9
	v_fmaak_f32 v31, v28, v31, 0xbd5c1c4e
	;; [unrolled: 1-line block ×4, first 2 shown]
	v_mul_f32_e64 v31, |v25|, v31
	v_fma_f32 v28, v28, v31, |v25|
	s_branch .LBB5_2
.LBB5_13:
	s_endpgm
	.section	.rodata,"a",@progbits
	.p2align	6, 0x0
	.amdhsa_kernel _ZN2at6native12_GLOBAL__N_16kernel17lstm_cell_forwardIffiLi2EEEvNS_4cuda6detail10TensorInfoIT_T1_EES9_S9_S9_S9_S9_S9_S9_S8_S8_
		.amdhsa_group_segment_fixed_size 0
		.amdhsa_private_segment_fixed_size 0
		.amdhsa_kernarg_size 1992
		.amdhsa_user_sgpr_count 6
		.amdhsa_user_sgpr_private_segment_buffer 1
		.amdhsa_user_sgpr_dispatch_ptr 0
		.amdhsa_user_sgpr_queue_ptr 0
		.amdhsa_user_sgpr_kernarg_segment_ptr 1
		.amdhsa_user_sgpr_dispatch_id 0
		.amdhsa_user_sgpr_flat_scratch_init 0
		.amdhsa_user_sgpr_private_segment_size 0
		.amdhsa_wavefront_size32 1
		.amdhsa_uses_dynamic_stack 0
		.amdhsa_system_sgpr_private_segment_wavefront_offset 0
		.amdhsa_system_sgpr_workgroup_id_x 1
		.amdhsa_system_sgpr_workgroup_id_y 0
		.amdhsa_system_sgpr_workgroup_id_z 0
		.amdhsa_system_sgpr_workgroup_info 0
		.amdhsa_system_vgpr_workitem_id 0
		.amdhsa_next_free_vgpr 57
		.amdhsa_next_free_sgpr 62
		.amdhsa_reserve_vcc 1
		.amdhsa_reserve_flat_scratch 0
		.amdhsa_float_round_mode_32 0
		.amdhsa_float_round_mode_16_64 0
		.amdhsa_float_denorm_mode_32 3
		.amdhsa_float_denorm_mode_16_64 3
		.amdhsa_dx10_clamp 1
		.amdhsa_ieee_mode 1
		.amdhsa_fp16_overflow 0
		.amdhsa_workgroup_processor_mode 1
		.amdhsa_memory_ordered 1
		.amdhsa_forward_progress 1
		.amdhsa_shared_vgpr_count 0
		.amdhsa_exception_fp_ieee_invalid_op 0
		.amdhsa_exception_fp_denorm_src 0
		.amdhsa_exception_fp_ieee_div_zero 0
		.amdhsa_exception_fp_ieee_overflow 0
		.amdhsa_exception_fp_ieee_underflow 0
		.amdhsa_exception_fp_ieee_inexact 0
		.amdhsa_exception_int_div_zero 0
	.end_amdhsa_kernel
	.section	.text._ZN2at6native12_GLOBAL__N_16kernel17lstm_cell_forwardIffiLi2EEEvNS_4cuda6detail10TensorInfoIT_T1_EES9_S9_S9_S9_S9_S9_S9_S8_S8_,"axG",@progbits,_ZN2at6native12_GLOBAL__N_16kernel17lstm_cell_forwardIffiLi2EEEvNS_4cuda6detail10TensorInfoIT_T1_EES9_S9_S9_S9_S9_S9_S9_S8_S8_,comdat
.Lfunc_end5:
	.size	_ZN2at6native12_GLOBAL__N_16kernel17lstm_cell_forwardIffiLi2EEEvNS_4cuda6detail10TensorInfoIT_T1_EES9_S9_S9_S9_S9_S9_S9_S8_S8_, .Lfunc_end5-_ZN2at6native12_GLOBAL__N_16kernel17lstm_cell_forwardIffiLi2EEEvNS_4cuda6detail10TensorInfoIT_T1_EES9_S9_S9_S9_S9_S9_S9_S8_S8_
                                        ; -- End function
	.set _ZN2at6native12_GLOBAL__N_16kernel17lstm_cell_forwardIffiLi2EEEvNS_4cuda6detail10TensorInfoIT_T1_EES9_S9_S9_S9_S9_S9_S9_S8_S8_.num_vgpr, 57
	.set _ZN2at6native12_GLOBAL__N_16kernel17lstm_cell_forwardIffiLi2EEEvNS_4cuda6detail10TensorInfoIT_T1_EES9_S9_S9_S9_S9_S9_S9_S8_S8_.num_agpr, 0
	.set _ZN2at6native12_GLOBAL__N_16kernel17lstm_cell_forwardIffiLi2EEEvNS_4cuda6detail10TensorInfoIT_T1_EES9_S9_S9_S9_S9_S9_S9_S8_S8_.numbered_sgpr, 62
	.set _ZN2at6native12_GLOBAL__N_16kernel17lstm_cell_forwardIffiLi2EEEvNS_4cuda6detail10TensorInfoIT_T1_EES9_S9_S9_S9_S9_S9_S9_S8_S8_.num_named_barrier, 0
	.set _ZN2at6native12_GLOBAL__N_16kernel17lstm_cell_forwardIffiLi2EEEvNS_4cuda6detail10TensorInfoIT_T1_EES9_S9_S9_S9_S9_S9_S9_S8_S8_.private_seg_size, 0
	.set _ZN2at6native12_GLOBAL__N_16kernel17lstm_cell_forwardIffiLi2EEEvNS_4cuda6detail10TensorInfoIT_T1_EES9_S9_S9_S9_S9_S9_S9_S8_S8_.uses_vcc, 1
	.set _ZN2at6native12_GLOBAL__N_16kernel17lstm_cell_forwardIffiLi2EEEvNS_4cuda6detail10TensorInfoIT_T1_EES9_S9_S9_S9_S9_S9_S9_S8_S8_.uses_flat_scratch, 0
	.set _ZN2at6native12_GLOBAL__N_16kernel17lstm_cell_forwardIffiLi2EEEvNS_4cuda6detail10TensorInfoIT_T1_EES9_S9_S9_S9_S9_S9_S9_S8_S8_.has_dyn_sized_stack, 0
	.set _ZN2at6native12_GLOBAL__N_16kernel17lstm_cell_forwardIffiLi2EEEvNS_4cuda6detail10TensorInfoIT_T1_EES9_S9_S9_S9_S9_S9_S9_S8_S8_.has_recursion, 0
	.set _ZN2at6native12_GLOBAL__N_16kernel17lstm_cell_forwardIffiLi2EEEvNS_4cuda6detail10TensorInfoIT_T1_EES9_S9_S9_S9_S9_S9_S9_S8_S8_.has_indirect_call, 0
	.section	.AMDGPU.csdata,"",@progbits
; Kernel info:
; codeLenInByte = 4468
; TotalNumSgprs: 64
; NumVgprs: 57
; ScratchSize: 0
; MemoryBound: 0
; FloatMode: 240
; IeeeMode: 1
; LDSByteSize: 0 bytes/workgroup (compile time only)
; SGPRBlocks: 0
; VGPRBlocks: 7
; NumSGPRsForWavesPerEU: 64
; NumVGPRsForWavesPerEU: 57
; Occupancy: 16
; WaveLimiterHint : 1
; COMPUTE_PGM_RSRC2:SCRATCH_EN: 0
; COMPUTE_PGM_RSRC2:USER_SGPR: 6
; COMPUTE_PGM_RSRC2:TRAP_HANDLER: 0
; COMPUTE_PGM_RSRC2:TGID_X_EN: 1
; COMPUTE_PGM_RSRC2:TGID_Y_EN: 0
; COMPUTE_PGM_RSRC2:TGID_Z_EN: 0
; COMPUTE_PGM_RSRC2:TIDIG_COMP_CNT: 0
	.section	.text._ZN2at6native12_GLOBAL__N_16kernel17lstm_cell_forwardIfflLi1EEEvNS_4cuda6detail10TensorInfoIT_T1_EES9_S9_S9_S9_S9_S9_S9_S8_S8_,"axG",@progbits,_ZN2at6native12_GLOBAL__N_16kernel17lstm_cell_forwardIfflLi1EEEvNS_4cuda6detail10TensorInfoIT_T1_EES9_S9_S9_S9_S9_S9_S9_S8_S8_,comdat
	.globl	_ZN2at6native12_GLOBAL__N_16kernel17lstm_cell_forwardIfflLi1EEEvNS_4cuda6detail10TensorInfoIT_T1_EES9_S9_S9_S9_S9_S9_S9_S8_S8_ ; -- Begin function _ZN2at6native12_GLOBAL__N_16kernel17lstm_cell_forwardIfflLi1EEEvNS_4cuda6detail10TensorInfoIT_T1_EES9_S9_S9_S9_S9_S9_S9_S8_S8_
	.p2align	8
	.type	_ZN2at6native12_GLOBAL__N_16kernel17lstm_cell_forwardIfflLi1EEEvNS_4cuda6detail10TensorInfoIT_T1_EES9_S9_S9_S9_S9_S9_S9_S8_S8_,@function
_ZN2at6native12_GLOBAL__N_16kernel17lstm_cell_forwardIfflLi1EEEvNS_4cuda6detail10TensorInfoIT_T1_EES9_S9_S9_S9_S9_S9_S9_S8_S8_: ; @_ZN2at6native12_GLOBAL__N_16kernel17lstm_cell_forwardIfflLi1EEEvNS_4cuda6detail10TensorInfoIT_T1_EES9_S9_S9_S9_S9_S9_S9_S8_S8_
; %bb.0:
	s_clause 0x1
	s_load_dword s2, s[4:5], 0xd1c
	s_load_dwordx4 s[8:11], s[4:5], 0xd00
	v_mov_b32_e32 v1, 0
	s_add_u32 s0, s4, 0xd10
	s_addc_u32 s1, s5, 0
	s_waitcnt lgkmcnt(0)
	s_and_b32 s26, s2, 0xffff
	s_mov_b32 s2, exec_lo
	v_mad_u64_u32 v[3:4], null, s6, s26, v[0:1]
	v_mov_b32_e32 v4, v1
	v_cmpx_gt_i64_e64 s[10:11], v[3:4]
	s_cbranch_execz .LBB6_18
; %bb.1:
	s_clause 0x4
	s_load_dwordx2 s[28:29], s[4:5], 0x750
	s_load_dwordx2 s[2:3], s[4:5], 0x340
	;; [unrolled: 1-line block ×5, first 2 shown]
	s_load_dword s27, s[0:1], 0x0
	s_clause 0xa
	s_load_dwordx2 s[6:7], s[4:5], 0x0
	s_load_dwordx2 s[12:13], s[4:5], 0xd0
	;; [unrolled: 1-line block ×11, first 2 shown]
	s_mul_i32 s40, s9, 3
	s_mul_hi_u32 s41, s8, 3
	s_mov_b32 s33, 0
	s_waitcnt lgkmcnt(0)
	v_mul_lo_u32 v0, 0, s28
	v_mul_lo_u32 v2, v3, s29
	v_mad_u64_u32 v[5:6], null, v3, s28, 0
	v_mul_lo_u32 v9, 0, s36
	v_mad_u64_u32 v[7:8], null, v3, s36, 0
	s_cmp_lg_u64 s[2:3], 0
	s_mul_i32 s38, s27, s26
	s_cselect_b32 s39, -1, 0
	v_add3_u32 v6, v6, v2, v0
	v_mul_lo_u32 v0, v3, s37
	s_add_i32 s40, s41, s40
	s_mul_i32 s26, s38, s29
	v_mul_lo_u32 v2, v3, s45
	v_lshlrev_b64 v[5:6], 2, v[5:6]
	s_mul_hi_u32 s27, s38, s28
	s_sub_u32 s42, 0, s8
	s_subb_u32 s43, 0, s9
	v_add3_u32 v8, v8, v0, v9
	v_mul_lo_u32 v0, 0, s44
	v_mad_u64_u32 v[9:10], null, v3, s44, 0
	v_add_co_u32 v5, vcc_lo, s30, v5
	v_lshlrev_b64 v[7:8], 2, v[7:8]
	v_add_co_ci_u32_e64 v6, null, s31, v6, vcc_lo
	s_add_i32 s27, s27, s26
	v_add3_u32 v10, v10, v2, v0
	s_mul_i32 s26, s38, s28
	v_add_co_u32 v7, vcc_lo, s34, v7
	v_add_co_ci_u32_e64 v8, null, s35, v8, vcc_lo
	v_lshlrev_b64 v[9:10], 2, v[9:10]
	s_mul_i32 s28, s38, s37
	s_mul_hi_u32 s29, s38, s36
	s_mul_i32 s30, s38, s45
	s_mul_hi_u32 s31, s38, s44
	s_add_i32 s29, s29, s28
	v_add_co_u32 v9, vcc_lo, s0, v9
	v_add_co_ci_u32_e64 v10, null, s1, v10, vcc_lo
	s_mul_i32 s28, s38, s36
	s_add_i32 s31, s31, s30
	s_mul_i32 s30, s38, s44
	s_mul_i32 s41, s8, 3
	s_lshl_b64 s[26:27], s[26:27], 2
	s_lshl_b64 s[28:29], s[28:29], 2
	;; [unrolled: 1-line block ×3, first 2 shown]
	s_ashr_i32 s34, s9, 31
	s_mov_b32 s44, 0xbbbac73d
	s_branch .LBB6_3
.LBB6_2:                                ;   in Loop: Header=BB6_3 Depth=1
	s_or_b32 exec_lo, exec_lo, s0
	v_add_f32_e32 v16, v16, v20
	v_mul_lo_u32 v28, v19, s4
	v_mul_lo_u32 v30, v14, s5
	;; [unrolled: 1-line block ×4, first 2 shown]
	v_add_f32_e32 v16, v16, v17
	v_mul_lo_u32 v0, v0, s4
	v_mul_lo_u32 v27, v11, s5
	;; [unrolled: 1-line block ×4, first 2 shown]
	v_add_f32_e32 v16, v18, v16
	v_bfi_b32 v21, 0x7fffffff, v21, v25
	v_add_co_u32 v3, s0, v3, s38
	v_add_co_ci_u32_e64 v4, null, 0, v4, s0
	v_mul_f32_e32 v17, 0xbfb8aa3b, v16
	v_cmp_nlt_f32_e32 vcc_lo, 0x42ce8ed0, v16
	v_add_co_u32 v5, s0, v5, s26
	v_add_co_ci_u32_e64 v6, null, s27, v6, s0
	v_fma_f32 v18, 0xbfb8aa3b, v16, -v17
	v_rndne_f32_e32 v20, v17
	v_cmp_le_i64_e64 s0, s[10:11], v[3:4]
	v_fmac_f32_e32 v18, 0xb2a5705f, v16
	v_sub_f32_e32 v17, v17, v20
	s_or_b32 s33, s0, s33
	v_add_f32_e32 v17, v17, v18
	v_cvt_i32_f32_e32 v18, v20
	v_exp_f32_e32 v17, v17
	v_ldexp_f32 v17, v17, v18
	v_mad_u64_u32 v[18:19], null, v14, s4, 0
	v_mad_u64_u32 v[13:14], null, v15, s4, 0
	v_cndmask_b32_e32 v17, 0, v17, vcc_lo
	v_cmp_ngt_f32_e32 vcc_lo, 0xc2b17218, v16
	v_add3_u32 v19, v19, v30, v28
	v_cndmask_b32_e32 v16, 0x7f800000, v17, vcc_lo
	v_add3_u32 v14, v14, v33, v2
	v_add_f32_e32 v20, 1.0, v16
	v_mad_u64_u32 v[16:17], null, v11, s4, 0
	v_mad_u64_u32 v[11:12], null, v12, s4, 0
	v_div_scale_f32 v26, null, v20, v20, 1.0
	v_div_scale_f32 v35, vcc_lo, 1.0, v20, 1.0
	v_add3_u32 v17, v17, v27, v0
	v_rcp_f32_e32 v29, v26
	v_add3_u32 v12, v12, v32, v31
	v_lshlrev_b64 v[13:14], 2, v[13:14]
	v_lshlrev_b64 v[11:12], 2, v[11:12]
	v_fma_f32 v34, -v26, v29, 1.0
	v_fmac_f32_e32 v29, v34, v29
	v_mul_f32_e32 v34, v35, v29
	v_fma_f32 v15, -v26, v34, v35
	v_fmac_f32_e32 v34, v15, v29
	v_lshlrev_b64 v[15:16], 2, v[16:17]
	v_lshlrev_b64 v[17:18], 2, v[18:19]
	v_fma_f32 v0, -v26, v34, v35
	v_add_co_u32 v15, s1, s24, v15
	v_add_co_ci_u32_e64 v16, null, s25, v16, s1
	v_div_fmas_f32 v0, v0, v29, v34
	v_add_co_u32 v17, vcc_lo, s24, v17
	v_add_co_ci_u32_e64 v18, null, s25, v18, vcc_lo
	v_div_fixup_f32 v0, v0, v20, 1.0
	v_add_co_u32 v11, vcc_lo, s24, v11
	v_add_co_ci_u32_e64 v12, null, s25, v12, vcc_lo
	v_mul_f32_e32 v2, v0, v21
	v_add_co_u32 v13, vcc_lo, s24, v13
	v_add_co_ci_u32_e64 v14, null, s25, v14, vcc_lo
	global_store_dword v[7:8], v2, off
	global_store_dword v[9:10], v25, off
	;; [unrolled: 1-line block ×3, first 2 shown]
	v_add_co_u32 v7, vcc_lo, v7, s28
	v_add_co_ci_u32_e64 v8, null, s29, v8, vcc_lo
	v_add_co_u32 v9, vcc_lo, v9, s30
	v_add_co_ci_u32_e64 v10, null, s31, v10, vcc_lo
	global_store_dword v[17:18], v23, off
	global_store_dword v[11:12], v22, off
	;; [unrolled: 1-line block ×3, first 2 shown]
	s_andn2_b32 exec_lo, exec_lo, s33
	s_cbranch_execz .LBB6_18
.LBB6_3:                                ; =>This Inner Loop Header: Depth=1
	v_or_b32_e32 v2, s9, v4
                                        ; implicit-def: $vgpr17_vgpr18
	s_mov_b32 s0, exec_lo
	v_cmpx_ne_u64_e32 0, v[1:2]
	s_xor_b32 s1, exec_lo, s0
	s_cbranch_execz .LBB6_5
; %bb.4:                                ;   in Loop: Header=BB6_3 Depth=1
	s_add_u32 s36, s8, s34
	s_mov_b32 s35, s34
	s_addc_u32 s37, s9, s34
	v_ashrrev_i32_e32 v17, 31, v4
	s_xor_b64 s[36:37], s[36:37], s[34:35]
	v_cvt_f32_u32_e32 v0, s36
	v_cvt_f32_u32_e32 v2, s37
	s_sub_u32 s0, 0, s36
	s_subb_u32 s46, 0, s37
	v_add_co_u32 v11, vcc_lo, v3, v17
	v_fmac_f32_e32 v0, 0x4f800000, v2
	v_rcp_f32_e32 v0, v0
	v_mul_f32_e32 v0, 0x5f7ffffc, v0
	v_mul_f32_e32 v2, 0x2f800000, v0
	v_trunc_f32_e32 v2, v2
	v_fmac_f32_e32 v0, 0xcf800000, v2
	v_cvt_u32_f32_e32 v2, v2
	v_cvt_u32_f32_e32 v0, v0
	v_readfirstlane_b32 s35, v2
	v_xor_b32_e32 v2, v11, v17
	v_readfirstlane_b32 s45, v0
	s_mul_i32 s47, s0, s35
	v_add_co_ci_u32_e64 v0, null, v4, v17, vcc_lo
	s_mul_hi_u32 s49, s0, s45
	s_mul_i32 s48, s46, s45
	s_add_i32 s47, s49, s47
	s_mul_i32 s50, s0, s45
	s_add_i32 s47, s47, s48
	s_mul_hi_u32 s49, s45, s50
	s_mul_i32 s52, s45, s47
	s_mul_hi_u32 s51, s35, s50
	s_mul_i32 s48, s35, s50
	s_mul_hi_u32 s50, s45, s47
	s_add_u32 s49, s49, s52
	s_addc_u32 s50, 0, s50
	s_mul_hi_u32 s53, s35, s47
	s_add_u32 s48, s49, s48
	s_mul_i32 s47, s35, s47
	s_addc_u32 s48, s50, s51
	s_addc_u32 s49, s53, 0
	s_add_u32 s47, s48, s47
	s_addc_u32 s48, 0, s49
	s_add_u32 s45, s45, s47
	s_cselect_b32 s47, -1, 0
	s_mul_hi_u32 s49, s0, s45
	s_cmp_lg_u32 s47, 0
	s_mul_i32 s47, s0, s45
	s_addc_u32 s35, s35, s48
	s_mul_i32 s46, s46, s45
	s_mul_i32 s0, s0, s35
	s_mul_hi_u32 s48, s45, s47
	s_add_i32 s0, s49, s0
	s_mul_hi_u32 s49, s35, s47
	s_add_i32 s0, s0, s46
	s_mul_i32 s46, s35, s47
	s_mul_i32 s51, s45, s0
	s_mul_hi_u32 s50, s45, s0
	s_add_u32 s48, s48, s51
	s_addc_u32 s50, 0, s50
	s_mul_hi_u32 s47, s35, s0
	s_add_u32 s46, s48, s46
	s_mul_i32 s0, s35, s0
	s_addc_u32 s46, s50, s49
	s_addc_u32 s47, s47, 0
	s_add_u32 s0, s46, s0
	s_addc_u32 s46, 0, s47
	s_add_u32 s0, s45, s0
	s_cselect_b32 s45, -1, 0
	v_xor_b32_e32 v0, v0, v17
	s_cmp_lg_u32 s45, 0
	v_mul_hi_u32 v18, v2, s0
	s_addc_u32 s35, s35, s46
	v_mad_u64_u32 v[11:12], null, v2, s35, 0
	v_mad_u64_u32 v[13:14], null, v0, s0, 0
	;; [unrolled: 1-line block ×3, first 2 shown]
	v_add_co_u32 v11, vcc_lo, v18, v11
	v_add_co_ci_u32_e64 v12, null, 0, v12, vcc_lo
	v_add_co_u32 v11, vcc_lo, v11, v13
	v_add_co_ci_u32_e32 v11, vcc_lo, v12, v14, vcc_lo
	v_add_co_ci_u32_e32 v12, vcc_lo, 0, v16, vcc_lo
	v_add_co_u32 v13, vcc_lo, v11, v15
	v_add_co_ci_u32_e64 v14, null, 0, v12, vcc_lo
	v_mul_lo_u32 v15, s37, v13
	v_mad_u64_u32 v[11:12], null, s36, v13, 0
	v_mul_lo_u32 v16, s36, v14
	v_sub_co_u32 v2, vcc_lo, v2, v11
	v_add3_u32 v12, v12, v16, v15
	v_sub_nc_u32_e32 v15, v0, v12
	v_sub_co_ci_u32_e64 v0, null, v0, v12, vcc_lo
	v_subrev_co_ci_u32_e64 v11, null, s37, v15, vcc_lo
	v_add_co_u32 v15, s0, v13, 2
	v_add_co_ci_u32_e64 v16, null, 0, v14, s0
	v_sub_co_u32 v18, s0, v2, s36
	v_subrev_co_ci_u32_e64 v11, null, 0, v11, s0
	v_cmp_le_u32_e32 vcc_lo, s36, v18
	v_cndmask_b32_e64 v12, 0, -1, vcc_lo
	v_cmp_le_u32_e32 vcc_lo, s37, v11
	v_cndmask_b32_e64 v18, 0, -1, vcc_lo
	;; [unrolled: 2-line block ×4, first 2 shown]
	v_cmp_eq_u32_e32 vcc_lo, s37, v11
	v_cndmask_b32_e32 v11, v18, v12, vcc_lo
	v_add_co_u32 v12, vcc_lo, v13, 1
	v_add_co_ci_u32_e64 v18, null, 0, v14, vcc_lo
	v_cmp_eq_u32_e32 vcc_lo, s37, v0
	v_cndmask_b32_e32 v0, v19, v2, vcc_lo
	v_cmp_ne_u32_e32 vcc_lo, 0, v11
	v_xor_b32_e32 v11, s34, v17
	v_cmp_ne_u32_e64 s0, 0, v0
	v_cndmask_b32_e32 v0, v12, v15, vcc_lo
	v_cndmask_b32_e32 v2, v18, v16, vcc_lo
	v_cndmask_b32_e64 v0, v13, v0, s0
	v_cndmask_b32_e64 v2, v14, v2, s0
	v_xor_b32_e32 v0, v0, v11
	v_xor_b32_e32 v2, v2, v11
	v_sub_co_u32 v17, vcc_lo, v0, v11
	v_sub_co_ci_u32_e64 v18, null, v2, v11, vcc_lo
.LBB6_5:                                ;   in Loop: Header=BB6_3 Depth=1
	s_andn2_saveexec_b32 s0, s1
	s_cbranch_execz .LBB6_7
; %bb.6:                                ;   in Loop: Header=BB6_3 Depth=1
	v_cvt_f32_u32_e32 v0, s8
	s_sub_i32 s1, 0, s8
	v_mov_b32_e32 v18, v1
	v_rcp_iflag_f32_e32 v0, v0
	v_mul_f32_e32 v0, 0x4f7ffffe, v0
	v_cvt_u32_f32_e32 v0, v0
	v_mul_lo_u32 v2, s1, v0
	v_mul_hi_u32 v2, v0, v2
	v_add_nc_u32_e32 v0, v0, v2
	v_mul_hi_u32 v0, v3, v0
	v_mul_lo_u32 v2, v0, s8
	v_add_nc_u32_e32 v11, 1, v0
	v_sub_nc_u32_e32 v2, v3, v2
	v_subrev_nc_u32_e32 v12, s8, v2
	v_cmp_le_u32_e32 vcc_lo, s8, v2
	v_cndmask_b32_e32 v2, v2, v12, vcc_lo
	v_cndmask_b32_e32 v0, v0, v11, vcc_lo
	v_cmp_le_u32_e32 vcc_lo, s8, v2
	v_add_nc_u32_e32 v11, 1, v0
	v_cndmask_b32_e32 v17, v0, v11, vcc_lo
.LBB6_7:                                ;   in Loop: Header=BB6_3 Depth=1
	s_or_b32 exec_lo, exec_lo, s0
	v_mad_u64_u32 v[19:20], null, v17, 3, 0
	v_mad_u64_u32 v[11:12], null, s41, v17, v[3:4]
	v_mul_lo_u32 v0, s41, v18
	v_mul_lo_u32 v13, s40, v17
	v_mov_b32_e32 v2, v20
	v_mul_lo_u32 v27, v11, s13
	v_add3_u32 v0, v13, v12, v0
	v_mad_u64_u32 v[20:21], null, v18, 3, v[2:3]
	v_add_co_u32 v12, vcc_lo, v19, 1
	v_add_co_u32 v13, s0, v19, 2
	v_mad_u64_u32 v[21:22], null, v11, s12, 0
	v_add_co_ci_u32_e64 v16, null, 0, v20, vcc_lo
	v_add_co_ci_u32_e64 v24, null, 0, v20, s0
	v_mul_lo_u32 v23, s9, v12
	v_mad_u64_u32 v[14:15], null, s8, v12, v[3:4]
	v_mul_lo_u32 v16, s8, v16
	v_mul_lo_u32 v25, s9, v13
	v_mad_u64_u32 v[12:13], null, s8, v13, v[3:4]
	v_mul_lo_u32 v26, s8, v24
	v_add_co_u32 v28, vcc_lo, v19, 3
	v_add_co_ci_u32_e64 v20, null, 0, v20, vcc_lo
	v_add3_u32 v19, v23, v15, v16
	v_mul_lo_u32 v2, v0, s12
	v_mul_lo_u32 v31, s9, v28
	v_add3_u32 v13, v25, v13, v26
	v_mul_lo_u32 v20, s8, v20
	v_mad_u64_u32 v[15:16], null, s8, v28, v[3:4]
	v_mul_lo_u32 v29, v14, s13
	v_mad_u64_u32 v[23:24], null, v14, s12, 0
	v_mul_lo_u32 v30, v19, s12
	v_mul_lo_u32 v28, v13, s12
	;; [unrolled: 1-line block ×3, first 2 shown]
	v_mad_u64_u32 v[25:26], null, v12, s12, 0
	v_add3_u32 v22, v22, v27, v2
	v_add3_u32 v2, v31, v16, v20
	v_mul_lo_u32 v35, v19, s16
	v_add3_u32 v24, v24, v29, v30
	v_mul_lo_u32 v29, v15, s13
	v_lshlrev_b64 v[20:21], 2, v[21:22]
	v_add3_u32 v26, v26, v32, v28
	v_mul_lo_u32 v16, v2, s12
	v_mad_u64_u32 v[27:28], null, v15, s12, 0
	v_lshlrev_b64 v[22:23], 2, v[23:24]
	v_lshlrev_b64 v[24:25], 2, v[25:26]
	v_add_co_u32 v20, vcc_lo, s6, v20
	v_add_co_ci_u32_e64 v21, null, s7, v21, vcc_lo
	v_add3_u32 v28, v28, v29, v16
	v_add_co_u32 v22, vcc_lo, s6, v22
	v_add_co_ci_u32_e64 v23, null, s7, v23, vcc_lo
	v_add_co_u32 v29, vcc_lo, s6, v24
	v_add_co_ci_u32_e64 v30, null, s7, v25, vcc_lo
	v_lshlrev_b64 v[24:25], 2, v[27:28]
	v_mul_lo_u32 v16, v11, s17
	v_mul_lo_u32 v28, v0, s16
	v_mad_u64_u32 v[26:27], null, v11, s16, 0
	v_mul_lo_u32 v36, v14, s17
	v_mad_u64_u32 v[31:32], null, v14, s16, 0
	v_add_co_u32 v33, vcc_lo, s6, v24
	v_add_co_ci_u32_e64 v34, null, s7, v25, vcc_lo
	v_add3_u32 v27, v27, v16, v28
	v_mul_lo_u32 v16, v13, s16
	v_mul_lo_u32 v28, v12, s17
	v_mad_u64_u32 v[24:25], null, v12, s16, 0
	v_add3_u32 v32, v32, v36, v35
	v_mul_lo_u32 v39, v2, s16
	v_mul_lo_u32 v40, v15, s17
	v_mad_u64_u32 v[35:36], null, v15, s16, 0
	v_lshlrev_b64 v[26:27], 2, v[26:27]
	v_lshlrev_b64 v[31:32], 2, v[31:32]
	v_add3_u32 v25, v25, v28, v16
	v_add3_u32 v36, v36, v40, v39
	v_add_co_u32 v37, vcc_lo, s14, v26
	v_add_co_ci_u32_e64 v38, null, s15, v27, vcc_lo
	v_lshlrev_b64 v[24:25], 2, v[24:25]
	v_add_co_u32 v27, vcc_lo, s14, v31
	v_add_co_ci_u32_e64 v28, null, s15, v32, vcc_lo
	v_lshlrev_b64 v[31:32], 2, v[35:36]
	v_add_co_u32 v35, vcc_lo, s14, v24
	v_add_co_ci_u32_e64 v36, null, s15, v25, vcc_lo
	v_add_co_u32 v31, vcc_lo, s14, v31
	v_add_co_ci_u32_e64 v32, null, s15, v32, vcc_lo
	s_clause 0x3
	global_load_dword v24, v[20:21], off
	global_load_dword v22, v[22:23], off
	global_load_dword v26, v[29:30], off
	global_load_dword v16, v[33:34], off
	s_clause 0x3
	global_load_dword v25, v[37:38], off
	global_load_dword v23, v[27:28], off
	;; [unrolled: 1-line block ×5, first 2 shown]
	s_andn2_b32 vcc_lo, exec_lo, s39
	s_cbranch_vccnz .LBB6_9
; %bb.8:                                ;   in Loop: Header=BB6_3 Depth=1
	v_sub_co_u32 v30, vcc_lo, 1, v17
	v_sub_co_ci_u32_e64 v31, null, 0, v18, vcc_lo
	v_mad_u64_u32 v[28:29], null, s42, v17, v[3:4]
	v_mul_lo_u32 v32, s42, v18
	v_mul_lo_u32 v33, s43, v17
	;; [unrolled: 1-line block ×4, first 2 shown]
	v_mad_u64_u32 v[30:31], null, s8, v30, v[3:4]
	v_mul_lo_u32 v38, v28, s19
	v_add3_u32 v29, v33, v29, v32
	v_sub_co_u32 v33, vcc_lo, 2, v17
	v_add3_u32 v40, v35, v31, v34
	v_sub_co_ci_u32_e64 v34, null, 0, v18, vcc_lo
	v_mul_lo_u32 v36, s9, v33
	v_sub_co_u32 v37, vcc_lo, 3, v17
	v_mul_lo_u32 v35, s8, v34
	v_mad_u64_u32 v[33:34], null, s8, v33, v[3:4]
	v_sub_co_ci_u32_e64 v42, null, 0, v18, vcc_lo
	v_mul_lo_u32 v41, v40, s18
	v_mul_lo_u32 v43, v30, s19
	v_mad_u64_u32 v[17:18], null, v30, s18, 0
	v_add3_u32 v44, v36, v34, v35
	v_mul_lo_u32 v42, s8, v42
	v_mul_lo_u32 v45, s9, v37
	v_mad_u64_u32 v[34:35], null, s8, v37, v[3:4]
	v_mul_lo_u32 v39, v29, s18
	v_mad_u64_u32 v[31:32], null, v28, s18, 0
	v_add3_u32 v18, v18, v43, v41
	v_mul_lo_u32 v46, v44, s18
	v_mul_lo_u32 v47, v33, s19
	v_add3_u32 v43, v45, v35, v42
	v_mad_u64_u32 v[36:37], null, v33, s18, 0
	v_add3_u32 v32, v32, v38, v39
	v_mul_lo_u32 v42, v34, s19
	v_mul_lo_u32 v41, v43, s18
	v_mad_u64_u32 v[38:39], null, v34, s18, 0
	v_mul_lo_u32 v45, v40, s22
	v_add3_u32 v37, v37, v47, v46
	v_mul_lo_u32 v46, v30, s23
	v_lshlrev_b64 v[31:32], 2, v[31:32]
	v_mul_lo_u32 v43, v43, s22
	v_lshlrev_b64 v[17:18], 2, v[17:18]
	v_add3_u32 v39, v39, v42, v41
	v_mul_lo_u32 v41, v28, s23
	v_mul_lo_u32 v42, v29, s22
	v_mad_u64_u32 v[28:29], null, v28, s22, 0
	v_lshlrev_b64 v[35:36], 2, v[36:37]
	v_lshlrev_b64 v[37:38], 2, v[38:39]
	v_mad_u64_u32 v[39:40], null, v30, s22, 0
	v_mul_lo_u32 v30, v44, s22
	v_mul_lo_u32 v44, v33, s23
	v_add3_u32 v29, v29, v41, v42
	v_mad_u64_u32 v[41:42], null, v33, s22, 0
	v_add_co_u32 v31, vcc_lo, s2, v31
	v_add3_u32 v40, v40, v46, v45
	v_mul_lo_u32 v45, v34, s23
	v_mad_u64_u32 v[33:34], null, v34, s22, 0
	v_add3_u32 v42, v42, v44, v30
	v_add_co_ci_u32_e64 v32, null, s3, v32, vcc_lo
	v_add_co_u32 v17, vcc_lo, s2, v17
	v_lshlrev_b64 v[28:29], 2, v[28:29]
	v_add3_u32 v34, v34, v45, v43
	v_add_co_ci_u32_e64 v18, null, s3, v18, vcc_lo
	v_add_co_u32 v35, vcc_lo, s2, v35
	v_lshlrev_b64 v[39:40], 2, v[39:40]
	v_add_co_ci_u32_e64 v36, null, s3, v36, vcc_lo
	v_add_co_u32 v37, vcc_lo, s2, v37
	v_lshlrev_b64 v[41:42], 2, v[41:42]
	;; [unrolled: 3-line block ×3, first 2 shown]
	v_add_co_ci_u32_e64 v29, null, s21, v29, vcc_lo
	v_add_co_u32 v39, vcc_lo, s20, v39
	v_add_co_ci_u32_e64 v40, null, s21, v40, vcc_lo
	v_add_co_u32 v41, vcc_lo, s20, v41
	;; [unrolled: 2-line block ×3, first 2 shown]
	v_add_co_ci_u32_e64 v44, null, s21, v34, vcc_lo
	s_clause 0x3
	global_load_dword v31, v[31:32], off
	global_load_dword v30, v[17:18], off
	;; [unrolled: 1-line block ×4, first 2 shown]
	s_clause 0x3
	global_load_dword v29, v[28:29], off
	global_load_dword v28, v[39:40], off
	;; [unrolled: 1-line block ×4, first 2 shown]
	s_branch .LBB6_10
.LBB6_9:                                ;   in Loop: Header=BB6_3 Depth=1
	v_mov_b32_e32 v28, 0
	v_mov_b32_e32 v32, 0
	;; [unrolled: 1-line block ×8, first 2 shown]
.LBB6_10:                               ;   in Loop: Header=BB6_3 Depth=1
	s_waitcnt vmcnt(2)
	v_add_f32_e32 v26, v26, v27
                                        ; implicit-def: $vgpr27
	v_add_f32_e32 v26, v26, v33
	s_waitcnt vmcnt(1)
	v_add_f32_e32 v26, v32, v26
	v_cmp_ngt_f32_e64 s0, 0x3f200000, |v26|
	s_and_saveexec_b32 s1, s0
	s_xor_b32 s0, exec_lo, s1
	s_cbranch_execz .LBB6_12
; %bb.11:                               ;   in Loop: Header=BB6_3 Depth=1
	v_add_f32_e64 v27, |v26|, |v26|
	v_mul_f32_e32 v32, 0x3fb8aa3b, v27
	v_cmp_ngt_f32_e32 vcc_lo, 0xc2ce8ed0, v27
	v_rndne_f32_e32 v33, v32
	v_fma_f32 v34, 0x3fb8aa3b, v27, -v32
	v_sub_f32_e32 v32, v32, v33
	v_fmac_f32_e32 v34, 0x32a5705f, v27
	v_cvt_i32_f32_e32 v33, v33
	v_add_f32_e32 v32, v32, v34
	v_exp_f32_e32 v32, v32
	v_ldexp_f32 v32, v32, v33
	v_cndmask_b32_e32 v32, 0, v32, vcc_lo
	v_cmp_nlt_f32_e32 vcc_lo, 0x42b17218, v27
	v_cndmask_b32_e32 v27, 0x7f800000, v32, vcc_lo
	v_add_f32_e32 v27, 1.0, v27
	v_rcp_f32_e32 v27, v27
	v_fma_f32 v27, v27, -2.0, 1.0
.LBB6_12:                               ;   in Loop: Header=BB6_3 Depth=1
	s_andn2_saveexec_b32 s0, s0
	s_cbranch_execz .LBB6_14
; %bb.13:                               ;   in Loop: Header=BB6_3 Depth=1
	v_mul_f32_e32 v27, v26, v26
	v_fmaak_f32 v32, s44, v27, 0x3ca908c9
	v_fmaak_f32 v32, v27, v32, 0xbd5c1c4e
	;; [unrolled: 1-line block ×4, first 2 shown]
	v_mul_f32_e64 v32, |v26|, v32
	v_fma_f32 v27, v27, v32, |v26|
.LBB6_14:                               ;   in Loop: Header=BB6_3 Depth=1
	s_or_b32 exec_lo, exec_lo, s0
	v_add_f32_e32 v24, v24, v25
	v_add_f32_e32 v22, v22, v23
	;; [unrolled: 1-line block ×6, first 2 shown]
	v_mul_f32_e32 v24, 0xbfb8aa3b, v23
	v_mul_f32_e32 v25, 0xbfb8aa3b, v22
	v_cmp_nlt_f32_e32 vcc_lo, 0x42ce8ed0, v23
	v_fma_f32 v28, 0xbfb8aa3b, v23, -v24
	v_rndne_f32_e32 v29, v24
	v_fma_f32 v30, 0xbfb8aa3b, v22, -v25
	v_rndne_f32_e32 v31, v25
	v_fmac_f32_e32 v28, 0xb2a5705f, v23
	v_sub_f32_e32 v24, v24, v29
	v_fmac_f32_e32 v30, 0xb2a5705f, v22
	v_sub_f32_e32 v25, v25, v31
	v_add_f32_e32 v24, v24, v28
	v_cvt_i32_f32_e32 v28, v29
	v_add_f32_e32 v25, v25, v30
	v_cvt_i32_f32_e32 v29, v31
	v_exp_f32_e32 v24, v24
	v_exp_f32_e32 v25, v25
	v_ldexp_f32 v24, v24, v28
	v_ldexp_f32 v25, v25, v29
	v_cndmask_b32_e32 v24, 0, v24, vcc_lo
	v_cmp_nlt_f32_e32 vcc_lo, 0x42ce8ed0, v22
	v_cndmask_b32_e32 v25, 0, v25, vcc_lo
	v_cmp_ngt_f32_e32 vcc_lo, 0xc2b17218, v23
	v_cndmask_b32_e32 v23, 0x7f800000, v24, vcc_lo
	v_cmp_ngt_f32_e32 vcc_lo, 0xc2b17218, v22
	v_add_f32_e32 v23, 1.0, v23
	v_cndmask_b32_e32 v22, 0x7f800000, v25, vcc_lo
	v_div_scale_f32 v32, vcc_lo, 1.0, v23, 1.0
	v_add_f32_e32 v25, 1.0, v22
	v_div_scale_f32 v22, null, v23, v23, 1.0
	v_div_scale_f32 v24, null, v25, v25, 1.0
	v_rcp_f32_e32 v28, v22
	v_rcp_f32_e32 v29, v24
	v_fma_f32 v30, -v22, v28, 1.0
	v_fma_f32 v31, -v24, v29, 1.0
	v_fmac_f32_e32 v28, v30, v28
	v_div_scale_f32 v30, s0, 1.0, v25, 1.0
	v_fmac_f32_e32 v29, v31, v29
	v_mul_f32_e32 v31, v32, v28
	v_mul_f32_e32 v33, v30, v29
	v_fma_f32 v34, -v22, v31, v32
	v_fma_f32 v35, -v24, v33, v30
	v_fmac_f32_e32 v31, v34, v28
	v_fmac_f32_e32 v33, v35, v29
	v_fma_f32 v22, -v22, v31, v32
	v_fma_f32 v24, -v24, v33, v30
	v_div_fmas_f32 v22, v22, v28, v31
	s_mov_b32 vcc_lo, s0
	v_div_fmas_f32 v28, v24, v29, v33
	v_div_fixup_f32 v24, v22, v23, 1.0
	v_bfi_b32 v22, 0x7fffffff, v27, v26
	v_div_fixup_f32 v23, v28, v25, 1.0
	v_mul_f32_e32 v25, v24, v22
	s_waitcnt vmcnt(0)
	v_fmac_f32_e32 v25, v21, v23
                                        ; implicit-def: $vgpr21
	v_cmp_ngt_f32_e64 s0, 0x3f200000, |v25|
	s_and_saveexec_b32 s1, s0
	s_xor_b32 s0, exec_lo, s1
	s_cbranch_execz .LBB6_16
; %bb.15:                               ;   in Loop: Header=BB6_3 Depth=1
	v_add_f32_e64 v21, |v25|, |v25|
	v_mul_f32_e32 v26, 0x3fb8aa3b, v21
	v_cmp_ngt_f32_e32 vcc_lo, 0xc2ce8ed0, v21
	v_rndne_f32_e32 v27, v26
	v_fma_f32 v28, 0x3fb8aa3b, v21, -v26
	v_sub_f32_e32 v26, v26, v27
	v_fmac_f32_e32 v28, 0x32a5705f, v21
	v_cvt_i32_f32_e32 v27, v27
	v_add_f32_e32 v26, v26, v28
	v_exp_f32_e32 v26, v26
	v_ldexp_f32 v26, v26, v27
	v_cndmask_b32_e32 v26, 0, v26, vcc_lo
	v_cmp_nlt_f32_e32 vcc_lo, 0x42b17218, v21
	v_cndmask_b32_e32 v21, 0x7f800000, v26, vcc_lo
	v_add_f32_e32 v21, 1.0, v21
	v_rcp_f32_e32 v21, v21
	v_fma_f32 v21, v21, -2.0, 1.0
.LBB6_16:                               ;   in Loop: Header=BB6_3 Depth=1
	s_andn2_saveexec_b32 s0, s0
	s_cbranch_execz .LBB6_2
; %bb.17:                               ;   in Loop: Header=BB6_3 Depth=1
	v_mul_f32_e32 v21, v25, v25
	v_fmaak_f32 v26, s44, v21, 0x3ca908c9
	v_fmaak_f32 v26, v21, v26, 0xbd5c1c4e
	;; [unrolled: 1-line block ×4, first 2 shown]
	v_mul_f32_e64 v26, |v25|, v26
	v_fma_f32 v21, v21, v26, |v25|
	s_branch .LBB6_2
.LBB6_18:
	s_endpgm
	.section	.rodata,"a",@progbits
	.p2align	6, 0x0
	.amdhsa_kernel _ZN2at6native12_GLOBAL__N_16kernel17lstm_cell_forwardIfflLi1EEEvNS_4cuda6detail10TensorInfoIT_T1_EES9_S9_S9_S9_S9_S9_S9_S8_S8_
		.amdhsa_group_segment_fixed_size 0
		.amdhsa_private_segment_fixed_size 0
		.amdhsa_kernarg_size 3600
		.amdhsa_user_sgpr_count 6
		.amdhsa_user_sgpr_private_segment_buffer 1
		.amdhsa_user_sgpr_dispatch_ptr 0
		.amdhsa_user_sgpr_queue_ptr 0
		.amdhsa_user_sgpr_kernarg_segment_ptr 1
		.amdhsa_user_sgpr_dispatch_id 0
		.amdhsa_user_sgpr_flat_scratch_init 0
		.amdhsa_user_sgpr_private_segment_size 0
		.amdhsa_wavefront_size32 1
		.amdhsa_uses_dynamic_stack 0
		.amdhsa_system_sgpr_private_segment_wavefront_offset 0
		.amdhsa_system_sgpr_workgroup_id_x 1
		.amdhsa_system_sgpr_workgroup_id_y 0
		.amdhsa_system_sgpr_workgroup_id_z 0
		.amdhsa_system_sgpr_workgroup_info 0
		.amdhsa_system_vgpr_workitem_id 0
		.amdhsa_next_free_vgpr 48
		.amdhsa_next_free_sgpr 54
		.amdhsa_reserve_vcc 1
		.amdhsa_reserve_flat_scratch 0
		.amdhsa_float_round_mode_32 0
		.amdhsa_float_round_mode_16_64 0
		.amdhsa_float_denorm_mode_32 3
		.amdhsa_float_denorm_mode_16_64 3
		.amdhsa_dx10_clamp 1
		.amdhsa_ieee_mode 1
		.amdhsa_fp16_overflow 0
		.amdhsa_workgroup_processor_mode 1
		.amdhsa_memory_ordered 1
		.amdhsa_forward_progress 1
		.amdhsa_shared_vgpr_count 0
		.amdhsa_exception_fp_ieee_invalid_op 0
		.amdhsa_exception_fp_denorm_src 0
		.amdhsa_exception_fp_ieee_div_zero 0
		.amdhsa_exception_fp_ieee_overflow 0
		.amdhsa_exception_fp_ieee_underflow 0
		.amdhsa_exception_fp_ieee_inexact 0
		.amdhsa_exception_int_div_zero 0
	.end_amdhsa_kernel
	.section	.text._ZN2at6native12_GLOBAL__N_16kernel17lstm_cell_forwardIfflLi1EEEvNS_4cuda6detail10TensorInfoIT_T1_EES9_S9_S9_S9_S9_S9_S9_S8_S8_,"axG",@progbits,_ZN2at6native12_GLOBAL__N_16kernel17lstm_cell_forwardIfflLi1EEEvNS_4cuda6detail10TensorInfoIT_T1_EES9_S9_S9_S9_S9_S9_S9_S8_S8_,comdat
.Lfunc_end6:
	.size	_ZN2at6native12_GLOBAL__N_16kernel17lstm_cell_forwardIfflLi1EEEvNS_4cuda6detail10TensorInfoIT_T1_EES9_S9_S9_S9_S9_S9_S9_S8_S8_, .Lfunc_end6-_ZN2at6native12_GLOBAL__N_16kernel17lstm_cell_forwardIfflLi1EEEvNS_4cuda6detail10TensorInfoIT_T1_EES9_S9_S9_S9_S9_S9_S9_S8_S8_
                                        ; -- End function
	.set _ZN2at6native12_GLOBAL__N_16kernel17lstm_cell_forwardIfflLi1EEEvNS_4cuda6detail10TensorInfoIT_T1_EES9_S9_S9_S9_S9_S9_S9_S8_S8_.num_vgpr, 48
	.set _ZN2at6native12_GLOBAL__N_16kernel17lstm_cell_forwardIfflLi1EEEvNS_4cuda6detail10TensorInfoIT_T1_EES9_S9_S9_S9_S9_S9_S9_S8_S8_.num_agpr, 0
	.set _ZN2at6native12_GLOBAL__N_16kernel17lstm_cell_forwardIfflLi1EEEvNS_4cuda6detail10TensorInfoIT_T1_EES9_S9_S9_S9_S9_S9_S9_S8_S8_.numbered_sgpr, 54
	.set _ZN2at6native12_GLOBAL__N_16kernel17lstm_cell_forwardIfflLi1EEEvNS_4cuda6detail10TensorInfoIT_T1_EES9_S9_S9_S9_S9_S9_S9_S8_S8_.num_named_barrier, 0
	.set _ZN2at6native12_GLOBAL__N_16kernel17lstm_cell_forwardIfflLi1EEEvNS_4cuda6detail10TensorInfoIT_T1_EES9_S9_S9_S9_S9_S9_S9_S8_S8_.private_seg_size, 0
	.set _ZN2at6native12_GLOBAL__N_16kernel17lstm_cell_forwardIfflLi1EEEvNS_4cuda6detail10TensorInfoIT_T1_EES9_S9_S9_S9_S9_S9_S9_S8_S8_.uses_vcc, 1
	.set _ZN2at6native12_GLOBAL__N_16kernel17lstm_cell_forwardIfflLi1EEEvNS_4cuda6detail10TensorInfoIT_T1_EES9_S9_S9_S9_S9_S9_S9_S8_S8_.uses_flat_scratch, 0
	.set _ZN2at6native12_GLOBAL__N_16kernel17lstm_cell_forwardIfflLi1EEEvNS_4cuda6detail10TensorInfoIT_T1_EES9_S9_S9_S9_S9_S9_S9_S8_S8_.has_dyn_sized_stack, 0
	.set _ZN2at6native12_GLOBAL__N_16kernel17lstm_cell_forwardIfflLi1EEEvNS_4cuda6detail10TensorInfoIT_T1_EES9_S9_S9_S9_S9_S9_S9_S8_S8_.has_recursion, 0
	.set _ZN2at6native12_GLOBAL__N_16kernel17lstm_cell_forwardIfflLi1EEEvNS_4cuda6detail10TensorInfoIT_T1_EES9_S9_S9_S9_S9_S9_S9_S8_S8_.has_indirect_call, 0
	.section	.AMDGPU.csdata,"",@progbits
; Kernel info:
; codeLenInByte = 4064
; TotalNumSgprs: 56
; NumVgprs: 48
; ScratchSize: 0
; MemoryBound: 0
; FloatMode: 240
; IeeeMode: 1
; LDSByteSize: 0 bytes/workgroup (compile time only)
; SGPRBlocks: 0
; VGPRBlocks: 5
; NumSGPRsForWavesPerEU: 56
; NumVGPRsForWavesPerEU: 48
; Occupancy: 16
; WaveLimiterHint : 1
; COMPUTE_PGM_RSRC2:SCRATCH_EN: 0
; COMPUTE_PGM_RSRC2:USER_SGPR: 6
; COMPUTE_PGM_RSRC2:TRAP_HANDLER: 0
; COMPUTE_PGM_RSRC2:TGID_X_EN: 1
; COMPUTE_PGM_RSRC2:TGID_Y_EN: 0
; COMPUTE_PGM_RSRC2:TGID_Z_EN: 0
; COMPUTE_PGM_RSRC2:TIDIG_COMP_CNT: 0
	.section	.text._ZN2at6native12_GLOBAL__N_16kernel17lstm_cell_forwardIfflLi2EEEvNS_4cuda6detail10TensorInfoIT_T1_EES9_S9_S9_S9_S9_S9_S9_S8_S8_,"axG",@progbits,_ZN2at6native12_GLOBAL__N_16kernel17lstm_cell_forwardIfflLi2EEEvNS_4cuda6detail10TensorInfoIT_T1_EES9_S9_S9_S9_S9_S9_S9_S8_S8_,comdat
	.globl	_ZN2at6native12_GLOBAL__N_16kernel17lstm_cell_forwardIfflLi2EEEvNS_4cuda6detail10TensorInfoIT_T1_EES9_S9_S9_S9_S9_S9_S9_S8_S8_ ; -- Begin function _ZN2at6native12_GLOBAL__N_16kernel17lstm_cell_forwardIfflLi2EEEvNS_4cuda6detail10TensorInfoIT_T1_EES9_S9_S9_S9_S9_S9_S9_S8_S8_
	.p2align	8
	.type	_ZN2at6native12_GLOBAL__N_16kernel17lstm_cell_forwardIfflLi2EEEvNS_4cuda6detail10TensorInfoIT_T1_EES9_S9_S9_S9_S9_S9_S9_S8_S8_,@function
_ZN2at6native12_GLOBAL__N_16kernel17lstm_cell_forwardIfflLi2EEEvNS_4cuda6detail10TensorInfoIT_T1_EES9_S9_S9_S9_S9_S9_S9_S8_S8_: ; @_ZN2at6native12_GLOBAL__N_16kernel17lstm_cell_forwardIfflLi2EEEvNS_4cuda6detail10TensorInfoIT_T1_EES9_S9_S9_S9_S9_S9_S9_S8_S8_
; %bb.0:
	s_clause 0x1
	s_load_dword s2, s[4:5], 0xd1c
	s_load_dwordx4 s[8:11], s[4:5], 0xd00
	v_mov_b32_e32 v1, 0
	s_add_u32 s0, s4, 0xd10
	s_addc_u32 s1, s5, 0
	s_waitcnt lgkmcnt(0)
	s_and_b32 s64, s2, 0xffff
	s_mov_b32 s2, exec_lo
	v_mad_u64_u32 v[3:4], null, s6, s64, v[0:1]
	v_mov_b32_e32 v4, v1
	v_cmpx_gt_i64_e64 s[10:11], v[3:4]
	s_cbranch_execz .LBB7_78
; %bb.1:
	v_cvt_f32_u32_e32 v0, s8
	s_clause 0x6
	s_load_dwordx2 s[2:3], s[4:5], 0x0
	s_load_dwordx2 s[34:35], s[4:5], 0x10
	s_load_dwordx4 s[12:15], s[4:5], 0xd0
	s_load_dwordx2 s[36:37], s[4:5], 0x1a0
	s_load_dwordx2 s[38:39], s[4:5], 0x340
	;; [unrolled: 1-line block ×3, first 2 shown]
	s_load_dwordx4 s[16:19], s[4:5], 0x270
	s_load_dword s0, s[0:1], 0x0
	s_clause 0xe
	s_load_dwordx2 s[42:43], s[4:5], 0x410
	s_load_dwordx2 s[44:45], s[4:5], 0x4e0
	;; [unrolled: 1-line block ×5, first 2 shown]
	s_load_dwordx4 s[20:23], s[4:5], 0x750
	s_load_dwordx2 s[52:53], s[4:5], 0x820
	s_load_dwordx2 s[54:55], s[4:5], 0x830
	s_load_dwordx4 s[24:27], s[4:5], 0x8f0
	s_load_dwordx2 s[56:57], s[4:5], 0x9c0
	s_load_dwordx2 s[58:59], s[4:5], 0x9d0
	s_load_dwordx4 s[28:31], s[4:5], 0xa90
	s_load_dwordx2 s[60:61], s[4:5], 0xb60
	s_load_dwordx2 s[62:63], s[4:5], 0xb70
	s_load_dwordx4 s[4:7], s[4:5], 0xc30
	s_mul_hi_u32 s1, s8, 3
	s_mov_b32 s69, 0
	v_rcp_iflag_f32_e32 v0, v0
	s_mul_i32 s71, s8, 3
	s_waitcnt lgkmcnt(0)
	s_cmp_lg_u64 s[38:39], 0
	s_mov_b32 s80, 0xbbbac73d
	s_cselect_b32 s33, -1, 0
	s_mul_i32 s68, s0, s64
	s_mul_i32 s0, s9, 3
	s_add_i32 s70, s1, s0
	s_sub_u32 s72, 0, s8
	v_mul_f32_e32 v0, 0x4f7ffffe, v0
	s_subb_u32 s73, 0, s9
	s_sub_u32 s74, 0, s50
	s_subb_u32 s75, 0, s51
	s_sub_u32 s76, 0, s54
	v_cvt_u32_f32_e32 v0, v0
	s_subb_u32 s77, 0, s55
	s_sub_u32 s78, 0, s58
	s_subb_u32 s79, 0, s59
	s_branch .LBB7_3
.LBB7_2:                                ;   in Loop: Header=BB7_3 Depth=1
	s_or_b32 exec_lo, exec_lo, s0
	v_add_f32_e32 v29, v31, v37
	v_mul_lo_u32 v39, s79, v25
	v_mul_lo_u32 v40, v26, s28
	;; [unrolled: 1-line block ×4, first 2 shown]
	v_add_f32_e32 v29, v29, v35
	v_mul_lo_u32 v43, s77, v23
	v_mul_lo_u32 v46, v22, s62
	;; [unrolled: 1-line block ×4, first 2 shown]
	v_add_f32_e32 v37, v38, v29
	v_mad_u64_u32 v[29:30], null, s78, v25, v[3:4]
	v_mul_lo_u32 v38, s78, v26
	v_mad_u64_u32 v[25:26], null, v25, s28, 0
	v_mul_f32_e32 v31, 0xbfb8aa3b, v37
	v_cmp_nlt_f32_e32 vcc_lo, 0x42ce8ed0, v37
	v_mul_lo_u32 v45, v23, s25
	v_mul_lo_u32 v48, v22, s4
	;; [unrolled: 1-line block ×3, first 2 shown]
	v_fma_f32 v33, 0xbfb8aa3b, v37, -v31
	v_rndne_f32_e32 v34, v31
	v_add3_u32 v26, v26, v41, v40
	v_add3_u32 v38, v39, v30, v38
	v_mul_lo_u32 v39, v29, s31
	v_fmac_f32_e32 v33, 0xb2a5705f, v37
	v_sub_f32_e32 v35, v31, v34
	v_cvt_i32_f32_e32 v36, v34
	v_mad_u64_u32 v[31:32], null, s76, v23, v[3:4]
	v_mad_u64_u32 v[23:24], null, v23, s24, 0
	v_add_f32_e32 v33, v35, v33
	v_mad_u64_u32 v[29:30], null, v29, s30, 0
	v_mul_lo_u32 v38, v38, s30
	v_add3_u32 v40, v43, v32, v42
	v_exp_f32_e32 v35, v33
	v_mad_u64_u32 v[33:34], null, v21, s62, 0
	v_mad_u64_u32 v[21:22], null, v21, s4, 0
	v_add3_u32 v24, v24, v45, v44
	v_mul_lo_u32 v41, v31, s27
	v_mad_u64_u32 v[31:32], null, v31, s26, 0
	v_add3_u32 v34, v34, v47, v46
	v_ldexp_f32 v35, v35, v36
	v_add3_u32 v22, v22, v49, v48
	v_mul_lo_u32 v40, v40, s26
	v_lshlrev_b64 v[25:26], 2, v[25:26]
	v_add3_u32 v30, v30, v39, v38
	v_cndmask_b32_e32 v51, 0, v35, vcc_lo
	v_cmp_ngt_f32_e32 vcc_lo, 0xc2b17218, v37
	v_lshlrev_b64 v[23:24], 2, v[23:24]
	v_mul_lo_u32 v50, v20, s62
	v_mul_lo_u32 v52, v19, s63
	v_add3_u32 v32, v32, v41, v40
	v_cndmask_b32_e32 v37, 0x7f800000, v51, vcc_lo
	v_sub_co_u32 v13, vcc_lo, v13, v33
	v_sub_co_ci_u32_e64 v33, null, v14, v34, vcc_lo
	v_add_f32_e32 v37, 1.0, v37
	v_add_co_u32 v44, vcc_lo, v3, v13
	v_lshlrev_b64 v[13:14], 2, v[21:22]
	v_add_co_ci_u32_e64 v21, null, v4, v33, vcc_lo
	v_div_scale_f32 v42, null, v37, v37, 1.0
	v_div_scale_f32 v45, s0, 1.0, v37, 1.0
	v_mad_u64_u32 v[35:36], null, v19, s62, 0
	v_rcp_f32_e32 v43, v42
	v_add_co_u32 v25, vcc_lo, s56, v25
	v_mul_lo_u32 v39, v21, s6
	v_lshlrev_b64 v[21:22], 2, v[29:30]
	v_add_co_ci_u32_e64 v26, null, s57, v26, vcc_lo
	v_add_co_u32 v29, vcc_lo, s52, v23
	v_add_co_ci_u32_e64 v30, null, s53, v24, vcc_lo
	v_fma_f32 v34, -v42, v43, 1.0
	v_lshlrev_b64 v[23:24], 2, v[31:32]
	v_add_co_u32 v21, vcc_lo, v25, v21
	v_add3_u32 v36, v36, v52, v50
	v_fmac_f32_e32 v43, v34, v43
	v_add_co_ci_u32_e64 v22, null, v26, v22, vcc_lo
	s_mov_b32 vcc_lo, s0
	v_sub_co_u32 v34, s1, v11, v35
	v_mul_f32_e32 v33, v45, v43
	v_sub_co_ci_u32_e64 v35, null, v12, v36, s1
	v_mul_lo_u32 v36, v44, s7
	v_mad_u64_u32 v[11:12], null, v44, s6, 0
	v_fma_f32 v38, -v42, v33, v45
	v_mul_lo_u32 v32, v18, s62
	v_fmac_f32_e32 v33, v38, v43
	v_add3_u32 v12, v12, v36, v39
	v_mul_lo_u32 v36, v20, s4
	v_fma_f32 v31, -v42, v33, v45
	v_lshlrev_b64 v[11:12], 2, v[11:12]
	v_div_fmas_f32 v25, v31, v43, v33
	v_add_co_u32 v23, vcc_lo, v29, v23
	v_add_co_ci_u32_e64 v24, null, v30, v24, vcc_lo
	v_add_co_u32 v29, vcc_lo, s60, v13
	v_add_co_ci_u32_e64 v30, null, s61, v14, vcc_lo
	v_mul_lo_u32 v33, v17, s63
	v_mad_u64_u32 v[13:14], null, v17, s62, 0
	v_div_fixup_f32 v31, v25, v37, 1.0
	v_add_co_u32 v25, vcc_lo, v3, v34
	v_add_co_ci_u32_e64 v26, null, v4, v35, vcc_lo
	v_mul_lo_u32 v37, v19, s5
	v_mad_u64_u32 v[19:20], null, v19, s4, 0
	v_add3_u32 v14, v14, v33, v32
	v_sub_co_u32 v7, vcc_lo, v7, v13
	v_mul_lo_u32 v34, v26, s6
	v_mul_lo_u32 v35, v25, s7
	v_mad_u64_u32 v[25:26], null, v25, s6, 0
	v_sub_co_ci_u32_e64 v8, null, v8, v14, vcc_lo
	v_add3_u32 v20, v20, v37, v36
	v_add_co_u32 v13, vcc_lo, v3, v7
	v_add_co_ci_u32_e64 v14, null, v4, v8, vcc_lo
	v_add_co_u32 v7, vcc_lo, v29, v11
	v_add_co_ci_u32_e64 v8, null, v30, v12, vcc_lo
	v_add3_u32 v26, v26, v35, v34
	v_lshlrev_b64 v[11:12], 2, v[19:20]
	v_mul_lo_u32 v33, v18, s4
	v_mul_lo_u32 v34, v16, s62
	;; [unrolled: 1-line block ×3, first 2 shown]
	v_mad_u64_u32 v[18:19], null, v15, s62, 0
	v_add_co_u32 v37, vcc_lo, s60, v11
	v_mul_lo_u32 v20, v14, s6
	v_mul_lo_u32 v32, v13, s7
	v_mad_u64_u32 v[13:14], null, v13, s6, 0
	v_add3_u32 v11, v19, v35, v34
	v_mul_lo_u32 v36, v17, s5
	v_mad_u64_u32 v[29:30], null, v17, s4, 0
	v_add_co_ci_u32_e64 v38, null, s61, v12, vcc_lo
	v_sub_co_u32 v5, vcc_lo, v5, v18
	v_sub_co_ci_u32_e64 v6, null, v6, v11, vcc_lo
	v_add3_u32 v14, v14, v32, v20
	v_add_co_u32 v17, vcc_lo, v3, v5
	v_add_co_ci_u32_e64 v18, null, v4, v6, vcc_lo
	v_mul_lo_u32 v19, v16, s4
	v_mul_lo_u32 v20, v15, s5
	v_mad_u64_u32 v[5:6], null, v15, s4, 0
	v_add3_u32 v30, v30, v36, v33
	v_lshlrev_b64 v[11:12], 2, v[25:26]
	v_mul_lo_u32 v25, v18, s6
	v_mul_lo_u32 v26, v17, s7
	v_mad_u64_u32 v[17:18], null, v17, s6, 0
	v_lshlrev_b64 v[15:16], 2, v[29:30]
	v_add3_u32 v6, v6, v20, v19
	v_lshlrev_b64 v[13:14], 2, v[13:14]
	v_add_co_u32 v11, s0, v37, v11
	v_add_co_ci_u32_e64 v12, null, v38, v12, s0
	v_add_co_u32 v15, vcc_lo, s60, v15
	v_lshlrev_b64 v[5:6], 2, v[5:6]
	v_add_co_ci_u32_e64 v16, null, s61, v16, vcc_lo
	v_add3_u32 v18, v18, v26, v25
	v_add_co_u32 v13, vcc_lo, v15, v13
	v_add_co_ci_u32_e64 v14, null, v16, v14, vcc_lo
	v_add_co_u32 v15, vcc_lo, s60, v5
	v_add_co_ci_u32_e64 v16, null, s61, v6, vcc_lo
	v_lshlrev_b64 v[5:6], 2, v[17:18]
	v_add_co_u32 v3, vcc_lo, v3, s68
	v_add_co_ci_u32_e64 v4, null, 0, v4, vcc_lo
	v_bfi_b32 v17, 0x7fffffff, v28, v27
	v_add_co_u32 v5, vcc_lo, v15, v5
	v_add_co_ci_u32_e64 v6, null, v16, v6, vcc_lo
	v_cmp_le_i64_e32 vcc_lo, s[10:11], v[3:4]
	v_mul_f32_e32 v15, v31, v17
	global_store_dword v[23:24], v15, off
	global_store_dword v[21:22], v27, off
	;; [unrolled: 1-line block ×4, first 2 shown]
	s_or_b32 s69, vcc_lo, s69
	global_store_dword v[11:12], v2, off
	global_store_dword v[7:8], v31, off
	s_andn2_b32 exec_lo, exec_lo, s69
	s_cbranch_execz .LBB7_78
.LBB7_3:                                ; =>This Inner Loop Header: Depth=1
	v_or_b32_e32 v2, s9, v4
	v_ashrrev_i32_e32 v27, 31, v4
                                        ; implicit-def: $vgpr9_vgpr10
	s_mov_b32 s0, exec_lo
	v_cmpx_ne_u64_e32 0, v[1:2]
	s_xor_b32 s1, exec_lo, s0
	s_cbranch_execz .LBB7_5
; %bb.4:                                ;   in Loop: Header=BB7_3 Depth=1
	s_ashr_i32 s64, s9, 31
	v_add_co_u32 v6, vcc_lo, v3, v27
	s_add_u32 s66, s8, s64
	s_mov_b32 s65, s64
	s_addc_u32 s67, s9, s64
	v_add_co_ci_u32_e64 v7, null, v4, v27, vcc_lo
	s_xor_b64 s[66:67], s[66:67], s[64:65]
	v_cvt_f32_u32_e32 v2, s66
	v_cvt_f32_u32_e32 v5, s67
	s_sub_u32 s81, 0, s66
	s_subb_u32 s82, 0, s67
	v_xor_b32_e32 v11, v7, v27
	v_fmac_f32_e32 v2, 0x4f800000, v5
	v_rcp_f32_e32 v2, v2
	v_mul_f32_e32 v2, 0x5f7ffffc, v2
	v_mul_f32_e32 v5, 0x2f800000, v2
	v_trunc_f32_e32 v5, v5
	v_fmac_f32_e32 v2, 0xcf800000, v5
	v_cvt_u32_f32_e32 v5, v5
	v_cvt_u32_f32_e32 v2, v2
	v_readfirstlane_b32 s0, v5
	v_readfirstlane_b32 s65, v2
	s_mul_i32 s83, s81, s0
	v_xor_b32_e32 v2, v6, v27
	s_mul_hi_u32 s85, s81, s65
	s_mul_i32 s84, s82, s65
	s_add_i32 s83, s85, s83
	s_mul_i32 s86, s81, s65
	s_add_i32 s83, s83, s84
	s_mul_hi_u32 s85, s65, s86
	s_mul_i32 s88, s65, s83
	s_mul_hi_u32 s87, s0, s86
	s_mul_i32 s84, s0, s86
	s_mul_hi_u32 s86, s65, s83
	s_add_u32 s85, s85, s88
	s_addc_u32 s86, 0, s86
	s_mul_hi_u32 s89, s0, s83
	s_add_u32 s84, s85, s84
	s_mul_i32 s83, s0, s83
	s_addc_u32 s84, s86, s87
	s_addc_u32 s85, s89, 0
	s_add_u32 s83, s84, s83
	s_addc_u32 s84, 0, s85
	s_add_u32 s65, s65, s83
	s_cselect_b32 s83, -1, 0
	s_mul_hi_u32 s85, s81, s65
	s_cmp_lg_u32 s83, 0
	s_mul_i32 s83, s81, s65
	s_addc_u32 s0, s0, s84
	s_mul_i32 s82, s82, s65
	s_mul_i32 s81, s81, s0
	s_mul_hi_u32 s84, s65, s83
	s_add_i32 s81, s85, s81
	s_mul_hi_u32 s85, s0, s83
	s_add_i32 s81, s81, s82
	s_mul_i32 s82, s0, s83
	s_mul_i32 s87, s65, s81
	s_mul_hi_u32 s86, s65, s81
	s_add_u32 s84, s84, s87
	s_addc_u32 s86, 0, s86
	s_mul_hi_u32 s83, s0, s81
	s_add_u32 s82, s84, s82
	s_mul_i32 s81, s0, s81
	s_addc_u32 s82, s86, s85
	s_addc_u32 s83, s83, 0
	s_add_u32 s81, s82, s81
	s_addc_u32 s82, 0, s83
	s_add_u32 s65, s65, s81
	s_cselect_b32 s81, -1, 0
	v_mul_hi_u32 v12, v2, s65
	s_cmp_lg_u32 s81, 0
	v_mad_u64_u32 v[7:8], null, v11, s65, 0
	s_addc_u32 s0, s0, s82
	v_mad_u64_u32 v[5:6], null, v2, s0, 0
	v_mad_u64_u32 v[9:10], null, v11, s0, 0
	v_add_co_u32 v5, vcc_lo, v12, v5
	v_add_co_ci_u32_e64 v6, null, 0, v6, vcc_lo
	v_add_co_u32 v5, vcc_lo, v5, v7
	v_add_co_ci_u32_e32 v5, vcc_lo, v6, v8, vcc_lo
	v_add_co_ci_u32_e32 v6, vcc_lo, 0, v10, vcc_lo
	v_add_co_u32 v7, vcc_lo, v5, v9
	v_add_co_ci_u32_e64 v8, null, 0, v6, vcc_lo
	v_mul_lo_u32 v9, s67, v7
	v_mad_u64_u32 v[5:6], null, s66, v7, 0
	v_mul_lo_u32 v10, s66, v8
	v_sub_co_u32 v2, vcc_lo, v2, v5
	v_add3_u32 v6, v6, v10, v9
	v_sub_nc_u32_e32 v9, v11, v6
	v_sub_co_ci_u32_e64 v6, null, v11, v6, vcc_lo
	v_subrev_co_ci_u32_e64 v5, null, s67, v9, vcc_lo
	v_add_co_u32 v9, s0, v7, 2
	v_add_co_ci_u32_e64 v10, null, 0, v8, s0
	v_sub_co_u32 v12, s0, v2, s66
	v_subrev_co_ci_u32_e64 v5, null, 0, v5, s0
	v_cmp_le_u32_e32 vcc_lo, s66, v12
	v_cndmask_b32_e64 v11, 0, -1, vcc_lo
	v_cmp_le_u32_e32 vcc_lo, s67, v5
	v_cndmask_b32_e64 v12, 0, -1, vcc_lo
	;; [unrolled: 2-line block ×4, first 2 shown]
	v_cmp_eq_u32_e32 vcc_lo, s67, v5
	v_cndmask_b32_e32 v5, v12, v11, vcc_lo
	v_add_co_u32 v11, vcc_lo, v7, 1
	v_add_co_ci_u32_e64 v12, null, 0, v8, vcc_lo
	v_cmp_eq_u32_e32 vcc_lo, s67, v6
	v_xor_b32_e32 v6, s64, v27
	v_cndmask_b32_e32 v2, v13, v2, vcc_lo
	v_cmp_ne_u32_e32 vcc_lo, 0, v5
	v_cmp_ne_u32_e64 s0, 0, v2
	v_cndmask_b32_e32 v2, v11, v9, vcc_lo
	v_cndmask_b32_e32 v5, v12, v10, vcc_lo
	v_cndmask_b32_e64 v2, v7, v2, s0
	v_cndmask_b32_e64 v5, v8, v5, s0
	v_xor_b32_e32 v2, v2, v6
	v_xor_b32_e32 v5, v5, v6
	v_sub_co_u32 v9, vcc_lo, v2, v6
	v_sub_co_ci_u32_e64 v10, null, v5, v6, vcc_lo
.LBB7_5:                                ;   in Loop: Header=BB7_3 Depth=1
	s_andn2_saveexec_b32 s0, s1
	s_cbranch_execz .LBB7_7
; %bb.6:                                ;   in Loop: Header=BB7_3 Depth=1
	s_sub_i32 s1, 0, s8
	v_mov_b32_e32 v10, v1
	v_mul_lo_u32 v2, s1, v0
	v_mul_hi_u32 v2, v0, v2
	v_add_nc_u32_e32 v2, v0, v2
	v_mul_hi_u32 v2, v3, v2
	v_mul_lo_u32 v5, v2, s8
	v_add_nc_u32_e32 v6, 1, v2
	v_sub_nc_u32_e32 v5, v3, v5
	v_subrev_nc_u32_e32 v7, s8, v5
	v_cmp_le_u32_e32 vcc_lo, s8, v5
	v_cndmask_b32_e32 v5, v5, v7, vcc_lo
	v_cndmask_b32_e32 v2, v2, v6, vcc_lo
	v_cmp_le_u32_e32 vcc_lo, s8, v5
	v_add_nc_u32_e32 v6, 1, v2
	v_cndmask_b32_e32 v9, v2, v6, vcc_lo
.LBB7_7:                                ;   in Loop: Header=BB7_3 Depth=1
	s_or_b32 exec_lo, exec_lo, s0
	v_mul_lo_u32 v2, s70, v9
	v_mul_lo_u32 v7, s71, v10
	v_mad_u64_u32 v[5:6], null, s71, v9, 0
	s_mov_b32 s0, exec_lo
	v_add3_u32 v6, v6, v7, v2
	v_add_co_u32 v18, vcc_lo, v3, v5
                                        ; implicit-def: $vgpr7_vgpr8
	v_add_co_ci_u32_e64 v20, null, v4, v6, vcc_lo
	v_or_b32_e32 v2, s35, v20
	v_ashrrev_i32_e32 v17, 31, v20
	v_cmpx_ne_u64_e32 0, v[1:2]
	s_xor_b32 s1, exec_lo, s0
	s_cbranch_execz .LBB7_9
; %bb.8:                                ;   in Loop: Header=BB7_3 Depth=1
	s_ashr_i32 s64, s35, 31
	v_add_co_u32 v8, vcc_lo, v18, v17
	s_add_u32 s66, s34, s64
	s_mov_b32 s65, s64
	s_addc_u32 s67, s35, s64
	v_add_co_ci_u32_e64 v11, null, v20, v17, vcc_lo
	s_xor_b64 s[66:67], s[66:67], s[64:65]
	v_cvt_f32_u32_e32 v2, s66
	v_cvt_f32_u32_e32 v7, s67
	s_sub_u32 s81, 0, s66
	s_subb_u32 s82, 0, s67
	v_xor_b32_e32 v15, v11, v17
	v_fmac_f32_e32 v2, 0x4f800000, v7
	v_rcp_f32_e32 v2, v2
	v_mul_f32_e32 v2, 0x5f7ffffc, v2
	v_mul_f32_e32 v7, 0x2f800000, v2
	v_trunc_f32_e32 v7, v7
	v_fmac_f32_e32 v2, 0xcf800000, v7
	v_cvt_u32_f32_e32 v7, v7
	v_cvt_u32_f32_e32 v2, v2
	v_readfirstlane_b32 s0, v7
	v_readfirstlane_b32 s65, v2
	s_mul_i32 s83, s81, s0
	v_xor_b32_e32 v2, v8, v17
	s_mul_hi_u32 s85, s81, s65
	s_mul_i32 s84, s82, s65
	s_add_i32 s83, s85, s83
	s_mul_i32 s86, s81, s65
	s_add_i32 s83, s83, s84
	s_mul_hi_u32 s85, s65, s86
	s_mul_i32 s88, s65, s83
	s_mul_hi_u32 s87, s0, s86
	s_mul_i32 s84, s0, s86
	s_mul_hi_u32 s86, s65, s83
	s_add_u32 s85, s85, s88
	s_addc_u32 s86, 0, s86
	s_mul_hi_u32 s89, s0, s83
	s_add_u32 s84, s85, s84
	s_mul_i32 s83, s0, s83
	s_addc_u32 s84, s86, s87
	s_addc_u32 s85, s89, 0
	s_add_u32 s83, s84, s83
	s_addc_u32 s84, 0, s85
	s_add_u32 s65, s65, s83
	s_cselect_b32 s83, -1, 0
	s_mul_hi_u32 s85, s81, s65
	s_cmp_lg_u32 s83, 0
	s_mul_i32 s83, s81, s65
	s_addc_u32 s0, s0, s84
	s_mul_i32 s82, s82, s65
	s_mul_i32 s81, s81, s0
	s_mul_hi_u32 s84, s65, s83
	s_add_i32 s81, s85, s81
	s_mul_hi_u32 s85, s0, s83
	s_add_i32 s81, s81, s82
	s_mul_i32 s82, s0, s83
	s_mul_i32 s87, s65, s81
	s_mul_hi_u32 s86, s65, s81
	s_add_u32 s84, s84, s87
	s_addc_u32 s86, 0, s86
	s_mul_hi_u32 s83, s0, s81
	s_add_u32 s82, s84, s82
	s_mul_i32 s81, s0, s81
	s_addc_u32 s82, s86, s85
	s_addc_u32 s83, s83, 0
	s_add_u32 s81, s82, s81
	s_addc_u32 s82, 0, s83
	s_add_u32 s65, s65, s81
	s_cselect_b32 s81, -1, 0
	v_mul_hi_u32 v16, v2, s65
	s_cmp_lg_u32 s81, 0
	v_mad_u64_u32 v[11:12], null, v15, s65, 0
	s_addc_u32 s0, s0, s82
	v_mad_u64_u32 v[7:8], null, v2, s0, 0
	v_mad_u64_u32 v[13:14], null, v15, s0, 0
	v_add_co_u32 v7, vcc_lo, v16, v7
	v_add_co_ci_u32_e64 v8, null, 0, v8, vcc_lo
	v_add_co_u32 v7, vcc_lo, v7, v11
	v_add_co_ci_u32_e32 v7, vcc_lo, v8, v12, vcc_lo
	v_add_co_ci_u32_e32 v8, vcc_lo, 0, v14, vcc_lo
	v_add_co_u32 v11, vcc_lo, v7, v13
	v_add_co_ci_u32_e64 v12, null, 0, v8, vcc_lo
	v_mul_lo_u32 v13, s67, v11
	v_mad_u64_u32 v[7:8], null, s66, v11, 0
	v_mul_lo_u32 v14, s66, v12
	v_sub_co_u32 v2, vcc_lo, v2, v7
	v_add3_u32 v8, v8, v14, v13
	v_sub_nc_u32_e32 v13, v15, v8
	v_sub_co_ci_u32_e64 v8, null, v15, v8, vcc_lo
	v_subrev_co_ci_u32_e64 v7, null, s67, v13, vcc_lo
	v_add_co_u32 v13, s0, v11, 2
	v_add_co_ci_u32_e64 v14, null, 0, v12, s0
	v_sub_co_u32 v16, s0, v2, s66
	v_subrev_co_ci_u32_e64 v7, null, 0, v7, s0
	v_cmp_le_u32_e32 vcc_lo, s66, v16
	v_cndmask_b32_e64 v15, 0, -1, vcc_lo
	v_cmp_le_u32_e32 vcc_lo, s67, v7
	v_cndmask_b32_e64 v16, 0, -1, vcc_lo
	;; [unrolled: 2-line block ×4, first 2 shown]
	v_cmp_eq_u32_e32 vcc_lo, s67, v7
	v_cndmask_b32_e32 v7, v16, v15, vcc_lo
	v_add_co_u32 v15, vcc_lo, v11, 1
	v_add_co_ci_u32_e64 v16, null, 0, v12, vcc_lo
	v_cmp_eq_u32_e32 vcc_lo, s67, v8
	v_xor_b32_e32 v8, s64, v17
	v_cndmask_b32_e32 v2, v19, v2, vcc_lo
	v_cmp_ne_u32_e32 vcc_lo, 0, v7
	v_cmp_ne_u32_e64 s0, 0, v2
	v_cndmask_b32_e32 v2, v15, v13, vcc_lo
	v_cndmask_b32_e32 v7, v16, v14, vcc_lo
	v_cndmask_b32_e64 v2, v11, v2, s0
	v_cndmask_b32_e64 v7, v12, v7, s0
	v_xor_b32_e32 v2, v2, v8
	v_xor_b32_e32 v11, v7, v8
	v_sub_co_u32 v7, vcc_lo, v2, v8
	v_sub_co_ci_u32_e64 v8, null, v11, v8, vcc_lo
.LBB7_9:                                ;   in Loop: Header=BB7_3 Depth=1
	s_or_saveexec_b32 s0, s1
	v_cvt_f32_u32_e32 v31, s34
	s_xor_b32 exec_lo, exec_lo, s0
	s_cbranch_execz .LBB7_11
; %bb.10:                               ;   in Loop: Header=BB7_3 Depth=1
	v_rcp_iflag_f32_e32 v2, v31
	s_sub_i32 s1, 0, s34
	v_mul_f32_e32 v2, 0x4f7ffffe, v2
	v_cvt_u32_f32_e32 v2, v2
	v_mul_lo_u32 v7, s1, v2
	v_mul_hi_u32 v7, v2, v7
	v_add_nc_u32_e32 v2, v2, v7
	v_mul_hi_u32 v2, v18, v2
	v_mul_lo_u32 v7, v2, s34
	v_add_nc_u32_e32 v8, 1, v2
	v_sub_nc_u32_e32 v7, v18, v7
	v_subrev_nc_u32_e32 v11, s34, v7
	v_cmp_le_u32_e32 vcc_lo, s34, v7
	v_cndmask_b32_e32 v7, v7, v11, vcc_lo
	v_cndmask_b32_e32 v2, v2, v8, vcc_lo
	v_cmp_le_u32_e32 vcc_lo, s34, v7
	v_add_nc_u32_e32 v8, 1, v2
	v_cndmask_b32_e32 v7, v2, v8, vcc_lo
	v_mov_b32_e32 v8, v1
.LBB7_11:                               ;   in Loop: Header=BB7_3 Depth=1
	s_or_b32 exec_lo, exec_lo, s0
	v_mul_lo_u32 v2, v8, s34
	v_mul_lo_u32 v13, v7, s35
	v_mad_u64_u32 v[11:12], null, v7, s34, 0
	v_mul_lo_u32 v14, v7, s13
	s_mov_b32 s0, exec_lo
	v_add3_u32 v2, v12, v13, v2
	v_mul_lo_u32 v13, v8, s12
	v_sub_co_u32 v8, vcc_lo, v5, v11
	v_sub_co_ci_u32_e64 v2, null, v6, v2, vcc_lo
	v_add_co_u32 v11, vcc_lo, v3, v8
	v_mad_u64_u32 v[7:8], null, v7, s12, 0
	v_add_co_ci_u32_e64 v2, null, v4, v2, vcc_lo
	v_mul_lo_u32 v15, v11, s15
	v_mad_u64_u32 v[11:12], null, v11, s14, 0
	v_mul_lo_u32 v2, v2, s14
	v_add3_u32 v8, v8, v14, v13
	v_mad_u64_u32 v[13:14], null, v9, 3, 0
	v_lshlrev_b64 v[7:8], 2, v[7:8]
	v_add3_u32 v12, v12, v15, v2
	v_add_co_u32 v2, vcc_lo, s2, v7
	v_lshlrev_b64 v[11:12], 2, v[11:12]
	v_add_co_ci_u32_e64 v8, null, s3, v8, vcc_lo
	v_add_co_u32 v7, vcc_lo, v2, v11
	v_add_co_ci_u32_e64 v8, null, v8, v12, vcc_lo
	v_mov_b32_e32 v2, v14
	global_load_dword v28, v[7:8], off
	v_mad_u64_u32 v[7:8], null, s8, v13, s[8:9]
	v_mad_u64_u32 v[14:15], null, v10, 3, v[2:3]
	v_mul_lo_u32 v2, s9, v13
	v_add_co_u32 v22, vcc_lo, v3, v7
	v_mul_lo_u32 v11, s8, v14
	v_add3_u32 v8, v2, v8, v11
                                        ; implicit-def: $vgpr11_vgpr12
	v_add_co_ci_u32_e64 v24, null, v4, v8, vcc_lo
	v_or_b32_e32 v2, s35, v24
	v_ashrrev_i32_e32 v19, 31, v24
	v_cmpx_ne_u64_e32 0, v[1:2]
	s_xor_b32 s1, exec_lo, s0
	s_cbranch_execz .LBB7_13
; %bb.12:                               ;   in Loop: Header=BB7_3 Depth=1
	s_ashr_i32 s64, s35, 31
	v_add_co_u32 v12, vcc_lo, v22, v19
	s_add_u32 s66, s34, s64
	s_mov_b32 s65, s64
	s_addc_u32 s67, s35, s64
	v_add_co_ci_u32_e64 v15, null, v24, v19, vcc_lo
	s_xor_b64 s[66:67], s[66:67], s[64:65]
	v_cvt_f32_u32_e32 v2, s66
	v_cvt_f32_u32_e32 v11, s67
	s_sub_u32 s81, 0, s66
	s_subb_u32 s82, 0, s67
	v_xor_b32_e32 v21, v15, v19
	v_fmac_f32_e32 v2, 0x4f800000, v11
	v_rcp_f32_e32 v2, v2
	v_mul_f32_e32 v2, 0x5f7ffffc, v2
	v_mul_f32_e32 v11, 0x2f800000, v2
	v_trunc_f32_e32 v11, v11
	v_fmac_f32_e32 v2, 0xcf800000, v11
	v_cvt_u32_f32_e32 v11, v11
	v_cvt_u32_f32_e32 v2, v2
	v_readfirstlane_b32 s0, v11
	v_readfirstlane_b32 s65, v2
	s_mul_i32 s83, s81, s0
	v_xor_b32_e32 v2, v12, v19
	s_mul_hi_u32 s85, s81, s65
	s_mul_i32 s84, s82, s65
	s_add_i32 s83, s85, s83
	s_mul_i32 s86, s81, s65
	s_add_i32 s83, s83, s84
	s_mul_hi_u32 s85, s65, s86
	s_mul_i32 s88, s65, s83
	s_mul_hi_u32 s87, s0, s86
	s_mul_i32 s84, s0, s86
	s_mul_hi_u32 s86, s65, s83
	s_add_u32 s85, s85, s88
	s_addc_u32 s86, 0, s86
	s_mul_hi_u32 s89, s0, s83
	s_add_u32 s84, s85, s84
	s_mul_i32 s83, s0, s83
	s_addc_u32 s84, s86, s87
	s_addc_u32 s85, s89, 0
	s_add_u32 s83, s84, s83
	s_addc_u32 s84, 0, s85
	s_add_u32 s65, s65, s83
	s_cselect_b32 s83, -1, 0
	s_mul_hi_u32 s85, s81, s65
	s_cmp_lg_u32 s83, 0
	s_mul_i32 s83, s81, s65
	s_addc_u32 s0, s0, s84
	s_mul_i32 s82, s82, s65
	s_mul_i32 s81, s81, s0
	s_mul_hi_u32 s84, s65, s83
	s_add_i32 s81, s85, s81
	s_mul_hi_u32 s85, s0, s83
	s_add_i32 s81, s81, s82
	s_mul_i32 s82, s0, s83
	s_mul_i32 s87, s65, s81
	s_mul_hi_u32 s86, s65, s81
	s_add_u32 s84, s84, s87
	s_addc_u32 s86, 0, s86
	s_mul_hi_u32 s83, s0, s81
	s_add_u32 s82, s84, s82
	s_mul_i32 s81, s0, s81
	s_addc_u32 s82, s86, s85
	s_addc_u32 s83, s83, 0
	s_add_u32 s81, s82, s81
	s_addc_u32 s82, 0, s83
	s_add_u32 s65, s65, s81
	s_cselect_b32 s81, -1, 0
	v_mul_hi_u32 v23, v2, s65
	s_cmp_lg_u32 s81, 0
	v_mad_u64_u32 v[15:16], null, v21, s65, 0
	s_addc_u32 s0, s0, s82
	v_mad_u64_u32 v[11:12], null, v2, s0, 0
	v_mad_u64_u32 v[25:26], null, v21, s0, 0
	v_add_co_u32 v11, vcc_lo, v23, v11
	v_add_co_ci_u32_e64 v12, null, 0, v12, vcc_lo
	v_add_co_u32 v11, vcc_lo, v11, v15
	v_add_co_ci_u32_e32 v11, vcc_lo, v12, v16, vcc_lo
	v_add_co_ci_u32_e32 v12, vcc_lo, 0, v26, vcc_lo
	v_add_co_u32 v15, vcc_lo, v11, v25
	v_add_co_ci_u32_e64 v16, null, 0, v12, vcc_lo
	v_mul_lo_u32 v23, s67, v15
	v_mad_u64_u32 v[11:12], null, s66, v15, 0
	v_mul_lo_u32 v25, s66, v16
	v_sub_co_u32 v2, vcc_lo, v2, v11
	v_add3_u32 v12, v12, v25, v23
	v_sub_nc_u32_e32 v23, v21, v12
	v_sub_co_ci_u32_e64 v12, null, v21, v12, vcc_lo
	v_subrev_co_ci_u32_e64 v11, null, s67, v23, vcc_lo
	v_add_co_u32 v23, s0, v15, 2
	v_add_co_ci_u32_e64 v25, null, 0, v16, s0
	v_sub_co_u32 v26, s0, v2, s66
	v_subrev_co_ci_u32_e64 v11, null, 0, v11, s0
	v_cmp_le_u32_e32 vcc_lo, s66, v26
	v_cndmask_b32_e64 v21, 0, -1, vcc_lo
	v_cmp_le_u32_e32 vcc_lo, s67, v11
	v_cndmask_b32_e64 v26, 0, -1, vcc_lo
	;; [unrolled: 2-line block ×4, first 2 shown]
	v_cmp_eq_u32_e32 vcc_lo, s67, v11
	v_cndmask_b32_e32 v11, v26, v21, vcc_lo
	v_add_co_u32 v21, vcc_lo, v15, 1
	v_add_co_ci_u32_e64 v26, null, 0, v16, vcc_lo
	v_cmp_eq_u32_e32 vcc_lo, s67, v12
	v_xor_b32_e32 v12, s64, v19
	v_cndmask_b32_e32 v2, v29, v2, vcc_lo
	v_cmp_ne_u32_e32 vcc_lo, 0, v11
	v_cmp_ne_u32_e64 s0, 0, v2
	v_cndmask_b32_e32 v2, v21, v23, vcc_lo
	v_cndmask_b32_e32 v11, v26, v25, vcc_lo
	v_cndmask_b32_e64 v2, v15, v2, s0
	v_cndmask_b32_e64 v11, v16, v11, s0
	v_xor_b32_e32 v2, v2, v12
	v_xor_b32_e32 v15, v11, v12
	v_sub_co_u32 v11, vcc_lo, v2, v12
	v_sub_co_ci_u32_e64 v12, null, v15, v12, vcc_lo
.LBB7_13:                               ;   in Loop: Header=BB7_3 Depth=1
	s_andn2_saveexec_b32 s0, s1
	s_cbranch_execz .LBB7_15
; %bb.14:                               ;   in Loop: Header=BB7_3 Depth=1
	v_rcp_iflag_f32_e32 v2, v31
	s_sub_i32 s1, 0, s34
	v_mul_f32_e32 v2, 0x4f7ffffe, v2
	v_cvt_u32_f32_e32 v2, v2
	v_mul_lo_u32 v11, s1, v2
	v_mul_hi_u32 v11, v2, v11
	v_add_nc_u32_e32 v2, v2, v11
	v_mul_hi_u32 v2, v22, v2
	v_mul_lo_u32 v11, v2, s34
	v_add_nc_u32_e32 v12, 1, v2
	v_sub_nc_u32_e32 v11, v22, v11
	v_subrev_nc_u32_e32 v15, s34, v11
	v_cmp_le_u32_e32 vcc_lo, s34, v11
	v_cndmask_b32_e32 v11, v11, v15, vcc_lo
	v_cndmask_b32_e32 v2, v2, v12, vcc_lo
	v_cmp_le_u32_e32 vcc_lo, s34, v11
	v_add_nc_u32_e32 v12, 1, v2
	v_cndmask_b32_e32 v11, v2, v12, vcc_lo
	v_mov_b32_e32 v12, v1
.LBB7_15:                               ;   in Loop: Header=BB7_3 Depth=1
	s_or_b32 exec_lo, exec_lo, s0
	v_mul_lo_u32 v2, v12, s34
	v_mul_lo_u32 v21, v11, s35
	v_mad_u64_u32 v[15:16], null, v11, s34, 0
	v_mul_lo_u32 v23, v11, s13
	s_mov_b32 s0, exec_lo
	v_add3_u32 v2, v16, v21, v2
	v_mul_lo_u32 v21, v12, s12
	v_sub_co_u32 v12, vcc_lo, v7, v15
	v_sub_co_ci_u32_e64 v2, null, v8, v2, vcc_lo
	v_add_co_u32 v15, vcc_lo, v3, v12
	v_mad_u64_u32 v[11:12], null, v11, s12, 0
	v_add_co_ci_u32_e64 v2, null, v4, v2, vcc_lo
	v_mul_lo_u32 v25, v15, s15
	v_mad_u64_u32 v[15:16], null, v15, s14, 0
	v_mul_lo_u32 v2, v2, s14
	v_add3_u32 v12, v12, v23, v21
	v_lshlrev_b64 v[11:12], 2, v[11:12]
	v_add3_u32 v16, v16, v25, v2
	v_add_co_u32 v2, vcc_lo, s2, v11
	v_lshlrev_b64 v[15:16], 2, v[15:16]
	v_add_co_ci_u32_e64 v12, null, s3, v12, vcc_lo
	v_add_co_u32 v11, vcc_lo, v2, v15
	v_add_co_ci_u32_e64 v12, null, v12, v16, vcc_lo
	v_add_co_u32 v2, vcc_lo, v13, 2
	global_load_dword v29, v[11:12], off
	v_add_co_ci_u32_e64 v11, null, 0, v14, vcc_lo
	v_mul_lo_u32 v15, s9, v2
	v_mul_lo_u32 v16, s8, v11
	v_mad_u64_u32 v[11:12], null, s8, v2, 0
	v_add3_u32 v12, v12, v16, v15
	v_add_co_u32 v25, vcc_lo, v3, v11
                                        ; implicit-def: $vgpr15_vgpr16
	v_add_co_ci_u32_e64 v26, null, v4, v12, vcc_lo
	v_or_b32_e32 v2, s35, v26
	v_ashrrev_i32_e32 v21, 31, v26
	v_cmpx_ne_u64_e32 0, v[1:2]
	s_xor_b32 s1, exec_lo, s0
	s_cbranch_execz .LBB7_17
; %bb.16:                               ;   in Loop: Header=BB7_3 Depth=1
	s_ashr_i32 s64, s35, 31
	v_add_co_u32 v16, vcc_lo, v25, v21
	s_add_u32 s66, s34, s64
	s_mov_b32 s65, s64
	s_addc_u32 s67, s35, s64
	v_add_co_ci_u32_e64 v23, null, v26, v21, vcc_lo
	s_xor_b64 s[66:67], s[66:67], s[64:65]
	v_cvt_f32_u32_e32 v2, s66
	v_cvt_f32_u32_e32 v15, s67
	s_sub_u32 s81, 0, s66
	s_subb_u32 s82, 0, s67
	v_xor_b32_e32 v23, v23, v21
	v_fmac_f32_e32 v2, 0x4f800000, v15
	v_rcp_f32_e32 v2, v2
	v_mul_f32_e32 v2, 0x5f7ffffc, v2
	v_mul_f32_e32 v15, 0x2f800000, v2
	v_trunc_f32_e32 v15, v15
	v_fmac_f32_e32 v2, 0xcf800000, v15
	v_cvt_u32_f32_e32 v15, v15
	v_cvt_u32_f32_e32 v2, v2
	v_readfirstlane_b32 s0, v15
	v_readfirstlane_b32 s65, v2
	s_mul_i32 s83, s81, s0
	v_xor_b32_e32 v2, v16, v21
	s_mul_hi_u32 s85, s81, s65
	s_mul_i32 s84, s82, s65
	s_add_i32 s83, s85, s83
	s_mul_i32 s86, s81, s65
	s_add_i32 s83, s83, s84
	s_mul_hi_u32 s85, s65, s86
	s_mul_i32 s88, s65, s83
	s_mul_hi_u32 s87, s0, s86
	s_mul_i32 s84, s0, s86
	s_mul_hi_u32 s86, s65, s83
	s_add_u32 s85, s85, s88
	s_addc_u32 s86, 0, s86
	s_mul_hi_u32 s89, s0, s83
	s_add_u32 s84, s85, s84
	s_mul_i32 s83, s0, s83
	s_addc_u32 s84, s86, s87
	s_addc_u32 s85, s89, 0
	s_add_u32 s83, s84, s83
	s_addc_u32 s84, 0, s85
	s_add_u32 s65, s65, s83
	s_cselect_b32 s83, -1, 0
	s_mul_hi_u32 s85, s81, s65
	s_cmp_lg_u32 s83, 0
	s_mul_i32 s83, s81, s65
	s_addc_u32 s0, s0, s84
	s_mul_i32 s82, s82, s65
	s_mul_i32 s81, s81, s0
	s_mul_hi_u32 s84, s65, s83
	s_add_i32 s81, s85, s81
	s_mul_hi_u32 s85, s0, s83
	s_add_i32 s81, s81, s82
	s_mul_i32 s82, s0, s83
	s_mul_i32 s87, s65, s81
	s_mul_hi_u32 s86, s65, s81
	s_add_u32 s84, s84, s87
	s_addc_u32 s86, 0, s86
	s_mul_hi_u32 s83, s0, s81
	s_add_u32 s82, s84, s82
	s_mul_i32 s81, s0, s81
	s_addc_u32 s82, s86, s85
	s_addc_u32 s83, s83, 0
	s_add_u32 s81, s82, s81
	s_addc_u32 s82, 0, s83
	s_add_u32 s65, s65, s81
	s_cselect_b32 s81, -1, 0
	v_mul_hi_u32 v30, v2, s65
	s_cmp_lg_u32 s81, 0
	v_mad_u64_u32 v[32:33], null, v23, s65, 0
	s_addc_u32 s0, s0, s82
	v_mad_u64_u32 v[15:16], null, v2, s0, 0
	v_mad_u64_u32 v[34:35], null, v23, s0, 0
	v_add_co_u32 v15, vcc_lo, v30, v15
	v_add_co_ci_u32_e64 v16, null, 0, v16, vcc_lo
	v_add_co_u32 v15, vcc_lo, v15, v32
	v_add_co_ci_u32_e32 v15, vcc_lo, v16, v33, vcc_lo
	v_add_co_ci_u32_e32 v16, vcc_lo, 0, v35, vcc_lo
	v_add_co_u32 v30, vcc_lo, v15, v34
	v_add_co_ci_u32_e64 v32, null, 0, v16, vcc_lo
	v_mul_lo_u32 v33, s67, v30
	v_mad_u64_u32 v[15:16], null, s66, v30, 0
	v_mul_lo_u32 v34, s66, v32
	v_sub_co_u32 v2, vcc_lo, v2, v15
	v_add3_u32 v16, v16, v34, v33
	v_sub_nc_u32_e32 v33, v23, v16
	v_sub_co_ci_u32_e64 v16, null, v23, v16, vcc_lo
	v_subrev_co_ci_u32_e64 v15, null, s67, v33, vcc_lo
	v_add_co_u32 v33, s0, v30, 2
	v_add_co_ci_u32_e64 v34, null, 0, v32, s0
	v_sub_co_u32 v35, s0, v2, s66
	v_subrev_co_ci_u32_e64 v15, null, 0, v15, s0
	v_cmp_le_u32_e32 vcc_lo, s66, v35
	v_cndmask_b32_e64 v23, 0, -1, vcc_lo
	v_cmp_le_u32_e32 vcc_lo, s67, v15
	v_cndmask_b32_e64 v35, 0, -1, vcc_lo
	;; [unrolled: 2-line block ×4, first 2 shown]
	v_cmp_eq_u32_e32 vcc_lo, s67, v15
	v_cndmask_b32_e32 v15, v35, v23, vcc_lo
	v_add_co_u32 v23, vcc_lo, v30, 1
	v_add_co_ci_u32_e64 v35, null, 0, v32, vcc_lo
	v_cmp_eq_u32_e32 vcc_lo, s67, v16
	v_xor_b32_e32 v16, s64, v21
	v_cndmask_b32_e32 v2, v36, v2, vcc_lo
	v_cmp_ne_u32_e32 vcc_lo, 0, v15
	v_cmp_ne_u32_e64 s0, 0, v2
	v_cndmask_b32_e32 v2, v23, v33, vcc_lo
	v_cndmask_b32_e32 v15, v35, v34, vcc_lo
	v_cndmask_b32_e64 v2, v30, v2, s0
	v_cndmask_b32_e64 v15, v32, v15, s0
	v_xor_b32_e32 v2, v2, v16
	v_xor_b32_e32 v23, v15, v16
	v_sub_co_u32 v15, vcc_lo, v2, v16
	v_sub_co_ci_u32_e64 v16, null, v23, v16, vcc_lo
.LBB7_17:                               ;   in Loop: Header=BB7_3 Depth=1
	s_andn2_saveexec_b32 s0, s1
	s_cbranch_execz .LBB7_19
; %bb.18:                               ;   in Loop: Header=BB7_3 Depth=1
	v_rcp_iflag_f32_e32 v2, v31
	s_sub_i32 s1, 0, s34
	v_mul_f32_e32 v2, 0x4f7ffffe, v2
	v_cvt_u32_f32_e32 v2, v2
	v_mul_lo_u32 v15, s1, v2
	v_mul_hi_u32 v15, v2, v15
	v_add_nc_u32_e32 v2, v2, v15
	v_mul_hi_u32 v2, v25, v2
	v_mul_lo_u32 v15, v2, s34
	v_add_nc_u32_e32 v16, 1, v2
	v_sub_nc_u32_e32 v15, v25, v15
	v_subrev_nc_u32_e32 v23, s34, v15
	v_cmp_le_u32_e32 vcc_lo, s34, v15
	v_cndmask_b32_e32 v15, v15, v23, vcc_lo
	v_cndmask_b32_e32 v2, v2, v16, vcc_lo
	v_cmp_le_u32_e32 vcc_lo, s34, v15
	v_add_nc_u32_e32 v16, 1, v2
	v_cndmask_b32_e32 v15, v2, v16, vcc_lo
	v_mov_b32_e32 v16, v1
.LBB7_19:                               ;   in Loop: Header=BB7_3 Depth=1
	s_or_b32 exec_lo, exec_lo, s0
	v_mul_lo_u32 v2, v16, s34
	v_mul_lo_u32 v23, v15, s35
	v_mad_u64_u32 v[32:33], null, v15, s34, 0
	v_mul_lo_u32 v30, v15, s13
	s_mov_b32 s0, exec_lo
	v_add3_u32 v2, v33, v23, v2
	v_mul_lo_u32 v23, v16, s12
	v_sub_co_u32 v16, vcc_lo, v11, v32
	v_sub_co_ci_u32_e64 v2, null, v12, v2, vcc_lo
	v_add_co_u32 v32, vcc_lo, v3, v16
	v_mad_u64_u32 v[15:16], null, v15, s12, 0
	v_add_co_ci_u32_e64 v2, null, v4, v2, vcc_lo
	v_mul_lo_u32 v34, v32, s15
	v_mad_u64_u32 v[32:33], null, v32, s14, 0
	v_mul_lo_u32 v2, v2, s14
	v_add3_u32 v16, v16, v30, v23
	v_lshlrev_b64 v[15:16], 2, v[15:16]
	v_add3_u32 v33, v33, v34, v2
	v_add_co_u32 v2, vcc_lo, s2, v15
	v_lshlrev_b64 v[32:33], 2, v[32:33]
	v_add_co_ci_u32_e64 v16, null, s3, v16, vcc_lo
	v_add_co_u32 v15, vcc_lo, v2, v32
	v_add_co_ci_u32_e64 v16, null, v16, v33, vcc_lo
	v_add_co_u32 v2, vcc_lo, v13, 3
	v_add_co_ci_u32_e64 v13, null, 0, v14, vcc_lo
	global_load_dword v30, v[15:16], off
	v_mul_lo_u32 v15, s9, v2
	v_mul_lo_u32 v16, s8, v13
	v_mad_u64_u32 v[13:14], null, s8, v2, 0
	v_add3_u32 v14, v14, v16, v15
	v_add_co_u32 v34, vcc_lo, v3, v13
                                        ; implicit-def: $vgpr15_vgpr16
	v_add_co_ci_u32_e64 v35, null, v4, v14, vcc_lo
	v_or_b32_e32 v2, s35, v35
	v_ashrrev_i32_e32 v23, 31, v35
	v_cmpx_ne_u64_e32 0, v[1:2]
	s_xor_b32 s1, exec_lo, s0
	s_cbranch_execz .LBB7_21
; %bb.20:                               ;   in Loop: Header=BB7_3 Depth=1
	s_ashr_i32 s64, s35, 31
	v_add_co_u32 v16, vcc_lo, v34, v23
	s_add_u32 s66, s34, s64
	s_mov_b32 s65, s64
	s_addc_u32 s67, s35, s64
	v_add_co_ci_u32_e64 v31, null, v35, v23, vcc_lo
	s_xor_b64 s[66:67], s[66:67], s[64:65]
	v_cvt_f32_u32_e32 v2, s66
	v_cvt_f32_u32_e32 v15, s67
	s_sub_u32 s81, 0, s66
	s_subb_u32 s82, 0, s67
	v_xor_b32_e32 v33, v31, v23
	v_fmac_f32_e32 v2, 0x4f800000, v15
	v_rcp_f32_e32 v2, v2
	v_mul_f32_e32 v2, 0x5f7ffffc, v2
	v_mul_f32_e32 v15, 0x2f800000, v2
	v_trunc_f32_e32 v15, v15
	v_fmac_f32_e32 v2, 0xcf800000, v15
	v_cvt_u32_f32_e32 v15, v15
	v_cvt_u32_f32_e32 v2, v2
	v_readfirstlane_b32 s0, v15
	v_readfirstlane_b32 s65, v2
	s_mul_i32 s83, s81, s0
	v_xor_b32_e32 v2, v16, v23
	s_mul_hi_u32 s85, s81, s65
	s_mul_i32 s84, s82, s65
	s_add_i32 s83, s85, s83
	s_mul_i32 s86, s81, s65
	s_add_i32 s83, s83, s84
	s_mul_hi_u32 s85, s65, s86
	s_mul_i32 s88, s65, s83
	s_mul_hi_u32 s87, s0, s86
	s_mul_i32 s84, s0, s86
	s_mul_hi_u32 s86, s65, s83
	s_add_u32 s85, s85, s88
	s_addc_u32 s86, 0, s86
	s_mul_hi_u32 s89, s0, s83
	s_add_u32 s84, s85, s84
	s_mul_i32 s83, s0, s83
	s_addc_u32 s84, s86, s87
	s_addc_u32 s85, s89, 0
	s_add_u32 s83, s84, s83
	s_addc_u32 s84, 0, s85
	s_add_u32 s65, s65, s83
	s_cselect_b32 s83, -1, 0
	s_mul_hi_u32 s85, s81, s65
	s_cmp_lg_u32 s83, 0
	s_mul_i32 s83, s81, s65
	s_addc_u32 s0, s0, s84
	s_mul_i32 s82, s82, s65
	s_mul_i32 s81, s81, s0
	s_mul_hi_u32 s84, s65, s83
	s_add_i32 s81, s85, s81
	s_mul_hi_u32 s85, s0, s83
	s_add_i32 s81, s81, s82
	s_mul_i32 s82, s0, s83
	s_mul_i32 s87, s65, s81
	s_mul_hi_u32 s86, s65, s81
	s_add_u32 s84, s84, s87
	s_addc_u32 s86, 0, s86
	s_mul_hi_u32 s83, s0, s81
	s_add_u32 s82, s84, s82
	s_mul_i32 s81, s0, s81
	s_addc_u32 s82, s86, s85
	s_addc_u32 s83, s83, 0
	s_add_u32 s81, s82, s81
	s_addc_u32 s82, 0, s83
	s_add_u32 s65, s65, s81
	s_cselect_b32 s81, -1, 0
	v_mul_hi_u32 v38, v2, s65
	s_cmp_lg_u32 s81, 0
	v_mad_u64_u32 v[31:32], null, v33, s65, 0
	s_addc_u32 s0, s0, s82
	v_mad_u64_u32 v[15:16], null, v2, s0, 0
	v_mad_u64_u32 v[36:37], null, v33, s0, 0
	v_add_co_u32 v15, vcc_lo, v38, v15
	v_add_co_ci_u32_e64 v16, null, 0, v16, vcc_lo
	v_add_co_u32 v15, vcc_lo, v15, v31
	v_add_co_ci_u32_e32 v15, vcc_lo, v16, v32, vcc_lo
	v_add_co_ci_u32_e32 v16, vcc_lo, 0, v37, vcc_lo
	v_add_co_u32 v31, vcc_lo, v15, v36
	v_add_co_ci_u32_e64 v32, null, 0, v16, vcc_lo
	v_mul_lo_u32 v36, s67, v31
	v_mad_u64_u32 v[15:16], null, s66, v31, 0
	v_mul_lo_u32 v37, s66, v32
	v_sub_co_u32 v2, vcc_lo, v2, v15
	v_add3_u32 v16, v16, v37, v36
	v_sub_nc_u32_e32 v36, v33, v16
	v_sub_co_ci_u32_e64 v16, null, v33, v16, vcc_lo
	v_subrev_co_ci_u32_e64 v15, null, s67, v36, vcc_lo
	v_add_co_u32 v36, s0, v31, 2
	v_add_co_ci_u32_e64 v37, null, 0, v32, s0
	v_sub_co_u32 v38, s0, v2, s66
	v_subrev_co_ci_u32_e64 v15, null, 0, v15, s0
	v_cmp_le_u32_e32 vcc_lo, s66, v38
	v_cndmask_b32_e64 v33, 0, -1, vcc_lo
	v_cmp_le_u32_e32 vcc_lo, s67, v15
	v_cndmask_b32_e64 v38, 0, -1, vcc_lo
	;; [unrolled: 2-line block ×4, first 2 shown]
	v_cmp_eq_u32_e32 vcc_lo, s67, v15
	v_cndmask_b32_e32 v15, v38, v33, vcc_lo
	v_add_co_u32 v33, vcc_lo, v31, 1
	v_add_co_ci_u32_e64 v38, null, 0, v32, vcc_lo
	v_cmp_eq_u32_e32 vcc_lo, s67, v16
	v_xor_b32_e32 v16, s64, v23
	v_cndmask_b32_e32 v2, v39, v2, vcc_lo
	v_cmp_ne_u32_e32 vcc_lo, 0, v15
	v_cmp_ne_u32_e64 s0, 0, v2
	v_cndmask_b32_e32 v2, v33, v36, vcc_lo
	v_cndmask_b32_e32 v15, v38, v37, vcc_lo
	v_cndmask_b32_e64 v2, v31, v2, s0
	v_cndmask_b32_e64 v15, v32, v15, s0
	v_xor_b32_e32 v2, v2, v16
	v_xor_b32_e32 v31, v15, v16
	v_sub_co_u32 v15, vcc_lo, v2, v16
	v_sub_co_ci_u32_e64 v16, null, v31, v16, vcc_lo
                                        ; implicit-def: $vgpr31
.LBB7_21:                               ;   in Loop: Header=BB7_3 Depth=1
	s_andn2_saveexec_b32 s0, s1
	s_cbranch_execz .LBB7_23
; %bb.22:                               ;   in Loop: Header=BB7_3 Depth=1
	v_rcp_iflag_f32_e32 v2, v31
	s_sub_i32 s1, 0, s34
	v_mul_f32_e32 v2, 0x4f7ffffe, v2
	v_cvt_u32_f32_e32 v2, v2
	v_mul_lo_u32 v15, s1, v2
	v_mul_hi_u32 v15, v2, v15
	v_add_nc_u32_e32 v2, v2, v15
	v_mul_hi_u32 v2, v34, v2
	v_mul_lo_u32 v15, v2, s34
	v_add_nc_u32_e32 v16, 1, v2
	v_sub_nc_u32_e32 v15, v34, v15
	v_subrev_nc_u32_e32 v31, s34, v15
	v_cmp_le_u32_e32 vcc_lo, s34, v15
	v_cndmask_b32_e32 v15, v15, v31, vcc_lo
	v_cndmask_b32_e32 v2, v2, v16, vcc_lo
	v_cmp_le_u32_e32 vcc_lo, s34, v15
	v_add_nc_u32_e32 v16, 1, v2
	v_cndmask_b32_e32 v15, v2, v16, vcc_lo
	v_mov_b32_e32 v16, v1
.LBB7_23:                               ;   in Loop: Header=BB7_3 Depth=1
	s_or_b32 exec_lo, exec_lo, s0
	v_mul_lo_u32 v2, v16, s34
	v_mul_lo_u32 v33, v15, s35
	v_mad_u64_u32 v[31:32], null, v15, s34, 0
	v_mul_lo_u32 v36, v15, s13
	s_mov_b32 s0, exec_lo
	v_add3_u32 v2, v32, v33, v2
	v_mul_lo_u32 v33, v16, s12
	v_sub_co_u32 v16, vcc_lo, v13, v31
	v_sub_co_ci_u32_e64 v2, null, v14, v2, vcc_lo
	v_add_co_u32 v31, vcc_lo, v3, v16
	v_mad_u64_u32 v[15:16], null, v15, s12, 0
	v_add_co_ci_u32_e64 v2, null, v4, v2, vcc_lo
	v_mul_lo_u32 v37, v31, s15
	v_mad_u64_u32 v[31:32], null, v31, s14, 0
	v_mul_lo_u32 v2, v2, s14
	v_add3_u32 v16, v16, v36, v33
	v_lshlrev_b64 v[15:16], 2, v[15:16]
	v_add3_u32 v32, v32, v37, v2
	v_add_co_u32 v2, vcc_lo, s2, v15
	v_lshlrev_b64 v[31:32], 2, v[31:32]
	v_add_co_ci_u32_e64 v16, null, s3, v16, vcc_lo
	v_add_co_u32 v15, vcc_lo, v2, v31
	v_add_co_ci_u32_e64 v16, null, v16, v32, vcc_lo
	v_or_b32_e32 v2, s41, v20
	global_load_dword v31, v[15:16], off
                                        ; implicit-def: $vgpr15_vgpr16
	v_cmpx_ne_u64_e32 0, v[1:2]
	s_xor_b32 s1, exec_lo, s0
	s_cbranch_execz .LBB7_25
; %bb.24:                               ;   in Loop: Header=BB7_3 Depth=1
	s_ashr_i32 s64, s41, 31
	v_add_co_u32 v16, vcc_lo, v18, v17
	s_add_u32 s66, s40, s64
	s_mov_b32 s65, s64
	s_addc_u32 s67, s41, s64
	v_add_co_ci_u32_e64 v32, null, v20, v17, vcc_lo
	s_xor_b64 s[66:67], s[66:67], s[64:65]
	v_cvt_f32_u32_e32 v2, s66
	v_cvt_f32_u32_e32 v15, s67
	s_sub_u32 s81, 0, s66
	s_subb_u32 s82, 0, s67
	v_xor_b32_e32 v38, v32, v17
	v_fmac_f32_e32 v2, 0x4f800000, v15
	v_rcp_f32_e32 v2, v2
	v_mul_f32_e32 v2, 0x5f7ffffc, v2
	v_mul_f32_e32 v15, 0x2f800000, v2
	v_trunc_f32_e32 v15, v15
	v_fmac_f32_e32 v2, 0xcf800000, v15
	v_cvt_u32_f32_e32 v15, v15
	v_cvt_u32_f32_e32 v2, v2
	v_readfirstlane_b32 s0, v15
	v_readfirstlane_b32 s65, v2
	s_mul_i32 s83, s81, s0
	v_xor_b32_e32 v2, v16, v17
	s_mul_hi_u32 s85, s81, s65
	s_mul_i32 s84, s82, s65
	s_add_i32 s83, s85, s83
	s_mul_i32 s86, s81, s65
	s_add_i32 s83, s83, s84
	s_mul_hi_u32 s85, s65, s86
	s_mul_i32 s88, s65, s83
	s_mul_hi_u32 s87, s0, s86
	s_mul_i32 s84, s0, s86
	s_mul_hi_u32 s86, s65, s83
	s_add_u32 s85, s85, s88
	s_addc_u32 s86, 0, s86
	s_mul_hi_u32 s89, s0, s83
	s_add_u32 s84, s85, s84
	s_mul_i32 s83, s0, s83
	s_addc_u32 s84, s86, s87
	s_addc_u32 s85, s89, 0
	s_add_u32 s83, s84, s83
	s_addc_u32 s84, 0, s85
	s_add_u32 s65, s65, s83
	s_cselect_b32 s83, -1, 0
	s_mul_hi_u32 s85, s81, s65
	s_cmp_lg_u32 s83, 0
	s_mul_i32 s83, s81, s65
	s_addc_u32 s0, s0, s84
	s_mul_i32 s82, s82, s65
	s_mul_i32 s81, s81, s0
	s_mul_hi_u32 s84, s65, s83
	s_add_i32 s81, s85, s81
	s_mul_hi_u32 s85, s0, s83
	s_add_i32 s81, s81, s82
	s_mul_i32 s82, s0, s83
	s_mul_i32 s87, s65, s81
	s_mul_hi_u32 s86, s65, s81
	s_add_u32 s84, s84, s87
	s_addc_u32 s86, 0, s86
	s_mul_hi_u32 s83, s0, s81
	s_add_u32 s82, s84, s82
	s_mul_i32 s81, s0, s81
	s_addc_u32 s82, s86, s85
	s_addc_u32 s83, s83, 0
	s_add_u32 s81, s82, s81
	s_addc_u32 s82, 0, s83
	s_add_u32 s65, s65, s81
	s_cselect_b32 s81, -1, 0
	v_mul_hi_u32 v39, v2, s65
	s_cmp_lg_u32 s81, 0
	v_mad_u64_u32 v[32:33], null, v38, s65, 0
	s_addc_u32 s0, s0, s82
	v_mad_u64_u32 v[15:16], null, v2, s0, 0
	v_mad_u64_u32 v[36:37], null, v38, s0, 0
	v_add_co_u32 v15, vcc_lo, v39, v15
	v_add_co_ci_u32_e64 v16, null, 0, v16, vcc_lo
	v_add_co_u32 v15, vcc_lo, v15, v32
	v_add_co_ci_u32_e32 v15, vcc_lo, v16, v33, vcc_lo
	v_add_co_ci_u32_e32 v16, vcc_lo, 0, v37, vcc_lo
	v_add_co_u32 v32, vcc_lo, v15, v36
	v_add_co_ci_u32_e64 v33, null, 0, v16, vcc_lo
	v_mul_lo_u32 v36, s67, v32
	v_mad_u64_u32 v[15:16], null, s66, v32, 0
	v_mul_lo_u32 v37, s66, v33
	v_sub_co_u32 v2, vcc_lo, v2, v15
	v_add3_u32 v16, v16, v37, v36
	v_sub_nc_u32_e32 v36, v38, v16
	v_sub_co_ci_u32_e64 v16, null, v38, v16, vcc_lo
	v_subrev_co_ci_u32_e64 v15, null, s67, v36, vcc_lo
	v_add_co_u32 v36, s0, v32, 2
	v_add_co_ci_u32_e64 v37, null, 0, v33, s0
	v_sub_co_u32 v39, s0, v2, s66
	v_subrev_co_ci_u32_e64 v15, null, 0, v15, s0
	v_cmp_le_u32_e32 vcc_lo, s66, v39
	v_cndmask_b32_e64 v38, 0, -1, vcc_lo
	v_cmp_le_u32_e32 vcc_lo, s67, v15
	v_cndmask_b32_e64 v39, 0, -1, vcc_lo
	;; [unrolled: 2-line block ×4, first 2 shown]
	v_cmp_eq_u32_e32 vcc_lo, s67, v15
	v_cndmask_b32_e32 v15, v39, v38, vcc_lo
	v_add_co_u32 v38, vcc_lo, v32, 1
	v_add_co_ci_u32_e64 v39, null, 0, v33, vcc_lo
	v_cmp_eq_u32_e32 vcc_lo, s67, v16
	v_xor_b32_e32 v16, s64, v17
	v_cndmask_b32_e32 v2, v40, v2, vcc_lo
	v_cmp_ne_u32_e32 vcc_lo, 0, v15
	v_cmp_ne_u32_e64 s0, 0, v2
	v_cndmask_b32_e32 v2, v38, v36, vcc_lo
	v_cndmask_b32_e32 v15, v39, v37, vcc_lo
	v_cndmask_b32_e64 v2, v32, v2, s0
	v_cndmask_b32_e64 v15, v33, v15, s0
	v_xor_b32_e32 v2, v2, v16
	v_xor_b32_e32 v32, v15, v16
	v_sub_co_u32 v15, vcc_lo, v2, v16
	v_sub_co_ci_u32_e64 v16, null, v32, v16, vcc_lo
.LBB7_25:                               ;   in Loop: Header=BB7_3 Depth=1
	s_or_saveexec_b32 s0, s1
	v_cvt_f32_u32_e32 v37, s40
	s_xor_b32 exec_lo, exec_lo, s0
	s_cbranch_execz .LBB7_27
; %bb.26:                               ;   in Loop: Header=BB7_3 Depth=1
	v_rcp_iflag_f32_e32 v2, v37
	s_sub_i32 s1, 0, s40
	v_mul_f32_e32 v2, 0x4f7ffffe, v2
	v_cvt_u32_f32_e32 v2, v2
	v_mul_lo_u32 v15, s1, v2
	v_mul_hi_u32 v15, v2, v15
	v_add_nc_u32_e32 v2, v2, v15
	v_mul_hi_u32 v2, v18, v2
	v_mul_lo_u32 v15, v2, s40
	v_add_nc_u32_e32 v16, 1, v2
	v_sub_nc_u32_e32 v15, v18, v15
	v_subrev_nc_u32_e32 v32, s40, v15
	v_cmp_le_u32_e32 vcc_lo, s40, v15
	v_cndmask_b32_e32 v15, v15, v32, vcc_lo
	v_cndmask_b32_e32 v2, v2, v16, vcc_lo
	v_cmp_le_u32_e32 vcc_lo, s40, v15
	v_add_nc_u32_e32 v16, 1, v2
	v_cndmask_b32_e32 v15, v2, v16, vcc_lo
	v_mov_b32_e32 v16, v1
.LBB7_27:                               ;   in Loop: Header=BB7_3 Depth=1
	s_or_b32 exec_lo, exec_lo, s0
	v_mul_lo_u32 v2, v16, s40
	v_mul_lo_u32 v36, v15, s41
	v_mad_u64_u32 v[32:33], null, v15, s40, 0
	v_mul_lo_u32 v38, v15, s17
	s_mov_b32 s0, exec_lo
	v_add3_u32 v2, v33, v36, v2
	v_mul_lo_u32 v36, v16, s16
	v_sub_co_u32 v16, vcc_lo, v5, v32
	v_sub_co_ci_u32_e64 v2, null, v6, v2, vcc_lo
	v_add_co_u32 v32, vcc_lo, v3, v16
	v_mad_u64_u32 v[15:16], null, v15, s16, 0
	v_add_co_ci_u32_e64 v2, null, v4, v2, vcc_lo
	v_mul_lo_u32 v39, v32, s19
	v_mad_u64_u32 v[32:33], null, v32, s18, 0
	v_mul_lo_u32 v2, v2, s18
	v_add3_u32 v16, v16, v38, v36
	v_lshlrev_b64 v[15:16], 2, v[15:16]
	v_add3_u32 v33, v33, v39, v2
	v_add_co_u32 v2, vcc_lo, s36, v15
	v_lshlrev_b64 v[32:33], 2, v[32:33]
	v_add_co_ci_u32_e64 v16, null, s37, v16, vcc_lo
	v_add_co_u32 v15, vcc_lo, v2, v32
	v_add_co_ci_u32_e64 v16, null, v16, v33, vcc_lo
	v_or_b32_e32 v2, s41, v24
	global_load_dword v32, v[15:16], off
                                        ; implicit-def: $vgpr15_vgpr16
	v_cmpx_ne_u64_e32 0, v[1:2]
	s_xor_b32 s1, exec_lo, s0
	s_cbranch_execz .LBB7_29
; %bb.28:                               ;   in Loop: Header=BB7_3 Depth=1
	s_ashr_i32 s64, s41, 31
	v_add_co_u32 v16, vcc_lo, v22, v19
	s_add_u32 s66, s40, s64
	s_mov_b32 s65, s64
	s_addc_u32 s67, s41, s64
	v_add_co_ci_u32_e64 v33, null, v24, v19, vcc_lo
	s_xor_b64 s[66:67], s[66:67], s[64:65]
	v_cvt_f32_u32_e32 v2, s66
	v_cvt_f32_u32_e32 v15, s67
	s_sub_u32 s81, 0, s66
	s_subb_u32 s82, 0, s67
	v_xor_b32_e32 v33, v33, v19
	v_fmac_f32_e32 v2, 0x4f800000, v15
	v_rcp_f32_e32 v2, v2
	v_mul_f32_e32 v2, 0x5f7ffffc, v2
	v_mul_f32_e32 v15, 0x2f800000, v2
	v_trunc_f32_e32 v15, v15
	v_fmac_f32_e32 v2, 0xcf800000, v15
	v_cvt_u32_f32_e32 v15, v15
	v_cvt_u32_f32_e32 v2, v2
	v_readfirstlane_b32 s0, v15
	v_readfirstlane_b32 s65, v2
	s_mul_i32 s83, s81, s0
	v_xor_b32_e32 v2, v16, v19
	s_mul_hi_u32 s85, s81, s65
	s_mul_i32 s84, s82, s65
	s_add_i32 s83, s85, s83
	s_mul_i32 s86, s81, s65
	s_add_i32 s83, s83, s84
	s_mul_hi_u32 s85, s65, s86
	s_mul_i32 s88, s65, s83
	s_mul_hi_u32 s87, s0, s86
	s_mul_i32 s84, s0, s86
	s_mul_hi_u32 s86, s65, s83
	s_add_u32 s85, s85, s88
	s_addc_u32 s86, 0, s86
	s_mul_hi_u32 s89, s0, s83
	s_add_u32 s84, s85, s84
	s_mul_i32 s83, s0, s83
	s_addc_u32 s84, s86, s87
	s_addc_u32 s85, s89, 0
	s_add_u32 s83, s84, s83
	s_addc_u32 s84, 0, s85
	s_add_u32 s65, s65, s83
	s_cselect_b32 s83, -1, 0
	s_mul_hi_u32 s85, s81, s65
	s_cmp_lg_u32 s83, 0
	s_mul_i32 s83, s81, s65
	s_addc_u32 s0, s0, s84
	s_mul_i32 s82, s82, s65
	s_mul_i32 s81, s81, s0
	s_mul_hi_u32 s84, s65, s83
	s_add_i32 s81, s85, s81
	s_mul_hi_u32 s85, s0, s83
	s_add_i32 s81, s81, s82
	s_mul_i32 s82, s0, s83
	s_mul_i32 s87, s65, s81
	s_mul_hi_u32 s86, s65, s81
	s_add_u32 s84, s84, s87
	s_addc_u32 s86, 0, s86
	s_mul_hi_u32 s83, s0, s81
	s_add_u32 s82, s84, s82
	s_mul_i32 s81, s0, s81
	s_addc_u32 s82, s86, s85
	s_addc_u32 s83, s83, 0
	s_add_u32 s81, s82, s81
	s_addc_u32 s82, 0, s83
	s_add_u32 s65, s65, s81
	s_cselect_b32 s81, -1, 0
	v_mul_hi_u32 v36, v2, s65
	s_cmp_lg_u32 s81, 0
	v_mad_u64_u32 v[38:39], null, v33, s65, 0
	s_addc_u32 s0, s0, s82
	v_mad_u64_u32 v[15:16], null, v2, s0, 0
	v_mad_u64_u32 v[40:41], null, v33, s0, 0
	v_add_co_u32 v15, vcc_lo, v36, v15
	v_add_co_ci_u32_e64 v16, null, 0, v16, vcc_lo
	v_add_co_u32 v15, vcc_lo, v15, v38
	v_add_co_ci_u32_e32 v15, vcc_lo, v16, v39, vcc_lo
	v_add_co_ci_u32_e32 v16, vcc_lo, 0, v41, vcc_lo
	v_add_co_u32 v36, vcc_lo, v15, v40
	v_add_co_ci_u32_e64 v38, null, 0, v16, vcc_lo
	v_mul_lo_u32 v39, s67, v36
	v_mad_u64_u32 v[15:16], null, s66, v36, 0
	v_mul_lo_u32 v40, s66, v38
	v_sub_co_u32 v2, vcc_lo, v2, v15
	v_add3_u32 v16, v16, v40, v39
	v_sub_nc_u32_e32 v39, v33, v16
	v_sub_co_ci_u32_e64 v16, null, v33, v16, vcc_lo
	v_subrev_co_ci_u32_e64 v15, null, s67, v39, vcc_lo
	v_add_co_u32 v39, s0, v36, 2
	v_add_co_ci_u32_e64 v40, null, 0, v38, s0
	v_sub_co_u32 v41, s0, v2, s66
	v_subrev_co_ci_u32_e64 v15, null, 0, v15, s0
	v_cmp_le_u32_e32 vcc_lo, s66, v41
	v_cndmask_b32_e64 v33, 0, -1, vcc_lo
	v_cmp_le_u32_e32 vcc_lo, s67, v15
	v_cndmask_b32_e64 v41, 0, -1, vcc_lo
	;; [unrolled: 2-line block ×4, first 2 shown]
	v_cmp_eq_u32_e32 vcc_lo, s67, v15
	v_cndmask_b32_e32 v15, v41, v33, vcc_lo
	v_add_co_u32 v33, vcc_lo, v36, 1
	v_add_co_ci_u32_e64 v41, null, 0, v38, vcc_lo
	v_cmp_eq_u32_e32 vcc_lo, s67, v16
	v_xor_b32_e32 v16, s64, v19
	v_cndmask_b32_e32 v2, v42, v2, vcc_lo
	v_cmp_ne_u32_e32 vcc_lo, 0, v15
	v_cmp_ne_u32_e64 s0, 0, v2
	v_cndmask_b32_e32 v2, v33, v39, vcc_lo
	v_cndmask_b32_e32 v15, v41, v40, vcc_lo
	v_cndmask_b32_e64 v2, v36, v2, s0
	v_cndmask_b32_e64 v15, v38, v15, s0
	v_xor_b32_e32 v2, v2, v16
	v_xor_b32_e32 v33, v15, v16
	v_sub_co_u32 v15, vcc_lo, v2, v16
	v_sub_co_ci_u32_e64 v16, null, v33, v16, vcc_lo
.LBB7_29:                               ;   in Loop: Header=BB7_3 Depth=1
	s_andn2_saveexec_b32 s0, s1
	s_cbranch_execz .LBB7_31
; %bb.30:                               ;   in Loop: Header=BB7_3 Depth=1
	v_rcp_iflag_f32_e32 v2, v37
	s_sub_i32 s1, 0, s40
	v_mul_f32_e32 v2, 0x4f7ffffe, v2
	v_cvt_u32_f32_e32 v2, v2
	v_mul_lo_u32 v15, s1, v2
	v_mul_hi_u32 v15, v2, v15
	v_add_nc_u32_e32 v2, v2, v15
	v_mul_hi_u32 v2, v22, v2
	v_mul_lo_u32 v15, v2, s40
	v_add_nc_u32_e32 v16, 1, v2
	v_sub_nc_u32_e32 v15, v22, v15
	v_subrev_nc_u32_e32 v33, s40, v15
	v_cmp_le_u32_e32 vcc_lo, s40, v15
	v_cndmask_b32_e32 v15, v15, v33, vcc_lo
	v_cndmask_b32_e32 v2, v2, v16, vcc_lo
	v_cmp_le_u32_e32 vcc_lo, s40, v15
	v_add_nc_u32_e32 v16, 1, v2
	v_cndmask_b32_e32 v15, v2, v16, vcc_lo
	v_mov_b32_e32 v16, v1
.LBB7_31:                               ;   in Loop: Header=BB7_3 Depth=1
	s_or_b32 exec_lo, exec_lo, s0
	v_mul_lo_u32 v2, v16, s40
	v_mul_lo_u32 v33, v15, s41
	v_mad_u64_u32 v[38:39], null, v15, s40, 0
	v_mul_lo_u32 v36, v15, s17
	s_mov_b32 s0, exec_lo
	v_add3_u32 v2, v39, v33, v2
	v_mul_lo_u32 v33, v16, s16
	v_sub_co_u32 v16, vcc_lo, v7, v38
	v_sub_co_ci_u32_e64 v2, null, v8, v2, vcc_lo
	v_add_co_u32 v38, vcc_lo, v3, v16
	v_mad_u64_u32 v[15:16], null, v15, s16, 0
	v_add_co_ci_u32_e64 v2, null, v4, v2, vcc_lo
	v_mul_lo_u32 v40, v38, s19
	v_mad_u64_u32 v[38:39], null, v38, s18, 0
	v_mul_lo_u32 v2, v2, s18
	v_add3_u32 v16, v16, v36, v33
	v_lshlrev_b64 v[15:16], 2, v[15:16]
	v_add3_u32 v39, v39, v40, v2
	v_add_co_u32 v2, vcc_lo, s36, v15
	v_lshlrev_b64 v[38:39], 2, v[38:39]
	v_add_co_ci_u32_e64 v16, null, s37, v16, vcc_lo
	v_add_co_u32 v15, vcc_lo, v2, v38
	v_add_co_ci_u32_e64 v16, null, v16, v39, vcc_lo
	v_or_b32_e32 v2, s41, v26
	global_load_dword v33, v[15:16], off
                                        ; implicit-def: $vgpr15_vgpr16
	v_cmpx_ne_u64_e32 0, v[1:2]
	s_xor_b32 s1, exec_lo, s0
	s_cbranch_execz .LBB7_33
; %bb.32:                               ;   in Loop: Header=BB7_3 Depth=1
	s_ashr_i32 s64, s41, 31
	v_add_co_u32 v16, vcc_lo, v25, v21
	s_add_u32 s66, s40, s64
	s_mov_b32 s65, s64
	s_addc_u32 s67, s41, s64
	v_add_co_ci_u32_e64 v36, null, v26, v21, vcc_lo
	s_xor_b64 s[66:67], s[66:67], s[64:65]
	v_cvt_f32_u32_e32 v2, s66
	v_cvt_f32_u32_e32 v15, s67
	s_sub_u32 s81, 0, s66
	s_subb_u32 s82, 0, s67
	v_xor_b32_e32 v36, v36, v21
	v_fmac_f32_e32 v2, 0x4f800000, v15
	v_rcp_f32_e32 v2, v2
	v_mul_f32_e32 v2, 0x5f7ffffc, v2
	v_mul_f32_e32 v15, 0x2f800000, v2
	v_trunc_f32_e32 v15, v15
	v_fmac_f32_e32 v2, 0xcf800000, v15
	v_cvt_u32_f32_e32 v15, v15
	v_cvt_u32_f32_e32 v2, v2
	v_readfirstlane_b32 s0, v15
	v_readfirstlane_b32 s65, v2
	s_mul_i32 s83, s81, s0
	v_xor_b32_e32 v2, v16, v21
	s_mul_hi_u32 s85, s81, s65
	s_mul_i32 s84, s82, s65
	s_add_i32 s83, s85, s83
	s_mul_i32 s86, s81, s65
	s_add_i32 s83, s83, s84
	s_mul_hi_u32 s85, s65, s86
	s_mul_i32 s88, s65, s83
	s_mul_hi_u32 s87, s0, s86
	s_mul_i32 s84, s0, s86
	s_mul_hi_u32 s86, s65, s83
	s_add_u32 s85, s85, s88
	s_addc_u32 s86, 0, s86
	s_mul_hi_u32 s89, s0, s83
	s_add_u32 s84, s85, s84
	s_mul_i32 s83, s0, s83
	s_addc_u32 s84, s86, s87
	s_addc_u32 s85, s89, 0
	s_add_u32 s83, s84, s83
	s_addc_u32 s84, 0, s85
	s_add_u32 s65, s65, s83
	s_cselect_b32 s83, -1, 0
	s_mul_hi_u32 s85, s81, s65
	s_cmp_lg_u32 s83, 0
	s_mul_i32 s83, s81, s65
	s_addc_u32 s0, s0, s84
	s_mul_i32 s82, s82, s65
	s_mul_i32 s81, s81, s0
	s_mul_hi_u32 s84, s65, s83
	s_add_i32 s81, s85, s81
	s_mul_hi_u32 s85, s0, s83
	s_add_i32 s81, s81, s82
	s_mul_i32 s82, s0, s83
	s_mul_i32 s87, s65, s81
	s_mul_hi_u32 s86, s65, s81
	s_add_u32 s84, s84, s87
	s_addc_u32 s86, 0, s86
	s_mul_hi_u32 s83, s0, s81
	s_add_u32 s82, s84, s82
	s_mul_i32 s81, s0, s81
	s_addc_u32 s82, s86, s85
	s_addc_u32 s83, s83, 0
	s_add_u32 s81, s82, s81
	s_addc_u32 s82, 0, s83
	s_add_u32 s65, s65, s81
	s_cselect_b32 s81, -1, 0
	v_mul_hi_u32 v42, v2, s65
	s_cmp_lg_u32 s81, 0
	v_mad_u64_u32 v[38:39], null, v36, s65, 0
	s_addc_u32 s0, s0, s82
	v_mad_u64_u32 v[15:16], null, v2, s0, 0
	v_mad_u64_u32 v[40:41], null, v36, s0, 0
	v_add_co_u32 v15, vcc_lo, v42, v15
	v_add_co_ci_u32_e64 v16, null, 0, v16, vcc_lo
	v_add_co_u32 v15, vcc_lo, v15, v38
	v_add_co_ci_u32_e32 v15, vcc_lo, v16, v39, vcc_lo
	v_add_co_ci_u32_e32 v16, vcc_lo, 0, v41, vcc_lo
	v_add_co_u32 v38, vcc_lo, v15, v40
	v_add_co_ci_u32_e64 v39, null, 0, v16, vcc_lo
	v_mul_lo_u32 v40, s67, v38
	v_mad_u64_u32 v[15:16], null, s66, v38, 0
	v_mul_lo_u32 v41, s66, v39
	v_sub_co_u32 v2, vcc_lo, v2, v15
	v_add3_u32 v16, v16, v41, v40
	v_sub_nc_u32_e32 v40, v36, v16
	v_sub_co_ci_u32_e64 v16, null, v36, v16, vcc_lo
	v_subrev_co_ci_u32_e64 v15, null, s67, v40, vcc_lo
	v_add_co_u32 v40, s0, v38, 2
	v_add_co_ci_u32_e64 v41, null, 0, v39, s0
	v_sub_co_u32 v42, s0, v2, s66
	v_subrev_co_ci_u32_e64 v15, null, 0, v15, s0
	v_cmp_le_u32_e32 vcc_lo, s66, v42
	v_cndmask_b32_e64 v36, 0, -1, vcc_lo
	v_cmp_le_u32_e32 vcc_lo, s67, v15
	v_cndmask_b32_e64 v42, 0, -1, vcc_lo
	;; [unrolled: 2-line block ×4, first 2 shown]
	v_cmp_eq_u32_e32 vcc_lo, s67, v15
	v_cndmask_b32_e32 v15, v42, v36, vcc_lo
	v_add_co_u32 v36, vcc_lo, v38, 1
	v_add_co_ci_u32_e64 v42, null, 0, v39, vcc_lo
	v_cmp_eq_u32_e32 vcc_lo, s67, v16
	v_xor_b32_e32 v16, s64, v21
	v_cndmask_b32_e32 v2, v43, v2, vcc_lo
	v_cmp_ne_u32_e32 vcc_lo, 0, v15
	v_cmp_ne_u32_e64 s0, 0, v2
	v_cndmask_b32_e32 v2, v36, v40, vcc_lo
	v_cndmask_b32_e32 v15, v42, v41, vcc_lo
	v_cndmask_b32_e64 v2, v38, v2, s0
	v_cndmask_b32_e64 v15, v39, v15, s0
	v_xor_b32_e32 v2, v2, v16
	v_xor_b32_e32 v36, v15, v16
	v_sub_co_u32 v15, vcc_lo, v2, v16
	v_sub_co_ci_u32_e64 v16, null, v36, v16, vcc_lo
.LBB7_33:                               ;   in Loop: Header=BB7_3 Depth=1
	s_andn2_saveexec_b32 s0, s1
	s_cbranch_execz .LBB7_35
; %bb.34:                               ;   in Loop: Header=BB7_3 Depth=1
	v_rcp_iflag_f32_e32 v2, v37
	s_sub_i32 s1, 0, s40
	v_mul_f32_e32 v2, 0x4f7ffffe, v2
	v_cvt_u32_f32_e32 v2, v2
	v_mul_lo_u32 v15, s1, v2
	v_mul_hi_u32 v15, v2, v15
	v_add_nc_u32_e32 v2, v2, v15
	v_mul_hi_u32 v2, v25, v2
	v_mul_lo_u32 v15, v2, s40
	v_add_nc_u32_e32 v16, 1, v2
	v_sub_nc_u32_e32 v15, v25, v15
	v_subrev_nc_u32_e32 v36, s40, v15
	v_cmp_le_u32_e32 vcc_lo, s40, v15
	v_cndmask_b32_e32 v15, v15, v36, vcc_lo
	v_cndmask_b32_e32 v2, v2, v16, vcc_lo
	v_cmp_le_u32_e32 vcc_lo, s40, v15
	v_add_nc_u32_e32 v16, 1, v2
	v_cndmask_b32_e32 v15, v2, v16, vcc_lo
	v_mov_b32_e32 v16, v1
.LBB7_35:                               ;   in Loop: Header=BB7_3 Depth=1
	s_or_b32 exec_lo, exec_lo, s0
	v_mul_lo_u32 v2, v16, s40
	v_mul_lo_u32 v36, v15, s41
	v_mad_u64_u32 v[38:39], null, v15, s40, 0
	v_mul_lo_u32 v40, v15, s17
	s_mov_b32 s0, exec_lo
	v_add3_u32 v2, v39, v36, v2
	v_mul_lo_u32 v36, v16, s16
	v_sub_co_u32 v16, vcc_lo, v11, v38
	v_sub_co_ci_u32_e64 v2, null, v12, v2, vcc_lo
	v_add_co_u32 v38, vcc_lo, v3, v16
	v_mad_u64_u32 v[15:16], null, v15, s16, 0
	v_add_co_ci_u32_e64 v2, null, v4, v2, vcc_lo
	v_mul_lo_u32 v41, v38, s19
	v_mad_u64_u32 v[38:39], null, v38, s18, 0
	v_mul_lo_u32 v2, v2, s18
	v_add3_u32 v16, v16, v40, v36
	v_lshlrev_b64 v[15:16], 2, v[15:16]
	v_add3_u32 v39, v39, v41, v2
	v_add_co_u32 v2, vcc_lo, s36, v15
	v_lshlrev_b64 v[38:39], 2, v[38:39]
	v_add_co_ci_u32_e64 v16, null, s37, v16, vcc_lo
	v_add_co_u32 v15, vcc_lo, v2, v38
	v_add_co_ci_u32_e64 v16, null, v16, v39, vcc_lo
	v_or_b32_e32 v2, s41, v35
	global_load_dword v36, v[15:16], off
                                        ; implicit-def: $vgpr15_vgpr16
	v_cmpx_ne_u64_e32 0, v[1:2]
	s_xor_b32 s1, exec_lo, s0
	s_cbranch_execz .LBB7_37
; %bb.36:                               ;   in Loop: Header=BB7_3 Depth=1
	s_ashr_i32 s64, s41, 31
	v_add_co_u32 v16, vcc_lo, v34, v23
	s_add_u32 s66, s40, s64
	s_mov_b32 s65, s64
	s_addc_u32 s67, s41, s64
	v_add_co_ci_u32_e64 v37, null, v35, v23, vcc_lo
	s_xor_b64 s[66:67], s[66:67], s[64:65]
	v_cvt_f32_u32_e32 v2, s66
	v_cvt_f32_u32_e32 v15, s67
	s_sub_u32 s81, 0, s66
	s_subb_u32 s82, 0, s67
	v_xor_b32_e32 v41, v37, v23
	v_fmac_f32_e32 v2, 0x4f800000, v15
	v_rcp_f32_e32 v2, v2
	v_mul_f32_e32 v2, 0x5f7ffffc, v2
	v_mul_f32_e32 v15, 0x2f800000, v2
	v_trunc_f32_e32 v15, v15
	v_fmac_f32_e32 v2, 0xcf800000, v15
	v_cvt_u32_f32_e32 v15, v15
	v_cvt_u32_f32_e32 v2, v2
	v_readfirstlane_b32 s0, v15
	v_readfirstlane_b32 s65, v2
	s_mul_i32 s83, s81, s0
	v_xor_b32_e32 v2, v16, v23
	s_mul_hi_u32 s85, s81, s65
	s_mul_i32 s84, s82, s65
	s_add_i32 s83, s85, s83
	s_mul_i32 s86, s81, s65
	s_add_i32 s83, s83, s84
	s_mul_hi_u32 s85, s65, s86
	s_mul_i32 s88, s65, s83
	s_mul_hi_u32 s87, s0, s86
	s_mul_i32 s84, s0, s86
	s_mul_hi_u32 s86, s65, s83
	s_add_u32 s85, s85, s88
	s_addc_u32 s86, 0, s86
	s_mul_hi_u32 s89, s0, s83
	s_add_u32 s84, s85, s84
	s_mul_i32 s83, s0, s83
	s_addc_u32 s84, s86, s87
	s_addc_u32 s85, s89, 0
	s_add_u32 s83, s84, s83
	s_addc_u32 s84, 0, s85
	s_add_u32 s65, s65, s83
	s_cselect_b32 s83, -1, 0
	s_mul_hi_u32 s85, s81, s65
	s_cmp_lg_u32 s83, 0
	s_mul_i32 s83, s81, s65
	s_addc_u32 s0, s0, s84
	s_mul_i32 s82, s82, s65
	s_mul_i32 s81, s81, s0
	s_mul_hi_u32 s84, s65, s83
	s_add_i32 s81, s85, s81
	s_mul_hi_u32 s85, s0, s83
	s_add_i32 s81, s81, s82
	s_mul_i32 s82, s0, s83
	s_mul_i32 s87, s65, s81
	s_mul_hi_u32 s86, s65, s81
	s_add_u32 s84, s84, s87
	s_addc_u32 s86, 0, s86
	s_mul_hi_u32 s83, s0, s81
	s_add_u32 s82, s84, s82
	s_mul_i32 s81, s0, s81
	s_addc_u32 s82, s86, s85
	s_addc_u32 s83, s83, 0
	s_add_u32 s81, s82, s81
	s_addc_u32 s82, 0, s83
	s_add_u32 s65, s65, s81
	s_cselect_b32 s81, -1, 0
	v_mul_hi_u32 v42, v2, s65
	s_cmp_lg_u32 s81, 0
	v_mad_u64_u32 v[37:38], null, v41, s65, 0
	s_addc_u32 s0, s0, s82
	v_mad_u64_u32 v[15:16], null, v2, s0, 0
	v_mad_u64_u32 v[39:40], null, v41, s0, 0
	v_add_co_u32 v15, vcc_lo, v42, v15
	v_add_co_ci_u32_e64 v16, null, 0, v16, vcc_lo
	v_add_co_u32 v15, vcc_lo, v15, v37
	v_add_co_ci_u32_e32 v15, vcc_lo, v16, v38, vcc_lo
	v_add_co_ci_u32_e32 v16, vcc_lo, 0, v40, vcc_lo
	v_add_co_u32 v37, vcc_lo, v15, v39
	v_add_co_ci_u32_e64 v38, null, 0, v16, vcc_lo
	v_mul_lo_u32 v39, s67, v37
	v_mad_u64_u32 v[15:16], null, s66, v37, 0
	v_mul_lo_u32 v40, s66, v38
	v_sub_co_u32 v2, vcc_lo, v2, v15
	v_add3_u32 v16, v16, v40, v39
	v_sub_nc_u32_e32 v39, v41, v16
	v_sub_co_ci_u32_e64 v16, null, v41, v16, vcc_lo
	v_subrev_co_ci_u32_e64 v15, null, s67, v39, vcc_lo
	v_add_co_u32 v39, s0, v37, 2
	v_add_co_ci_u32_e64 v40, null, 0, v38, s0
	v_sub_co_u32 v42, s0, v2, s66
	v_subrev_co_ci_u32_e64 v15, null, 0, v15, s0
	v_cmp_le_u32_e32 vcc_lo, s66, v42
	v_cndmask_b32_e64 v41, 0, -1, vcc_lo
	v_cmp_le_u32_e32 vcc_lo, s67, v15
	v_cndmask_b32_e64 v42, 0, -1, vcc_lo
	;; [unrolled: 2-line block ×4, first 2 shown]
	v_cmp_eq_u32_e32 vcc_lo, s67, v15
	v_cndmask_b32_e32 v15, v42, v41, vcc_lo
	v_add_co_u32 v41, vcc_lo, v37, 1
	v_add_co_ci_u32_e64 v42, null, 0, v38, vcc_lo
	v_cmp_eq_u32_e32 vcc_lo, s67, v16
	v_xor_b32_e32 v16, s64, v23
	v_cndmask_b32_e32 v2, v43, v2, vcc_lo
	v_cmp_ne_u32_e32 vcc_lo, 0, v15
	v_cmp_ne_u32_e64 s0, 0, v2
	v_cndmask_b32_e32 v2, v41, v39, vcc_lo
	v_cndmask_b32_e32 v15, v42, v40, vcc_lo
	v_cndmask_b32_e64 v2, v37, v2, s0
	v_cndmask_b32_e64 v15, v38, v15, s0
	v_xor_b32_e32 v2, v2, v16
	v_xor_b32_e32 v37, v15, v16
	v_sub_co_u32 v15, vcc_lo, v2, v16
	v_sub_co_ci_u32_e64 v16, null, v37, v16, vcc_lo
                                        ; implicit-def: $vgpr37
.LBB7_37:                               ;   in Loop: Header=BB7_3 Depth=1
	s_andn2_saveexec_b32 s0, s1
	s_cbranch_execz .LBB7_39
; %bb.38:                               ;   in Loop: Header=BB7_3 Depth=1
	v_rcp_iflag_f32_e32 v2, v37
	s_sub_i32 s1, 0, s40
	v_mul_f32_e32 v2, 0x4f7ffffe, v2
	v_cvt_u32_f32_e32 v2, v2
	v_mul_lo_u32 v15, s1, v2
	v_mul_hi_u32 v15, v2, v15
	v_add_nc_u32_e32 v2, v2, v15
	v_mul_hi_u32 v2, v34, v2
	v_mul_lo_u32 v15, v2, s40
	v_add_nc_u32_e32 v16, 1, v2
	v_sub_nc_u32_e32 v15, v34, v15
	v_subrev_nc_u32_e32 v37, s40, v15
	v_cmp_le_u32_e32 vcc_lo, s40, v15
	v_cndmask_b32_e32 v15, v15, v37, vcc_lo
	v_cndmask_b32_e32 v2, v2, v16, vcc_lo
	v_cmp_le_u32_e32 vcc_lo, s40, v15
	v_add_nc_u32_e32 v16, 1, v2
	v_cndmask_b32_e32 v15, v2, v16, vcc_lo
	v_mov_b32_e32 v16, v1
.LBB7_39:                               ;   in Loop: Header=BB7_3 Depth=1
	s_or_b32 exec_lo, exec_lo, s0
	v_mul_lo_u32 v2, v16, s40
	v_mul_lo_u32 v39, v15, s41
	v_mad_u64_u32 v[37:38], null, v15, s40, 0
	v_mul_lo_u32 v40, v15, s17
	s_mov_b32 s0, exec_lo
	v_add3_u32 v2, v38, v39, v2
	v_mul_lo_u32 v39, v16, s16
	v_sub_co_u32 v16, vcc_lo, v13, v37
	v_sub_co_ci_u32_e64 v2, null, v14, v2, vcc_lo
	v_add_co_u32 v37, vcc_lo, v3, v16
	v_mad_u64_u32 v[15:16], null, v15, s16, 0
	v_add_co_ci_u32_e64 v2, null, v4, v2, vcc_lo
	v_mul_lo_u32 v41, v37, s19
	v_mad_u64_u32 v[37:38], null, v37, s18, 0
	v_mul_lo_u32 v2, v2, s18
	v_add3_u32 v16, v16, v40, v39
	v_lshlrev_b64 v[15:16], 2, v[15:16]
	v_add3_u32 v38, v38, v41, v2
	v_add_co_u32 v2, vcc_lo, s36, v15
	v_lshlrev_b64 v[37:38], 2, v[37:38]
	v_add_co_ci_u32_e64 v16, null, s37, v16, vcc_lo
	v_add_co_u32 v15, vcc_lo, v2, v37
	v_add_co_ci_u32_e64 v16, null, v16, v38, vcc_lo
	v_or_b32_e32 v2, s63, v20
	global_load_dword v37, v[15:16], off
                                        ; implicit-def: $vgpr15_vgpr16
	v_cmpx_ne_u64_e32 0, v[1:2]
	s_xor_b32 s1, exec_lo, s0
	s_cbranch_execz .LBB7_41
; %bb.40:                               ;   in Loop: Header=BB7_3 Depth=1
	s_ashr_i32 s64, s63, 31
	v_add_co_u32 v16, vcc_lo, v18, v17
	s_add_u32 s66, s62, s64
	s_mov_b32 s65, s64
	s_addc_u32 s67, s63, s64
	v_add_co_ci_u32_e64 v18, null, v20, v17, vcc_lo
	s_xor_b64 s[66:67], s[66:67], s[64:65]
	v_cvt_f32_u32_e32 v2, s66
	v_cvt_f32_u32_e32 v15, s67
	s_sub_u32 s81, 0, s66
	s_subb_u32 s82, 0, s67
	v_xor_b32_e32 v18, v18, v17
	v_fmac_f32_e32 v2, 0x4f800000, v15
	v_rcp_f32_e32 v2, v2
	v_mul_f32_e32 v2, 0x5f7ffffc, v2
	v_mul_f32_e32 v15, 0x2f800000, v2
	v_trunc_f32_e32 v15, v15
	v_fmac_f32_e32 v2, 0xcf800000, v15
	v_cvt_u32_f32_e32 v15, v15
	v_cvt_u32_f32_e32 v2, v2
	v_readfirstlane_b32 s0, v15
	v_readfirstlane_b32 s65, v2
	s_mul_i32 s83, s81, s0
	v_xor_b32_e32 v2, v16, v17
	s_mul_hi_u32 s85, s81, s65
	s_mul_i32 s84, s82, s65
	s_add_i32 s83, s85, s83
	s_mul_i32 s86, s81, s65
	s_add_i32 s83, s83, s84
	s_mul_hi_u32 s85, s65, s86
	s_mul_i32 s88, s65, s83
	s_mul_hi_u32 s87, s0, s86
	s_mul_i32 s84, s0, s86
	s_mul_hi_u32 s86, s65, s83
	s_add_u32 s85, s85, s88
	s_addc_u32 s86, 0, s86
	s_mul_hi_u32 s89, s0, s83
	s_add_u32 s84, s85, s84
	s_mul_i32 s83, s0, s83
	s_addc_u32 s84, s86, s87
	s_addc_u32 s85, s89, 0
	s_add_u32 s83, s84, s83
	s_addc_u32 s84, 0, s85
	s_add_u32 s65, s65, s83
	s_cselect_b32 s83, -1, 0
	s_mul_hi_u32 s85, s81, s65
	s_cmp_lg_u32 s83, 0
	s_mul_i32 s83, s81, s65
	s_addc_u32 s0, s0, s84
	s_mul_i32 s82, s82, s65
	s_mul_i32 s81, s81, s0
	s_mul_hi_u32 s84, s65, s83
	s_add_i32 s81, s85, s81
	s_mul_hi_u32 s85, s0, s83
	s_add_i32 s81, s81, s82
	s_mul_i32 s82, s0, s83
	s_mul_i32 s87, s65, s81
	s_mul_hi_u32 s86, s65, s81
	s_add_u32 s84, s84, s87
	s_addc_u32 s86, 0, s86
	s_mul_hi_u32 s83, s0, s81
	s_add_u32 s82, s84, s82
	s_mul_i32 s81, s0, s81
	s_addc_u32 s82, s86, s85
	s_addc_u32 s83, s83, 0
	s_add_u32 s81, s82, s81
	s_addc_u32 s82, 0, s83
	s_add_u32 s65, s65, s81
	s_cselect_b32 s81, -1, 0
	v_mul_hi_u32 v20, v2, s65
	s_cmp_lg_u32 s81, 0
	v_mad_u64_u32 v[38:39], null, v18, s65, 0
	s_addc_u32 s0, s0, s82
	v_mad_u64_u32 v[15:16], null, v2, s0, 0
	v_mad_u64_u32 v[40:41], null, v18, s0, 0
	v_add_co_u32 v15, vcc_lo, v20, v15
	v_add_co_ci_u32_e64 v16, null, 0, v16, vcc_lo
	v_add_co_u32 v15, vcc_lo, v15, v38
	v_add_co_ci_u32_e32 v15, vcc_lo, v16, v39, vcc_lo
	v_add_co_ci_u32_e32 v16, vcc_lo, 0, v41, vcc_lo
	v_add_co_u32 v20, vcc_lo, v15, v40
	v_add_co_ci_u32_e64 v38, null, 0, v16, vcc_lo
	v_mul_lo_u32 v39, s67, v20
	v_mad_u64_u32 v[15:16], null, s66, v20, 0
	v_mul_lo_u32 v40, s66, v38
	v_sub_co_u32 v2, vcc_lo, v2, v15
	v_add3_u32 v16, v16, v40, v39
	v_sub_nc_u32_e32 v39, v18, v16
	v_sub_co_ci_u32_e64 v16, null, v18, v16, vcc_lo
	v_subrev_co_ci_u32_e64 v15, null, s67, v39, vcc_lo
	v_add_co_u32 v39, s0, v20, 2
	v_add_co_ci_u32_e64 v40, null, 0, v38, s0
	v_sub_co_u32 v41, s0, v2, s66
	v_subrev_co_ci_u32_e64 v15, null, 0, v15, s0
	v_cmp_le_u32_e32 vcc_lo, s66, v41
	v_cndmask_b32_e64 v18, 0, -1, vcc_lo
	v_cmp_le_u32_e32 vcc_lo, s67, v15
	v_cndmask_b32_e64 v41, 0, -1, vcc_lo
	;; [unrolled: 2-line block ×4, first 2 shown]
	v_cmp_eq_u32_e32 vcc_lo, s67, v15
	v_cndmask_b32_e32 v15, v41, v18, vcc_lo
	v_add_co_u32 v18, vcc_lo, v20, 1
	v_add_co_ci_u32_e64 v41, null, 0, v38, vcc_lo
	v_cmp_eq_u32_e32 vcc_lo, s67, v16
	v_xor_b32_e32 v16, s64, v17
	v_cndmask_b32_e32 v2, v42, v2, vcc_lo
	v_cmp_ne_u32_e32 vcc_lo, 0, v15
	v_cmp_ne_u32_e64 s0, 0, v2
	v_cndmask_b32_e32 v2, v18, v39, vcc_lo
	v_cndmask_b32_e32 v15, v41, v40, vcc_lo
                                        ; implicit-def: $vgpr18
	v_cndmask_b32_e64 v2, v20, v2, s0
	v_cndmask_b32_e64 v15, v38, v15, s0
	v_xor_b32_e32 v2, v2, v16
	v_xor_b32_e32 v17, v15, v16
	v_sub_co_u32 v15, vcc_lo, v2, v16
	v_sub_co_ci_u32_e64 v16, null, v17, v16, vcc_lo
.LBB7_41:                               ;   in Loop: Header=BB7_3 Depth=1
	s_or_saveexec_b32 s0, s1
	v_cvt_f32_u32_e32 v38, s62
	s_xor_b32 exec_lo, exec_lo, s0
	s_cbranch_execz .LBB7_43
; %bb.42:                               ;   in Loop: Header=BB7_3 Depth=1
	v_rcp_iflag_f32_e32 v2, v38
	s_sub_i32 s1, 0, s62
	v_mul_f32_e32 v2, 0x4f7ffffe, v2
	v_cvt_u32_f32_e32 v2, v2
	v_mul_lo_u32 v15, s1, v2
	v_mul_hi_u32 v15, v2, v15
	v_add_nc_u32_e32 v2, v2, v15
	v_mul_hi_u32 v2, v18, v2
	v_mul_lo_u32 v15, v2, s62
	v_add_nc_u32_e32 v16, 1, v2
	v_sub_nc_u32_e32 v15, v18, v15
	v_subrev_nc_u32_e32 v17, s62, v15
	v_cmp_le_u32_e32 vcc_lo, s62, v15
	v_cndmask_b32_e32 v15, v15, v17, vcc_lo
	v_cndmask_b32_e32 v2, v2, v16, vcc_lo
	v_cmp_le_u32_e32 vcc_lo, s62, v15
	v_add_nc_u32_e32 v16, 1, v2
	v_cndmask_b32_e32 v15, v2, v16, vcc_lo
	v_mov_b32_e32 v16, v1
.LBB7_43:                               ;   in Loop: Header=BB7_3 Depth=1
	s_or_b32 exec_lo, exec_lo, s0
	v_or_b32_e32 v2, s63, v24
                                        ; implicit-def: $vgpr17_vgpr18
	s_mov_b32 s0, exec_lo
	v_cmpx_ne_u64_e32 0, v[1:2]
	s_xor_b32 s1, exec_lo, s0
	s_cbranch_execz .LBB7_45
; %bb.44:                               ;   in Loop: Header=BB7_3 Depth=1
	s_ashr_i32 s64, s63, 31
	v_add_co_u32 v18, vcc_lo, v22, v19
	s_add_u32 s66, s62, s64
	s_mov_b32 s65, s64
	s_addc_u32 s67, s63, s64
	v_add_co_ci_u32_e64 v20, null, v24, v19, vcc_lo
	s_xor_b64 s[66:67], s[66:67], s[64:65]
	v_cvt_f32_u32_e32 v2, s66
	v_cvt_f32_u32_e32 v17, s67
	s_sub_u32 s81, 0, s66
	s_subb_u32 s82, 0, s67
	v_xor_b32_e32 v20, v20, v19
	v_fmac_f32_e32 v2, 0x4f800000, v17
	v_rcp_f32_e32 v2, v2
	v_mul_f32_e32 v2, 0x5f7ffffc, v2
	v_mul_f32_e32 v17, 0x2f800000, v2
	v_trunc_f32_e32 v17, v17
	v_fmac_f32_e32 v2, 0xcf800000, v17
	v_cvt_u32_f32_e32 v17, v17
	v_cvt_u32_f32_e32 v2, v2
	v_readfirstlane_b32 s0, v17
	v_readfirstlane_b32 s65, v2
	s_mul_i32 s83, s81, s0
	v_xor_b32_e32 v2, v18, v19
	s_mul_hi_u32 s85, s81, s65
	s_mul_i32 s84, s82, s65
	s_add_i32 s83, s85, s83
	s_mul_i32 s86, s81, s65
	s_add_i32 s83, s83, s84
	s_mul_hi_u32 s85, s65, s86
	s_mul_i32 s88, s65, s83
	s_mul_hi_u32 s87, s0, s86
	s_mul_i32 s84, s0, s86
	s_mul_hi_u32 s86, s65, s83
	s_add_u32 s85, s85, s88
	s_addc_u32 s86, 0, s86
	s_mul_hi_u32 s89, s0, s83
	s_add_u32 s84, s85, s84
	s_mul_i32 s83, s0, s83
	s_addc_u32 s84, s86, s87
	s_addc_u32 s85, s89, 0
	s_add_u32 s83, s84, s83
	s_addc_u32 s84, 0, s85
	s_add_u32 s65, s65, s83
	s_cselect_b32 s83, -1, 0
	s_mul_hi_u32 s85, s81, s65
	s_cmp_lg_u32 s83, 0
	s_mul_i32 s83, s81, s65
	s_addc_u32 s0, s0, s84
	s_mul_i32 s82, s82, s65
	s_mul_i32 s81, s81, s0
	s_mul_hi_u32 s84, s65, s83
	s_add_i32 s81, s85, s81
	s_mul_hi_u32 s85, s0, s83
	s_add_i32 s81, s81, s82
	s_mul_i32 s82, s0, s83
	s_mul_i32 s87, s65, s81
	s_mul_hi_u32 s86, s65, s81
	s_add_u32 s84, s84, s87
	s_addc_u32 s86, 0, s86
	s_mul_hi_u32 s83, s0, s81
	s_add_u32 s82, s84, s82
	s_mul_i32 s81, s0, s81
	s_addc_u32 s82, s86, s85
	s_addc_u32 s83, s83, 0
	s_add_u32 s81, s82, s81
	s_addc_u32 s82, 0, s83
	s_add_u32 s65, s65, s81
	s_cselect_b32 s81, -1, 0
	v_mul_hi_u32 v22, v2, s65
	s_cmp_lg_u32 s81, 0
	v_mad_u64_u32 v[39:40], null, v20, s65, 0
	s_addc_u32 s0, s0, s82
	v_mad_u64_u32 v[17:18], null, v2, s0, 0
	v_mad_u64_u32 v[41:42], null, v20, s0, 0
	v_add_co_u32 v17, vcc_lo, v22, v17
	v_add_co_ci_u32_e64 v18, null, 0, v18, vcc_lo
	v_add_co_u32 v17, vcc_lo, v17, v39
	v_add_co_ci_u32_e32 v17, vcc_lo, v18, v40, vcc_lo
	v_add_co_ci_u32_e32 v18, vcc_lo, 0, v42, vcc_lo
	v_add_co_u32 v22, vcc_lo, v17, v41
	v_add_co_ci_u32_e64 v24, null, 0, v18, vcc_lo
	v_mul_lo_u32 v39, s67, v22
	v_mad_u64_u32 v[17:18], null, s66, v22, 0
	v_mul_lo_u32 v40, s66, v24
	v_sub_co_u32 v2, vcc_lo, v2, v17
	v_add3_u32 v18, v18, v40, v39
	v_sub_nc_u32_e32 v39, v20, v18
	v_sub_co_ci_u32_e64 v18, null, v20, v18, vcc_lo
	v_subrev_co_ci_u32_e64 v17, null, s67, v39, vcc_lo
	v_add_co_u32 v39, s0, v22, 2
	v_add_co_ci_u32_e64 v40, null, 0, v24, s0
	v_sub_co_u32 v41, s0, v2, s66
	v_subrev_co_ci_u32_e64 v17, null, 0, v17, s0
	v_cmp_le_u32_e32 vcc_lo, s66, v41
	v_cndmask_b32_e64 v20, 0, -1, vcc_lo
	v_cmp_le_u32_e32 vcc_lo, s67, v17
	v_cndmask_b32_e64 v41, 0, -1, vcc_lo
	;; [unrolled: 2-line block ×4, first 2 shown]
	v_cmp_eq_u32_e32 vcc_lo, s67, v17
	v_cndmask_b32_e32 v17, v41, v20, vcc_lo
	v_add_co_u32 v20, vcc_lo, v22, 1
	v_add_co_ci_u32_e64 v41, null, 0, v24, vcc_lo
	v_cmp_eq_u32_e32 vcc_lo, s67, v18
	v_xor_b32_e32 v18, s64, v19
	v_cndmask_b32_e32 v2, v42, v2, vcc_lo
	v_cmp_ne_u32_e32 vcc_lo, 0, v17
	v_cmp_ne_u32_e64 s0, 0, v2
	v_cndmask_b32_e32 v2, v20, v39, vcc_lo
	v_cndmask_b32_e32 v17, v41, v40, vcc_lo
	v_cndmask_b32_e64 v2, v22, v2, s0
	v_cndmask_b32_e64 v17, v24, v17, s0
                                        ; implicit-def: $vgpr22
	v_xor_b32_e32 v2, v2, v18
	v_xor_b32_e32 v19, v17, v18
	v_sub_co_u32 v17, vcc_lo, v2, v18
	v_sub_co_ci_u32_e64 v18, null, v19, v18, vcc_lo
.LBB7_45:                               ;   in Loop: Header=BB7_3 Depth=1
	s_andn2_saveexec_b32 s0, s1
	s_cbranch_execz .LBB7_47
; %bb.46:                               ;   in Loop: Header=BB7_3 Depth=1
	v_rcp_iflag_f32_e32 v2, v38
	s_sub_i32 s1, 0, s62
	v_mul_f32_e32 v2, 0x4f7ffffe, v2
	v_cvt_u32_f32_e32 v2, v2
	v_mul_lo_u32 v17, s1, v2
	v_mul_hi_u32 v17, v2, v17
	v_add_nc_u32_e32 v2, v2, v17
	v_mul_hi_u32 v2, v22, v2
	v_mul_lo_u32 v17, v2, s62
	v_add_nc_u32_e32 v18, 1, v2
	v_sub_nc_u32_e32 v17, v22, v17
	v_subrev_nc_u32_e32 v19, s62, v17
	v_cmp_le_u32_e32 vcc_lo, s62, v17
	v_cndmask_b32_e32 v17, v17, v19, vcc_lo
	v_cndmask_b32_e32 v2, v2, v18, vcc_lo
	v_cmp_le_u32_e32 vcc_lo, s62, v17
	v_add_nc_u32_e32 v18, 1, v2
	v_cndmask_b32_e32 v17, v2, v18, vcc_lo
	v_mov_b32_e32 v18, v1
.LBB7_47:                               ;   in Loop: Header=BB7_3 Depth=1
	s_or_b32 exec_lo, exec_lo, s0
	v_or_b32_e32 v2, s63, v26
                                        ; implicit-def: $vgpr19_vgpr20
	s_mov_b32 s0, exec_lo
	v_cmpx_ne_u64_e32 0, v[1:2]
	s_xor_b32 s1, exec_lo, s0
	s_cbranch_execz .LBB7_49
; %bb.48:                               ;   in Loop: Header=BB7_3 Depth=1
	s_ashr_i32 s64, s63, 31
	v_add_co_u32 v20, vcc_lo, v25, v21
	s_add_u32 s66, s62, s64
	s_mov_b32 s65, s64
	s_addc_u32 s67, s63, s64
	v_add_co_ci_u32_e64 v22, null, v26, v21, vcc_lo
	s_xor_b64 s[66:67], s[66:67], s[64:65]
	v_cvt_f32_u32_e32 v2, s66
	v_cvt_f32_u32_e32 v19, s67
	s_sub_u32 s81, 0, s66
	s_subb_u32 s82, 0, s67
	v_xor_b32_e32 v22, v22, v21
	v_fmac_f32_e32 v2, 0x4f800000, v19
	v_rcp_f32_e32 v2, v2
	v_mul_f32_e32 v2, 0x5f7ffffc, v2
	v_mul_f32_e32 v19, 0x2f800000, v2
	v_trunc_f32_e32 v19, v19
	v_fmac_f32_e32 v2, 0xcf800000, v19
	v_cvt_u32_f32_e32 v19, v19
	v_cvt_u32_f32_e32 v2, v2
	v_readfirstlane_b32 s0, v19
	v_readfirstlane_b32 s65, v2
	s_mul_i32 s83, s81, s0
	v_xor_b32_e32 v2, v20, v21
	s_mul_hi_u32 s85, s81, s65
	s_mul_i32 s84, s82, s65
	s_add_i32 s83, s85, s83
	s_mul_i32 s86, s81, s65
	s_add_i32 s83, s83, s84
	s_mul_hi_u32 s85, s65, s86
	s_mul_i32 s88, s65, s83
	s_mul_hi_u32 s87, s0, s86
	s_mul_i32 s84, s0, s86
	s_mul_hi_u32 s86, s65, s83
	s_add_u32 s85, s85, s88
	s_addc_u32 s86, 0, s86
	s_mul_hi_u32 s89, s0, s83
	s_add_u32 s84, s85, s84
	s_mul_i32 s83, s0, s83
	s_addc_u32 s84, s86, s87
	s_addc_u32 s85, s89, 0
	s_add_u32 s83, s84, s83
	s_addc_u32 s84, 0, s85
	s_add_u32 s65, s65, s83
	s_cselect_b32 s83, -1, 0
	s_mul_hi_u32 s85, s81, s65
	s_cmp_lg_u32 s83, 0
	s_mul_i32 s83, s81, s65
	s_addc_u32 s0, s0, s84
	s_mul_i32 s82, s82, s65
	s_mul_i32 s81, s81, s0
	s_mul_hi_u32 s84, s65, s83
	s_add_i32 s81, s85, s81
	s_mul_hi_u32 s85, s0, s83
	s_add_i32 s81, s81, s82
	s_mul_i32 s82, s0, s83
	s_mul_i32 s87, s65, s81
	s_mul_hi_u32 s86, s65, s81
	s_add_u32 s84, s84, s87
	s_addc_u32 s86, 0, s86
	s_mul_hi_u32 s83, s0, s81
	s_add_u32 s82, s84, s82
	s_mul_i32 s81, s0, s81
	s_addc_u32 s82, s86, s85
	s_addc_u32 s83, s83, 0
	s_add_u32 s81, s82, s81
	s_addc_u32 s82, 0, s83
	s_add_u32 s65, s65, s81
	s_cselect_b32 s81, -1, 0
	v_mul_hi_u32 v26, v2, s65
	s_cmp_lg_u32 s81, 0
	v_mad_u64_u32 v[24:25], null, v22, s65, 0
	s_addc_u32 s0, s0, s82
	v_mad_u64_u32 v[19:20], null, v2, s0, 0
	v_mad_u64_u32 v[39:40], null, v22, s0, 0
	v_add_co_u32 v19, vcc_lo, v26, v19
	v_add_co_ci_u32_e64 v20, null, 0, v20, vcc_lo
	v_add_co_u32 v19, vcc_lo, v19, v24
	v_add_co_ci_u32_e32 v19, vcc_lo, v20, v25, vcc_lo
	v_add_co_ci_u32_e32 v20, vcc_lo, 0, v40, vcc_lo
	v_add_co_u32 v24, vcc_lo, v19, v39
	v_add_co_ci_u32_e64 v25, null, 0, v20, vcc_lo
	v_mul_lo_u32 v26, s67, v24
	v_mad_u64_u32 v[19:20], null, s66, v24, 0
	v_mul_lo_u32 v39, s66, v25
	v_sub_co_u32 v2, vcc_lo, v2, v19
	v_add3_u32 v20, v20, v39, v26
	v_sub_nc_u32_e32 v26, v22, v20
	v_sub_co_ci_u32_e64 v20, null, v22, v20, vcc_lo
	v_subrev_co_ci_u32_e64 v19, null, s67, v26, vcc_lo
	v_add_co_u32 v26, s0, v24, 2
	v_add_co_ci_u32_e64 v39, null, 0, v25, s0
	v_sub_co_u32 v40, s0, v2, s66
	v_subrev_co_ci_u32_e64 v19, null, 0, v19, s0
	v_cmp_le_u32_e32 vcc_lo, s66, v40
	v_cndmask_b32_e64 v22, 0, -1, vcc_lo
	v_cmp_le_u32_e32 vcc_lo, s67, v19
	v_cndmask_b32_e64 v40, 0, -1, vcc_lo
	;; [unrolled: 2-line block ×4, first 2 shown]
	v_cmp_eq_u32_e32 vcc_lo, s67, v19
	v_cndmask_b32_e32 v19, v40, v22, vcc_lo
	v_add_co_u32 v22, vcc_lo, v24, 1
	v_add_co_ci_u32_e64 v40, null, 0, v25, vcc_lo
	v_cmp_eq_u32_e32 vcc_lo, s67, v20
	v_xor_b32_e32 v20, s64, v21
	v_cndmask_b32_e32 v2, v41, v2, vcc_lo
	v_cmp_ne_u32_e32 vcc_lo, 0, v19
	v_cmp_ne_u32_e64 s0, 0, v2
	v_cndmask_b32_e32 v2, v22, v26, vcc_lo
	v_cndmask_b32_e32 v19, v40, v39, vcc_lo
	v_cndmask_b32_e64 v2, v24, v2, s0
	v_cndmask_b32_e64 v19, v25, v19, s0
                                        ; implicit-def: $vgpr25
	v_xor_b32_e32 v2, v2, v20
	v_xor_b32_e32 v21, v19, v20
	v_sub_co_u32 v19, vcc_lo, v2, v20
	v_sub_co_ci_u32_e64 v20, null, v21, v20, vcc_lo
.LBB7_49:                               ;   in Loop: Header=BB7_3 Depth=1
	s_andn2_saveexec_b32 s0, s1
	s_cbranch_execz .LBB7_51
; %bb.50:                               ;   in Loop: Header=BB7_3 Depth=1
	v_rcp_iflag_f32_e32 v2, v38
	s_sub_i32 s1, 0, s62
	v_mul_f32_e32 v2, 0x4f7ffffe, v2
	v_cvt_u32_f32_e32 v2, v2
	v_mul_lo_u32 v19, s1, v2
	v_mul_hi_u32 v19, v2, v19
	v_add_nc_u32_e32 v2, v2, v19
	v_mul_hi_u32 v2, v25, v2
	v_mul_lo_u32 v19, v2, s62
	v_add_nc_u32_e32 v20, 1, v2
	v_sub_nc_u32_e32 v19, v25, v19
	v_subrev_nc_u32_e32 v21, s62, v19
	v_cmp_le_u32_e32 vcc_lo, s62, v19
	v_cndmask_b32_e32 v19, v19, v21, vcc_lo
	v_cndmask_b32_e32 v2, v2, v20, vcc_lo
	v_cmp_le_u32_e32 vcc_lo, s62, v19
	v_add_nc_u32_e32 v20, 1, v2
	v_cndmask_b32_e32 v19, v2, v20, vcc_lo
	v_mov_b32_e32 v20, v1
.LBB7_51:                               ;   in Loop: Header=BB7_3 Depth=1
	s_or_b32 exec_lo, exec_lo, s0
	v_or_b32_e32 v2, s63, v35
                                        ; implicit-def: $vgpr21_vgpr22
	s_mov_b32 s0, exec_lo
	v_cmpx_ne_u64_e32 0, v[1:2]
	s_xor_b32 s1, exec_lo, s0
	s_cbranch_execz .LBB7_53
; %bb.52:                               ;   in Loop: Header=BB7_3 Depth=1
	s_ashr_i32 s64, s63, 31
	v_add_co_u32 v22, vcc_lo, v34, v23
	s_add_u32 s66, s62, s64
	s_mov_b32 s65, s64
	s_addc_u32 s67, s63, s64
	v_add_co_ci_u32_e64 v24, null, v35, v23, vcc_lo
	s_xor_b64 s[66:67], s[66:67], s[64:65]
	v_cvt_f32_u32_e32 v2, s66
	v_cvt_f32_u32_e32 v21, s67
	s_sub_u32 s81, 0, s66
	s_subb_u32 s82, 0, s67
	v_xor_b32_e32 v26, v24, v23
	v_fmac_f32_e32 v2, 0x4f800000, v21
	v_rcp_f32_e32 v2, v2
	v_mul_f32_e32 v2, 0x5f7ffffc, v2
	v_mul_f32_e32 v21, 0x2f800000, v2
	v_trunc_f32_e32 v21, v21
	v_fmac_f32_e32 v2, 0xcf800000, v21
	v_cvt_u32_f32_e32 v21, v21
	v_cvt_u32_f32_e32 v2, v2
	v_readfirstlane_b32 s0, v21
	v_readfirstlane_b32 s65, v2
	s_mul_i32 s83, s81, s0
	v_xor_b32_e32 v2, v22, v23
	s_mul_hi_u32 s85, s81, s65
	s_mul_i32 s84, s82, s65
	s_add_i32 s83, s85, s83
	s_mul_i32 s86, s81, s65
	s_add_i32 s83, s83, s84
	s_mul_hi_u32 s85, s65, s86
	s_mul_i32 s88, s65, s83
	s_mul_hi_u32 s87, s0, s86
	s_mul_i32 s84, s0, s86
	s_mul_hi_u32 s86, s65, s83
	s_add_u32 s85, s85, s88
	s_addc_u32 s86, 0, s86
	s_mul_hi_u32 s89, s0, s83
	s_add_u32 s84, s85, s84
	s_mul_i32 s83, s0, s83
	s_addc_u32 s84, s86, s87
	s_addc_u32 s85, s89, 0
	s_add_u32 s83, s84, s83
	s_addc_u32 s84, 0, s85
	s_add_u32 s65, s65, s83
	s_cselect_b32 s83, -1, 0
	s_mul_hi_u32 s85, s81, s65
	s_cmp_lg_u32 s83, 0
	s_mul_i32 s83, s81, s65
	s_addc_u32 s0, s0, s84
	s_mul_i32 s82, s82, s65
	s_mul_i32 s81, s81, s0
	s_mul_hi_u32 s84, s65, s83
	s_add_i32 s81, s85, s81
	s_mul_hi_u32 s85, s0, s83
	s_add_i32 s81, s81, s82
	s_mul_i32 s82, s0, s83
	s_mul_i32 s87, s65, s81
	s_mul_hi_u32 s86, s65, s81
	s_add_u32 s84, s84, s87
	s_addc_u32 s86, 0, s86
	s_mul_hi_u32 s83, s0, s81
	s_add_u32 s82, s84, s82
	s_mul_i32 s81, s0, s81
	s_addc_u32 s82, s86, s85
	s_addc_u32 s83, s83, 0
	s_add_u32 s81, s82, s81
	s_addc_u32 s82, 0, s83
	s_add_u32 s65, s65, s81
	s_cselect_b32 s81, -1, 0
	v_mul_hi_u32 v38, v2, s65
	s_cmp_lg_u32 s81, 0
	v_mad_u64_u32 v[24:25], null, v26, s65, 0
	s_addc_u32 s0, s0, s82
	v_mad_u64_u32 v[21:22], null, v2, s0, 0
	v_mad_u64_u32 v[34:35], null, v26, s0, 0
	v_add_co_u32 v21, vcc_lo, v38, v21
	v_add_co_ci_u32_e64 v22, null, 0, v22, vcc_lo
	v_add_co_u32 v21, vcc_lo, v21, v24
	v_add_co_ci_u32_e32 v21, vcc_lo, v22, v25, vcc_lo
	v_add_co_ci_u32_e32 v22, vcc_lo, 0, v35, vcc_lo
	v_add_co_u32 v24, vcc_lo, v21, v34
	v_add_co_ci_u32_e64 v25, null, 0, v22, vcc_lo
	v_mul_lo_u32 v34, s67, v24
	v_mad_u64_u32 v[21:22], null, s66, v24, 0
	v_mul_lo_u32 v35, s66, v25
	v_sub_co_u32 v2, vcc_lo, v2, v21
	v_add3_u32 v22, v22, v35, v34
	v_sub_nc_u32_e32 v34, v26, v22
	v_sub_co_ci_u32_e64 v22, null, v26, v22, vcc_lo
	v_subrev_co_ci_u32_e64 v21, null, s67, v34, vcc_lo
	v_add_co_u32 v34, s0, v24, 2
	v_add_co_ci_u32_e64 v35, null, 0, v25, s0
	v_sub_co_u32 v38, s0, v2, s66
	v_subrev_co_ci_u32_e64 v21, null, 0, v21, s0
	v_cmp_le_u32_e32 vcc_lo, s66, v38
	v_cndmask_b32_e64 v26, 0, -1, vcc_lo
	v_cmp_le_u32_e32 vcc_lo, s67, v21
	v_cndmask_b32_e64 v38, 0, -1, vcc_lo
	;; [unrolled: 2-line block ×4, first 2 shown]
	v_cmp_eq_u32_e32 vcc_lo, s67, v21
	v_cndmask_b32_e32 v21, v38, v26, vcc_lo
	v_add_co_u32 v26, vcc_lo, v24, 1
	v_add_co_ci_u32_e64 v38, null, 0, v25, vcc_lo
	v_cmp_eq_u32_e32 vcc_lo, s67, v22
	v_xor_b32_e32 v22, s64, v23
	v_cndmask_b32_e32 v2, v39, v2, vcc_lo
	v_cmp_ne_u32_e32 vcc_lo, 0, v21
	v_cmp_ne_u32_e64 s0, 0, v2
	v_cndmask_b32_e32 v2, v26, v34, vcc_lo
	v_cndmask_b32_e32 v21, v38, v35, vcc_lo
                                        ; implicit-def: $vgpr38
                                        ; implicit-def: $vgpr34
	v_cndmask_b32_e64 v2, v24, v2, s0
	v_cndmask_b32_e64 v21, v25, v21, s0
	v_xor_b32_e32 v2, v2, v22
	v_xor_b32_e32 v23, v21, v22
	v_sub_co_u32 v21, vcc_lo, v2, v22
	v_sub_co_ci_u32_e64 v22, null, v23, v22, vcc_lo
.LBB7_53:                               ;   in Loop: Header=BB7_3 Depth=1
	s_andn2_saveexec_b32 s0, s1
	s_cbranch_execz .LBB7_55
; %bb.54:                               ;   in Loop: Header=BB7_3 Depth=1
	v_rcp_iflag_f32_e32 v2, v38
	s_sub_i32 s1, 0, s62
	v_mul_f32_e32 v2, 0x4f7ffffe, v2
	v_cvt_u32_f32_e32 v2, v2
	v_mul_lo_u32 v21, s1, v2
	v_mul_hi_u32 v21, v2, v21
	v_add_nc_u32_e32 v2, v2, v21
	v_mul_hi_u32 v2, v34, v2
	v_mul_lo_u32 v21, v2, s62
	v_add_nc_u32_e32 v22, 1, v2
	v_sub_nc_u32_e32 v21, v34, v21
	v_subrev_nc_u32_e32 v23, s62, v21
	v_cmp_le_u32_e32 vcc_lo, s62, v21
	v_cndmask_b32_e32 v21, v21, v23, vcc_lo
	v_cndmask_b32_e32 v2, v2, v22, vcc_lo
	v_cmp_le_u32_e32 vcc_lo, s62, v21
	v_add_nc_u32_e32 v22, 1, v2
	v_cndmask_b32_e32 v21, v2, v22, vcc_lo
	v_mov_b32_e32 v22, v1
.LBB7_55:                               ;   in Loop: Header=BB7_3 Depth=1
	s_or_b32 exec_lo, exec_lo, s0
	v_or_b32_e32 v2, s51, v4
                                        ; implicit-def: $vgpr23_vgpr24
	s_mov_b32 s0, exec_lo
	v_cmpx_ne_u64_e32 0, v[1:2]
	s_xor_b32 s1, exec_lo, s0
	s_cbranch_execz .LBB7_57
; %bb.56:                               ;   in Loop: Header=BB7_3 Depth=1
	s_ashr_i32 s64, s51, 31
	v_add_co_u32 v24, vcc_lo, v3, v27
	s_add_u32 s66, s50, s64
	s_mov_b32 s65, s64
	s_addc_u32 s67, s51, s64
	v_add_co_ci_u32_e64 v25, null, v4, v27, vcc_lo
	s_xor_b64 s[66:67], s[66:67], s[64:65]
	v_cvt_f32_u32_e32 v2, s66
	v_cvt_f32_u32_e32 v23, s67
	s_sub_u32 s81, 0, s66
	s_subb_u32 s82, 0, s67
	v_xor_b32_e32 v38, v25, v27
	v_fmac_f32_e32 v2, 0x4f800000, v23
	v_rcp_f32_e32 v2, v2
	v_mul_f32_e32 v2, 0x5f7ffffc, v2
	v_mul_f32_e32 v23, 0x2f800000, v2
	v_trunc_f32_e32 v23, v23
	v_fmac_f32_e32 v2, 0xcf800000, v23
	v_cvt_u32_f32_e32 v23, v23
	v_cvt_u32_f32_e32 v2, v2
	v_readfirstlane_b32 s0, v23
	v_readfirstlane_b32 s65, v2
	s_mul_i32 s83, s81, s0
	v_xor_b32_e32 v2, v24, v27
	s_mul_hi_u32 s85, s81, s65
	s_mul_i32 s84, s82, s65
	s_add_i32 s83, s85, s83
	s_mul_i32 s86, s81, s65
	s_add_i32 s83, s83, s84
	s_mul_hi_u32 s85, s65, s86
	s_mul_i32 s88, s65, s83
	s_mul_hi_u32 s87, s0, s86
	s_mul_i32 s84, s0, s86
	s_mul_hi_u32 s86, s65, s83
	s_add_u32 s85, s85, s88
	s_addc_u32 s86, 0, s86
	s_mul_hi_u32 s89, s0, s83
	s_add_u32 s84, s85, s84
	s_mul_i32 s83, s0, s83
	s_addc_u32 s84, s86, s87
	s_addc_u32 s85, s89, 0
	s_add_u32 s83, s84, s83
	s_addc_u32 s84, 0, s85
	s_add_u32 s65, s65, s83
	s_cselect_b32 s83, -1, 0
	s_mul_hi_u32 s85, s81, s65
	s_cmp_lg_u32 s83, 0
	s_mul_i32 s83, s81, s65
	s_addc_u32 s0, s0, s84
	s_mul_i32 s82, s82, s65
	s_mul_i32 s81, s81, s0
	s_mul_hi_u32 s84, s65, s83
	s_add_i32 s81, s85, s81
	s_mul_hi_u32 s85, s0, s83
	s_add_i32 s81, s81, s82
	s_mul_i32 s82, s0, s83
	s_mul_i32 s87, s65, s81
	s_mul_hi_u32 s86, s65, s81
	s_add_u32 s84, s84, s87
	s_addc_u32 s86, 0, s86
	s_mul_hi_u32 s83, s0, s81
	s_add_u32 s82, s84, s82
	s_mul_i32 s81, s0, s81
	s_addc_u32 s82, s86, s85
	s_addc_u32 s83, s83, 0
	s_add_u32 s81, s82, s81
	s_addc_u32 s82, 0, s83
	s_add_u32 s65, s65, s81
	s_cselect_b32 s81, -1, 0
	v_mul_hi_u32 v39, v2, s65
	s_cmp_lg_u32 s81, 0
	v_mad_u64_u32 v[25:26], null, v38, s65, 0
	s_addc_u32 s0, s0, s82
	v_mad_u64_u32 v[23:24], null, v2, s0, 0
	v_mad_u64_u32 v[34:35], null, v38, s0, 0
	v_add_co_u32 v23, vcc_lo, v39, v23
	v_add_co_ci_u32_e64 v24, null, 0, v24, vcc_lo
	v_add_co_u32 v23, vcc_lo, v23, v25
	v_add_co_ci_u32_e32 v23, vcc_lo, v24, v26, vcc_lo
	v_add_co_ci_u32_e32 v24, vcc_lo, 0, v35, vcc_lo
	v_add_co_u32 v25, vcc_lo, v23, v34
	v_add_co_ci_u32_e64 v26, null, 0, v24, vcc_lo
	v_mul_lo_u32 v34, s67, v25
	v_mad_u64_u32 v[23:24], null, s66, v25, 0
	v_mul_lo_u32 v35, s66, v26
	v_sub_co_u32 v2, vcc_lo, v2, v23
	v_add3_u32 v24, v24, v35, v34
	v_sub_nc_u32_e32 v34, v38, v24
	v_sub_co_ci_u32_e64 v24, null, v38, v24, vcc_lo
	v_subrev_co_ci_u32_e64 v23, null, s67, v34, vcc_lo
	v_add_co_u32 v34, s0, v25, 2
	v_add_co_ci_u32_e64 v35, null, 0, v26, s0
	v_sub_co_u32 v39, s0, v2, s66
	v_subrev_co_ci_u32_e64 v23, null, 0, v23, s0
	v_cmp_le_u32_e32 vcc_lo, s66, v39
	v_cndmask_b32_e64 v38, 0, -1, vcc_lo
	v_cmp_le_u32_e32 vcc_lo, s67, v23
	v_cndmask_b32_e64 v39, 0, -1, vcc_lo
	;; [unrolled: 2-line block ×4, first 2 shown]
	v_cmp_eq_u32_e32 vcc_lo, s67, v23
	v_cndmask_b32_e32 v23, v39, v38, vcc_lo
	v_add_co_u32 v38, vcc_lo, v25, 1
	v_add_co_ci_u32_e64 v39, null, 0, v26, vcc_lo
	v_cmp_eq_u32_e32 vcc_lo, s67, v24
	v_xor_b32_e32 v24, s64, v27
	v_cndmask_b32_e32 v2, v40, v2, vcc_lo
	v_cmp_ne_u32_e32 vcc_lo, 0, v23
	v_cmp_ne_u32_e64 s0, 0, v2
	v_cndmask_b32_e32 v2, v38, v34, vcc_lo
	v_cndmask_b32_e32 v23, v39, v35, vcc_lo
	v_cndmask_b32_e64 v2, v25, v2, s0
	v_cndmask_b32_e64 v23, v26, v23, s0
	v_xor_b32_e32 v2, v2, v24
	v_xor_b32_e32 v25, v23, v24
	v_sub_co_u32 v23, vcc_lo, v2, v24
	v_sub_co_ci_u32_e64 v24, null, v25, v24, vcc_lo
.LBB7_57:                               ;   in Loop: Header=BB7_3 Depth=1
	s_andn2_saveexec_b32 s0, s1
	s_cbranch_execz .LBB7_59
; %bb.58:                               ;   in Loop: Header=BB7_3 Depth=1
	v_cvt_f32_u32_e32 v2, s50
	s_sub_i32 s1, 0, s50
	v_rcp_iflag_f32_e32 v2, v2
	v_mul_f32_e32 v2, 0x4f7ffffe, v2
	v_cvt_u32_f32_e32 v2, v2
	v_mul_lo_u32 v23, s1, v2
	v_mul_hi_u32 v23, v2, v23
	v_add_nc_u32_e32 v2, v2, v23
	v_mul_hi_u32 v2, v3, v2
	v_mul_lo_u32 v23, v2, s50
	v_add_nc_u32_e32 v24, 1, v2
	v_sub_nc_u32_e32 v23, v3, v23
	v_subrev_nc_u32_e32 v25, s50, v23
	v_cmp_le_u32_e32 vcc_lo, s50, v23
	v_cndmask_b32_e32 v23, v23, v25, vcc_lo
	v_cndmask_b32_e32 v2, v2, v24, vcc_lo
	v_cmp_le_u32_e32 vcc_lo, s50, v23
	v_add_nc_u32_e32 v24, 1, v2
	v_cndmask_b32_e32 v23, v2, v24, vcc_lo
	v_mov_b32_e32 v24, v1
.LBB7_59:                               ;   in Loop: Header=BB7_3 Depth=1
	s_or_b32 exec_lo, exec_lo, s0
	v_mad_u64_u32 v[25:26], null, s74, v23, v[3:4]
	v_mul_lo_u32 v2, s74, v24
	v_mul_lo_u32 v34, s75, v23
	;; [unrolled: 1-line block ×4, first 2 shown]
	v_mad_u64_u32 v[23:24], null, v23, s20, 0
	s_mov_b32 s0, exec_lo
	v_add3_u32 v2, v34, v26, v2
	v_mul_lo_u32 v34, v25, s23
	v_mad_u64_u32 v[25:26], null, v25, s22, 0
	v_add3_u32 v24, v24, v38, v35
	v_mul_lo_u32 v2, v2, s22
	v_lshlrev_b64 v[23:24], 2, v[23:24]
	v_add3_u32 v26, v26, v34, v2
	v_add_co_u32 v2, vcc_lo, s48, v23
	v_add_co_ci_u32_e64 v24, null, s49, v24, vcc_lo
	v_lshlrev_b64 v[25:26], 2, v[25:26]
	v_add_co_u32 v23, vcc_lo, v2, v25
	v_add_co_ci_u32_e64 v24, null, v24, v26, vcc_lo
	v_or_b32_e32 v2, s55, v4
	global_load_dword v34, v[23:24], off
                                        ; implicit-def: $vgpr23_vgpr24
	v_cmpx_ne_u64_e32 0, v[1:2]
	s_xor_b32 s1, exec_lo, s0
	s_cbranch_execz .LBB7_61
; %bb.60:                               ;   in Loop: Header=BB7_3 Depth=1
	s_ashr_i32 s64, s55, 31
	v_add_co_u32 v24, vcc_lo, v3, v27
	s_add_u32 s66, s54, s64
	s_mov_b32 s65, s64
	s_addc_u32 s67, s55, s64
	v_add_co_ci_u32_e64 v25, null, v4, v27, vcc_lo
	s_xor_b64 s[66:67], s[66:67], s[64:65]
	v_cvt_f32_u32_e32 v2, s66
	v_cvt_f32_u32_e32 v23, s67
	s_sub_u32 s81, 0, s66
	s_subb_u32 s82, 0, s67
	v_xor_b32_e32 v35, v25, v27
	v_fmac_f32_e32 v2, 0x4f800000, v23
	v_rcp_f32_e32 v2, v2
	v_mul_f32_e32 v2, 0x5f7ffffc, v2
	v_mul_f32_e32 v23, 0x2f800000, v2
	v_trunc_f32_e32 v23, v23
	v_fmac_f32_e32 v2, 0xcf800000, v23
	v_cvt_u32_f32_e32 v23, v23
	v_cvt_u32_f32_e32 v2, v2
	v_readfirstlane_b32 s0, v23
	v_readfirstlane_b32 s65, v2
	s_mul_i32 s83, s81, s0
	v_xor_b32_e32 v2, v24, v27
	s_mul_hi_u32 s85, s81, s65
	s_mul_i32 s84, s82, s65
	s_add_i32 s83, s85, s83
	s_mul_i32 s86, s81, s65
	s_add_i32 s83, s83, s84
	s_mul_hi_u32 s85, s65, s86
	s_mul_i32 s88, s65, s83
	s_mul_hi_u32 s87, s0, s86
	s_mul_i32 s84, s0, s86
	s_mul_hi_u32 s86, s65, s83
	s_add_u32 s85, s85, s88
	s_addc_u32 s86, 0, s86
	s_mul_hi_u32 s89, s0, s83
	s_add_u32 s84, s85, s84
	s_mul_i32 s83, s0, s83
	s_addc_u32 s84, s86, s87
	s_addc_u32 s85, s89, 0
	s_add_u32 s83, s84, s83
	s_addc_u32 s84, 0, s85
	s_add_u32 s65, s65, s83
	s_cselect_b32 s83, -1, 0
	s_mul_hi_u32 s85, s81, s65
	s_cmp_lg_u32 s83, 0
	s_mul_i32 s83, s81, s65
	s_addc_u32 s0, s0, s84
	s_mul_i32 s82, s82, s65
	s_mul_i32 s81, s81, s0
	s_mul_hi_u32 s84, s65, s83
	s_add_i32 s81, s85, s81
	s_mul_hi_u32 s85, s0, s83
	s_add_i32 s81, s81, s82
	s_mul_i32 s82, s0, s83
	s_mul_i32 s87, s65, s81
	s_mul_hi_u32 s86, s65, s81
	s_add_u32 s84, s84, s87
	s_addc_u32 s86, 0, s86
	s_mul_hi_u32 s83, s0, s81
	s_add_u32 s82, s84, s82
	s_mul_i32 s81, s0, s81
	s_addc_u32 s82, s86, s85
	s_addc_u32 s83, s83, 0
	s_add_u32 s81, s82, s81
	s_addc_u32 s82, 0, s83
	s_add_u32 s65, s65, s81
	s_cselect_b32 s81, -1, 0
	v_mul_hi_u32 v40, v2, s65
	s_cmp_lg_u32 s81, 0
	v_mad_u64_u32 v[25:26], null, v35, s65, 0
	s_addc_u32 s0, s0, s82
	v_mad_u64_u32 v[23:24], null, v2, s0, 0
	v_mad_u64_u32 v[38:39], null, v35, s0, 0
	v_add_co_u32 v23, vcc_lo, v40, v23
	v_add_co_ci_u32_e64 v24, null, 0, v24, vcc_lo
	v_add_co_u32 v23, vcc_lo, v23, v25
	v_add_co_ci_u32_e32 v23, vcc_lo, v24, v26, vcc_lo
	v_add_co_ci_u32_e32 v24, vcc_lo, 0, v39, vcc_lo
	v_add_co_u32 v25, vcc_lo, v23, v38
	v_add_co_ci_u32_e64 v26, null, 0, v24, vcc_lo
	v_mul_lo_u32 v38, s67, v25
	v_mad_u64_u32 v[23:24], null, s66, v25, 0
	v_mul_lo_u32 v39, s66, v26
	v_sub_co_u32 v2, vcc_lo, v2, v23
	v_add3_u32 v24, v24, v39, v38
	v_sub_nc_u32_e32 v38, v35, v24
	v_sub_co_ci_u32_e64 v24, null, v35, v24, vcc_lo
	v_subrev_co_ci_u32_e64 v23, null, s67, v38, vcc_lo
	v_add_co_u32 v38, s0, v25, 2
	v_add_co_ci_u32_e64 v39, null, 0, v26, s0
	v_sub_co_u32 v40, s0, v2, s66
	v_subrev_co_ci_u32_e64 v23, null, 0, v23, s0
	v_cmp_le_u32_e32 vcc_lo, s66, v40
	v_cndmask_b32_e64 v35, 0, -1, vcc_lo
	v_cmp_le_u32_e32 vcc_lo, s67, v23
	v_cndmask_b32_e64 v40, 0, -1, vcc_lo
	;; [unrolled: 2-line block ×4, first 2 shown]
	v_cmp_eq_u32_e32 vcc_lo, s67, v23
	v_cndmask_b32_e32 v23, v40, v35, vcc_lo
	v_add_co_u32 v35, vcc_lo, v25, 1
	v_add_co_ci_u32_e64 v40, null, 0, v26, vcc_lo
	v_cmp_eq_u32_e32 vcc_lo, s67, v24
	v_xor_b32_e32 v24, s64, v27
	v_cndmask_b32_e32 v2, v41, v2, vcc_lo
	v_cmp_ne_u32_e32 vcc_lo, 0, v23
	v_cmp_ne_u32_e64 s0, 0, v2
	v_cndmask_b32_e32 v2, v35, v38, vcc_lo
	v_cndmask_b32_e32 v23, v40, v39, vcc_lo
	v_cndmask_b32_e64 v2, v25, v2, s0
	v_cndmask_b32_e64 v23, v26, v23, s0
	v_xor_b32_e32 v2, v2, v24
	v_xor_b32_e32 v25, v23, v24
	v_sub_co_u32 v23, vcc_lo, v2, v24
	v_sub_co_ci_u32_e64 v24, null, v25, v24, vcc_lo
.LBB7_61:                               ;   in Loop: Header=BB7_3 Depth=1
	s_andn2_saveexec_b32 s0, s1
	s_cbranch_execz .LBB7_63
; %bb.62:                               ;   in Loop: Header=BB7_3 Depth=1
	v_cvt_f32_u32_e32 v2, s54
	s_sub_i32 s1, 0, s54
	v_rcp_iflag_f32_e32 v2, v2
	v_mul_f32_e32 v2, 0x4f7ffffe, v2
	v_cvt_u32_f32_e32 v2, v2
	v_mul_lo_u32 v23, s1, v2
	v_mul_hi_u32 v23, v2, v23
	v_add_nc_u32_e32 v2, v2, v23
	v_mul_hi_u32 v2, v3, v2
	v_mul_lo_u32 v23, v2, s54
	v_add_nc_u32_e32 v24, 1, v2
	v_sub_nc_u32_e32 v23, v3, v23
	v_subrev_nc_u32_e32 v25, s54, v23
	v_cmp_le_u32_e32 vcc_lo, s54, v23
	v_cndmask_b32_e32 v23, v23, v25, vcc_lo
	v_cndmask_b32_e32 v2, v2, v24, vcc_lo
	v_cmp_le_u32_e32 vcc_lo, s54, v23
	v_add_nc_u32_e32 v24, 1, v2
	v_cndmask_b32_e32 v23, v2, v24, vcc_lo
	v_mov_b32_e32 v24, v1
.LBB7_63:                               ;   in Loop: Header=BB7_3 Depth=1
	s_or_b32 exec_lo, exec_lo, s0
	v_or_b32_e32 v2, s59, v4
                                        ; implicit-def: $vgpr25_vgpr26
	s_mov_b32 s0, exec_lo
	v_cmpx_ne_u64_e32 0, v[1:2]
	s_xor_b32 s1, exec_lo, s0
	s_cbranch_execnz .LBB7_67
; %bb.64:                               ;   in Loop: Header=BB7_3 Depth=1
	s_andn2_saveexec_b32 s0, s1
	s_cbranch_execnz .LBB7_68
.LBB7_65:                               ;   in Loop: Header=BB7_3 Depth=1
	s_or_b32 exec_lo, exec_lo, s0
	s_andn2_b32 vcc_lo, exec_lo, s33
	s_cbranch_vccnz .LBB7_69
.LBB7_66:                               ;   in Loop: Header=BB7_3 Depth=1
	v_sub_co_u32 v2, vcc_lo, 1, v9
	v_sub_co_ci_u32_e64 v27, null, 0, v10, vcc_lo
	v_mad_u64_u32 v[38:39], null, s72, v9, v[3:4]
	v_mul_lo_u32 v35, s72, v10
	v_mul_lo_u32 v42, s73, v9
	;; [unrolled: 1-line block ×4, first 2 shown]
	v_mad_u64_u32 v[40:41], null, s8, v2, v[3:4]
	v_add3_u32 v2, v42, v39, v35
	v_sub_co_u32 v39, vcc_lo, 2, v9
	v_add3_u32 v27, v43, v41, v27
	v_sub_co_ci_u32_e64 v43, null, 0, v10, vcc_lo
	v_mul_lo_u32 v46, s9, v39
	v_mul_lo_u32 v35, v38, s43
	;; [unrolled: 1-line block ×4, first 2 shown]
	v_mad_u64_u32 v[43:44], null, s8, v39, v[3:4]
	v_sub_co_u32 v39, vcc_lo, 3, v9
	v_sub_co_ci_u32_e64 v47, null, 0, v10, vcc_lo
	v_mad_u64_u32 v[41:42], null, v38, s42, 0
	v_add3_u32 v51, v46, v44, v45
	v_mul_lo_u32 v52, s8, v47
	v_mul_lo_u32 v53, s9, v39
	v_mad_u64_u32 v[44:45], null, s8, v39, v[3:4]
	v_mul_lo_u32 v49, v27, s42
	v_mul_lo_u32 v50, v40, s43
	v_mad_u64_u32 v[9:10], null, v40, s42, 0
	;; [unrolled: 3-line block ×3, first 2 shown]
	v_add3_u32 v42, v42, v35, v48
	v_add3_u32 v35, v53, v45, v52
	;; [unrolled: 1-line block ×3, first 2 shown]
	v_mul_lo_u32 v50, v44, s43
	v_mad_u64_u32 v[48:49], null, v44, s42, 0
	v_add3_u32 v47, v47, v54, v39
	v_mul_lo_u32 v39, v35, s42
	v_mul_lo_u32 v52, v38, s47
	;; [unrolled: 1-line block ×4, first 2 shown]
	v_lshlrev_b64 v[45:46], 2, v[46:47]
	v_mul_lo_u32 v53, v40, s47
	v_lshlrev_b64 v[41:42], 2, v[41:42]
	v_lshlrev_b64 v[9:10], 2, v[9:10]
	v_add3_u32 v49, v49, v50, v39
	v_mad_u64_u32 v[38:39], null, v38, s46, 0
	v_add_co_u32 v41, vcc_lo, s38, v41
	v_lshlrev_b64 v[47:48], 2, v[48:49]
	v_mad_u64_u32 v[49:50], null, v40, s46, 0
	v_add3_u32 v39, v39, v52, v2
	v_mul_lo_u32 v2, v51, s46
	v_mul_lo_u32 v40, v43, s47
	v_mad_u64_u32 v[51:52], null, v43, s46, 0
	v_add_co_ci_u32_e64 v42, null, s39, v42, vcc_lo
	v_add3_u32 v50, v50, v53, v27
	v_mul_lo_u32 v27, v35, s46
	v_mul_lo_u32 v35, v44, s47
	v_mad_u64_u32 v[43:44], null, v44, s46, 0
	v_add_co_u32 v9, vcc_lo, s38, v9
	v_lshlrev_b64 v[38:39], 2, v[38:39]
	v_add_co_ci_u32_e64 v10, null, s39, v10, vcc_lo
	v_add_co_u32 v45, vcc_lo, s38, v45
	v_add3_u32 v52, v52, v40, v2
	v_add_co_ci_u32_e64 v46, null, s39, v46, vcc_lo
	v_add_co_u32 v47, vcc_lo, s38, v47
	v_add3_u32 v44, v44, v35, v27
	v_add_co_ci_u32_e64 v48, null, s39, v48, vcc_lo
	v_lshlrev_b64 v[49:50], 2, v[49:50]
	v_add_co_u32 v53, vcc_lo, s44, v38
	v_add_co_ci_u32_e64 v54, null, s45, v39, vcc_lo
	v_lshlrev_b64 v[38:39], 2, v[51:52]
	v_lshlrev_b64 v[43:44], 2, v[43:44]
	v_add_co_u32 v49, vcc_lo, s44, v49
	v_add_co_ci_u32_e64 v50, null, s45, v50, vcc_lo
	v_add_co_u32 v51, vcc_lo, s44, v38
	v_add_co_ci_u32_e64 v52, null, s45, v39, vcc_lo
	;; [unrolled: 2-line block ×3, first 2 shown]
	s_clause 0x3
	global_load_dword v40, v[41:42], off
	global_load_dword v39, v[9:10], off
	;; [unrolled: 1-line block ×4, first 2 shown]
	s_clause 0x3
	global_load_dword v10, v[53:54], off
	global_load_dword v9, v[49:50], off
	global_load_dword v2, v[51:52], off
	global_load_dword v38, v[43:44], off
	s_branch .LBB7_70
.LBB7_67:                               ;   in Loop: Header=BB7_3 Depth=1
	s_ashr_i32 s64, s59, 31
	v_add_co_u32 v26, vcc_lo, v3, v27
	s_add_u32 s66, s58, s64
	s_mov_b32 s65, s64
	s_addc_u32 s67, s59, s64
	v_add_co_ci_u32_e64 v35, null, v4, v27, vcc_lo
	s_xor_b64 s[66:67], s[66:67], s[64:65]
	v_cvt_f32_u32_e32 v2, s66
	v_cvt_f32_u32_e32 v25, s67
	s_sub_u32 s81, 0, s66
	s_subb_u32 s82, 0, s67
	v_xor_b32_e32 v35, v35, v27
	v_fmac_f32_e32 v2, 0x4f800000, v25
	v_rcp_f32_e32 v2, v2
	v_mul_f32_e32 v2, 0x5f7ffffc, v2
	v_mul_f32_e32 v25, 0x2f800000, v2
	v_trunc_f32_e32 v25, v25
	v_fmac_f32_e32 v2, 0xcf800000, v25
	v_cvt_u32_f32_e32 v25, v25
	v_cvt_u32_f32_e32 v2, v2
	v_readfirstlane_b32 s0, v25
	v_readfirstlane_b32 s65, v2
	s_mul_i32 s83, s81, s0
	v_xor_b32_e32 v2, v26, v27
	s_mul_hi_u32 s85, s81, s65
	s_mul_i32 s84, s82, s65
	s_add_i32 s83, s85, s83
	s_mul_i32 s86, s81, s65
	s_add_i32 s83, s83, s84
	s_mul_hi_u32 s85, s65, s86
	s_mul_i32 s88, s65, s83
	s_mul_hi_u32 s87, s0, s86
	s_mul_i32 s84, s0, s86
	s_mul_hi_u32 s86, s65, s83
	s_add_u32 s85, s85, s88
	s_addc_u32 s86, 0, s86
	s_mul_hi_u32 s89, s0, s83
	s_add_u32 s84, s85, s84
	s_mul_i32 s83, s0, s83
	s_addc_u32 s84, s86, s87
	s_addc_u32 s85, s89, 0
	s_add_u32 s83, s84, s83
	s_addc_u32 s84, 0, s85
	s_add_u32 s65, s65, s83
	s_cselect_b32 s83, -1, 0
	s_mul_hi_u32 s85, s81, s65
	s_cmp_lg_u32 s83, 0
	s_mul_i32 s83, s81, s65
	s_addc_u32 s0, s0, s84
	s_mul_i32 s82, s82, s65
	s_mul_i32 s81, s81, s0
	s_mul_hi_u32 s84, s65, s83
	s_add_i32 s81, s85, s81
	s_mul_hi_u32 s85, s0, s83
	s_add_i32 s81, s81, s82
	s_mul_i32 s82, s0, s83
	s_mul_i32 s87, s65, s81
	s_mul_hi_u32 s86, s65, s81
	s_add_u32 s84, s84, s87
	s_addc_u32 s86, 0, s86
	s_mul_hi_u32 s83, s0, s81
	s_add_u32 s82, s84, s82
	s_mul_i32 s81, s0, s81
	s_addc_u32 s82, s86, s85
	s_addc_u32 s83, s83, 0
	s_add_u32 s81, s82, s81
	s_addc_u32 s82, 0, s83
	s_add_u32 s65, s65, s81
	s_cselect_b32 s81, -1, 0
	v_mul_hi_u32 v42, v2, s65
	s_cmp_lg_u32 s81, 0
	v_mad_u64_u32 v[38:39], null, v35, s65, 0
	s_addc_u32 s0, s0, s82
	v_mad_u64_u32 v[25:26], null, v2, s0, 0
	v_mad_u64_u32 v[40:41], null, v35, s0, 0
	v_add_co_u32 v25, vcc_lo, v42, v25
	v_add_co_ci_u32_e64 v26, null, 0, v26, vcc_lo
	v_add_co_u32 v25, vcc_lo, v25, v38
	v_add_co_ci_u32_e32 v25, vcc_lo, v26, v39, vcc_lo
	v_add_co_ci_u32_e32 v26, vcc_lo, 0, v41, vcc_lo
	v_add_co_u32 v38, vcc_lo, v25, v40
	v_add_co_ci_u32_e64 v39, null, 0, v26, vcc_lo
	v_mul_lo_u32 v40, s67, v38
	v_mad_u64_u32 v[25:26], null, s66, v38, 0
	v_mul_lo_u32 v41, s66, v39
	v_sub_co_u32 v2, vcc_lo, v2, v25
	v_add3_u32 v26, v26, v41, v40
	v_sub_nc_u32_e32 v40, v35, v26
	v_sub_co_ci_u32_e64 v26, null, v35, v26, vcc_lo
	v_subrev_co_ci_u32_e64 v25, null, s67, v40, vcc_lo
	v_add_co_u32 v40, s0, v38, 2
	v_add_co_ci_u32_e64 v41, null, 0, v39, s0
	v_sub_co_u32 v42, s0, v2, s66
	v_subrev_co_ci_u32_e64 v25, null, 0, v25, s0
	v_cmp_le_u32_e32 vcc_lo, s66, v42
	v_cndmask_b32_e64 v35, 0, -1, vcc_lo
	v_cmp_le_u32_e32 vcc_lo, s67, v25
	v_cndmask_b32_e64 v42, 0, -1, vcc_lo
	;; [unrolled: 2-line block ×4, first 2 shown]
	v_cmp_eq_u32_e32 vcc_lo, s67, v25
	v_cndmask_b32_e32 v25, v42, v35, vcc_lo
	v_add_co_u32 v35, vcc_lo, v38, 1
	v_add_co_ci_u32_e64 v42, null, 0, v39, vcc_lo
	v_cmp_eq_u32_e32 vcc_lo, s67, v26
	v_xor_b32_e32 v26, s64, v27
	v_cndmask_b32_e32 v2, v43, v2, vcc_lo
	v_cmp_ne_u32_e32 vcc_lo, 0, v25
	v_cmp_ne_u32_e64 s0, 0, v2
	v_cndmask_b32_e32 v2, v35, v40, vcc_lo
	v_cndmask_b32_e32 v25, v42, v41, vcc_lo
	v_cndmask_b32_e64 v2, v38, v2, s0
	v_cndmask_b32_e64 v25, v39, v25, s0
	v_xor_b32_e32 v2, v2, v26
	v_xor_b32_e32 v27, v25, v26
	v_sub_co_u32 v25, vcc_lo, v2, v26
	v_sub_co_ci_u32_e64 v26, null, v27, v26, vcc_lo
	s_andn2_saveexec_b32 s0, s1
	s_cbranch_execz .LBB7_65
.LBB7_68:                               ;   in Loop: Header=BB7_3 Depth=1
	v_cvt_f32_u32_e32 v2, s58
	s_sub_i32 s1, 0, s58
	v_rcp_iflag_f32_e32 v2, v2
	v_mul_f32_e32 v2, 0x4f7ffffe, v2
	v_cvt_u32_f32_e32 v2, v2
	v_mul_lo_u32 v25, s1, v2
	v_mul_hi_u32 v25, v2, v25
	v_add_nc_u32_e32 v2, v2, v25
	v_mul_hi_u32 v2, v3, v2
	v_mul_lo_u32 v25, v2, s58
	v_add_nc_u32_e32 v26, 1, v2
	v_sub_nc_u32_e32 v25, v3, v25
	v_subrev_nc_u32_e32 v27, s58, v25
	v_cmp_le_u32_e32 vcc_lo, s58, v25
	v_cndmask_b32_e32 v25, v25, v27, vcc_lo
	v_cndmask_b32_e32 v2, v2, v26, vcc_lo
	v_cmp_le_u32_e32 vcc_lo, s58, v25
	v_add_nc_u32_e32 v26, 1, v2
	v_cndmask_b32_e32 v25, v2, v26, vcc_lo
	v_mov_b32_e32 v26, v1
	s_or_b32 exec_lo, exec_lo, s0
	s_andn2_b32 vcc_lo, exec_lo, s33
	s_cbranch_vccz .LBB7_66
.LBB7_69:                               ;   in Loop: Header=BB7_3 Depth=1
	v_mov_b32_e32 v9, 0
	v_mov_b32_e32 v2, 0
	;; [unrolled: 1-line block ×8, first 2 shown]
.LBB7_70:                               ;   in Loop: Header=BB7_3 Depth=1
	s_waitcnt vmcnt(2)
	v_add_f32_e32 v30, v30, v36
	v_add_f32_e32 v27, v30, v27
	s_waitcnt vmcnt(1)
	v_add_f32_e32 v2, v2, v27
                                        ; implicit-def: $vgpr27
	v_cmp_ngt_f32_e64 s0, 0x3f200000, |v2|
	s_and_saveexec_b32 s1, s0
	s_xor_b32 s0, exec_lo, s1
	s_cbranch_execz .LBB7_72
; %bb.71:                               ;   in Loop: Header=BB7_3 Depth=1
	v_add_f32_e64 v27, |v2|, |v2|
	v_mul_f32_e32 v30, 0x3fb8aa3b, v27
	v_cmp_ngt_f32_e32 vcc_lo, 0xc2ce8ed0, v27
	v_rndne_f32_e32 v36, v30
	v_fma_f32 v41, 0x3fb8aa3b, v27, -v30
	v_sub_f32_e32 v30, v30, v36
	v_fmac_f32_e32 v41, 0x32a5705f, v27
	v_cvt_i32_f32_e32 v36, v36
	v_add_f32_e32 v30, v30, v41
	v_exp_f32_e32 v30, v30
	v_ldexp_f32 v30, v30, v36
	v_cndmask_b32_e32 v30, 0, v30, vcc_lo
	v_cmp_nlt_f32_e32 vcc_lo, 0x42b17218, v27
	v_cndmask_b32_e32 v27, 0x7f800000, v30, vcc_lo
	v_add_f32_e32 v27, 1.0, v27
	v_rcp_f32_e32 v27, v27
	v_fma_f32 v27, v27, -2.0, 1.0
.LBB7_72:                               ;   in Loop: Header=BB7_3 Depth=1
	s_andn2_saveexec_b32 s0, s0
	s_cbranch_execz .LBB7_74
; %bb.73:                               ;   in Loop: Header=BB7_3 Depth=1
	v_mul_f32_e32 v27, v2, v2
	v_fmaak_f32 v30, s80, v27, 0x3ca908c9
	v_fmaak_f32 v30, v27, v30, 0xbd5c1c4e
	;; [unrolled: 1-line block ×4, first 2 shown]
	v_mul_f32_e64 v30, |v2|, v30
	v_fma_f32 v27, v27, v30, |v2|
.LBB7_74:                               ;   in Loop: Header=BB7_3 Depth=1
	s_or_b32 exec_lo, exec_lo, s0
	v_add_f32_e32 v28, v28, v32
	v_add_f32_e32 v29, v29, v33
	v_bfi_b32 v2, 0x7fffffff, v27, v2
	v_add_f32_e32 v28, v28, v40
	v_add_f32_e32 v29, v29, v39
	;; [unrolled: 1-line block ×4, first 2 shown]
	v_mul_f32_e32 v28, 0xbfb8aa3b, v10
	v_mul_f32_e32 v29, 0xbfb8aa3b, v9
	v_cmp_nlt_f32_e32 vcc_lo, 0x42ce8ed0, v10
	v_fma_f32 v30, 0xbfb8aa3b, v10, -v28
	v_rndne_f32_e32 v32, v28
	v_fma_f32 v33, 0xbfb8aa3b, v9, -v29
	v_rndne_f32_e32 v36, v29
	v_fmac_f32_e32 v30, 0xb2a5705f, v10
	v_sub_f32_e32 v28, v28, v32
	v_fmac_f32_e32 v33, 0xb2a5705f, v9
	v_sub_f32_e32 v29, v29, v36
	v_add_f32_e32 v28, v28, v30
	v_cvt_i32_f32_e32 v30, v32
	v_add_f32_e32 v29, v29, v33
	v_cvt_i32_f32_e32 v32, v36
	v_exp_f32_e32 v28, v28
	v_exp_f32_e32 v29, v29
	v_ldexp_f32 v28, v28, v30
	v_ldexp_f32 v29, v29, v32
	v_cndmask_b32_e32 v28, 0, v28, vcc_lo
	v_cmp_nlt_f32_e32 vcc_lo, 0x42ce8ed0, v9
	v_cndmask_b32_e32 v29, 0, v29, vcc_lo
	v_cmp_ngt_f32_e32 vcc_lo, 0xc2b17218, v10
	v_cndmask_b32_e32 v10, 0x7f800000, v28, vcc_lo
	v_cmp_ngt_f32_e32 vcc_lo, 0xc2b17218, v9
	v_add_f32_e32 v10, 1.0, v10
	v_cndmask_b32_e32 v9, 0x7f800000, v29, vcc_lo
	v_div_scale_f32 v39, vcc_lo, 1.0, v10, 1.0
	v_add_f32_e32 v28, 1.0, v9
	v_div_scale_f32 v9, null, v10, v10, 1.0
	v_div_scale_f32 v29, null, v28, v28, 1.0
	v_rcp_f32_e32 v30, v9
	v_rcp_f32_e32 v32, v29
	v_fma_f32 v33, -v9, v30, 1.0
	v_fma_f32 v36, -v29, v32, 1.0
	v_fmac_f32_e32 v30, v33, v30
	v_div_scale_f32 v33, s0, 1.0, v28, 1.0
	v_fmac_f32_e32 v32, v36, v32
	v_mul_f32_e32 v36, v39, v30
	v_mul_f32_e32 v40, v33, v32
	v_fma_f32 v41, -v9, v36, v39
	v_fma_f32 v42, -v29, v40, v33
	v_fmac_f32_e32 v36, v41, v30
	v_fmac_f32_e32 v40, v42, v32
	v_fma_f32 v9, -v9, v36, v39
	v_fma_f32 v29, -v29, v40, v33
	v_div_fmas_f32 v9, v9, v30, v36
	s_mov_b32 vcc_lo, s0
	v_div_fmas_f32 v29, v29, v32, v40
	v_div_fixup_f32 v9, v9, v10, 1.0
	v_div_fixup_f32 v10, v29, v28, 1.0
                                        ; implicit-def: $vgpr28
	v_mul_f32_e32 v27, v9, v2
	s_waitcnt vmcnt(0)
	v_fmac_f32_e32 v27, v34, v10
	v_cmp_ngt_f32_e64 s0, 0x3f200000, |v27|
	s_and_saveexec_b32 s1, s0
	s_xor_b32 s0, exec_lo, s1
	s_cbranch_execz .LBB7_76
; %bb.75:                               ;   in Loop: Header=BB7_3 Depth=1
	v_add_f32_e64 v28, |v27|, |v27|
	v_mul_f32_e32 v29, 0x3fb8aa3b, v28
	v_cmp_ngt_f32_e32 vcc_lo, 0xc2ce8ed0, v28
	v_rndne_f32_e32 v30, v29
	v_fma_f32 v32, 0x3fb8aa3b, v28, -v29
	v_sub_f32_e32 v29, v29, v30
	v_fmac_f32_e32 v32, 0x32a5705f, v28
	v_cvt_i32_f32_e32 v30, v30
	v_add_f32_e32 v29, v29, v32
	v_exp_f32_e32 v29, v29
	v_ldexp_f32 v29, v29, v30
	v_cndmask_b32_e32 v29, 0, v29, vcc_lo
	v_cmp_nlt_f32_e32 vcc_lo, 0x42b17218, v28
	v_cndmask_b32_e32 v28, 0x7f800000, v29, vcc_lo
	v_add_f32_e32 v28, 1.0, v28
	v_rcp_f32_e32 v28, v28
	v_fma_f32 v28, v28, -2.0, 1.0
.LBB7_76:                               ;   in Loop: Header=BB7_3 Depth=1
	s_andn2_saveexec_b32 s0, s0
	s_cbranch_execz .LBB7_2
; %bb.77:                               ;   in Loop: Header=BB7_3 Depth=1
	v_mul_f32_e32 v28, v27, v27
	v_fmaak_f32 v29, s80, v28, 0x3ca908c9
	v_fmaak_f32 v29, v28, v29, 0xbd5c1c4e
	;; [unrolled: 1-line block ×4, first 2 shown]
	v_mul_f32_e64 v29, |v27|, v29
	v_fma_f32 v28, v28, v29, |v27|
	s_branch .LBB7_2
.LBB7_78:
	s_endpgm
	.section	.rodata,"a",@progbits
	.p2align	6, 0x0
	.amdhsa_kernel _ZN2at6native12_GLOBAL__N_16kernel17lstm_cell_forwardIfflLi2EEEvNS_4cuda6detail10TensorInfoIT_T1_EES9_S9_S9_S9_S9_S9_S9_S8_S8_
		.amdhsa_group_segment_fixed_size 0
		.amdhsa_private_segment_fixed_size 0
		.amdhsa_kernarg_size 3600
		.amdhsa_user_sgpr_count 6
		.amdhsa_user_sgpr_private_segment_buffer 1
		.amdhsa_user_sgpr_dispatch_ptr 0
		.amdhsa_user_sgpr_queue_ptr 0
		.amdhsa_user_sgpr_kernarg_segment_ptr 1
		.amdhsa_user_sgpr_dispatch_id 0
		.amdhsa_user_sgpr_flat_scratch_init 0
		.amdhsa_user_sgpr_private_segment_size 0
		.amdhsa_wavefront_size32 1
		.amdhsa_uses_dynamic_stack 0
		.amdhsa_system_sgpr_private_segment_wavefront_offset 0
		.amdhsa_system_sgpr_workgroup_id_x 1
		.amdhsa_system_sgpr_workgroup_id_y 0
		.amdhsa_system_sgpr_workgroup_id_z 0
		.amdhsa_system_sgpr_workgroup_info 0
		.amdhsa_system_vgpr_workitem_id 0
		.amdhsa_next_free_vgpr 55
		.amdhsa_next_free_sgpr 90
		.amdhsa_reserve_vcc 1
		.amdhsa_reserve_flat_scratch 0
		.amdhsa_float_round_mode_32 0
		.amdhsa_float_round_mode_16_64 0
		.amdhsa_float_denorm_mode_32 3
		.amdhsa_float_denorm_mode_16_64 3
		.amdhsa_dx10_clamp 1
		.amdhsa_ieee_mode 1
		.amdhsa_fp16_overflow 0
		.amdhsa_workgroup_processor_mode 1
		.amdhsa_memory_ordered 1
		.amdhsa_forward_progress 1
		.amdhsa_shared_vgpr_count 0
		.amdhsa_exception_fp_ieee_invalid_op 0
		.amdhsa_exception_fp_denorm_src 0
		.amdhsa_exception_fp_ieee_div_zero 0
		.amdhsa_exception_fp_ieee_overflow 0
		.amdhsa_exception_fp_ieee_underflow 0
		.amdhsa_exception_fp_ieee_inexact 0
		.amdhsa_exception_int_div_zero 0
	.end_amdhsa_kernel
	.section	.text._ZN2at6native12_GLOBAL__N_16kernel17lstm_cell_forwardIfflLi2EEEvNS_4cuda6detail10TensorInfoIT_T1_EES9_S9_S9_S9_S9_S9_S9_S8_S8_,"axG",@progbits,_ZN2at6native12_GLOBAL__N_16kernel17lstm_cell_forwardIfflLi2EEEvNS_4cuda6detail10TensorInfoIT_T1_EES9_S9_S9_S9_S9_S9_S9_S8_S8_,comdat
.Lfunc_end7:
	.size	_ZN2at6native12_GLOBAL__N_16kernel17lstm_cell_forwardIfflLi2EEEvNS_4cuda6detail10TensorInfoIT_T1_EES9_S9_S9_S9_S9_S9_S9_S8_S8_, .Lfunc_end7-_ZN2at6native12_GLOBAL__N_16kernel17lstm_cell_forwardIfflLi2EEEvNS_4cuda6detail10TensorInfoIT_T1_EES9_S9_S9_S9_S9_S9_S9_S8_S8_
                                        ; -- End function
	.set _ZN2at6native12_GLOBAL__N_16kernel17lstm_cell_forwardIfflLi2EEEvNS_4cuda6detail10TensorInfoIT_T1_EES9_S9_S9_S9_S9_S9_S9_S8_S8_.num_vgpr, 55
	.set _ZN2at6native12_GLOBAL__N_16kernel17lstm_cell_forwardIfflLi2EEEvNS_4cuda6detail10TensorInfoIT_T1_EES9_S9_S9_S9_S9_S9_S9_S8_S8_.num_agpr, 0
	.set _ZN2at6native12_GLOBAL__N_16kernel17lstm_cell_forwardIfflLi2EEEvNS_4cuda6detail10TensorInfoIT_T1_EES9_S9_S9_S9_S9_S9_S9_S8_S8_.numbered_sgpr, 90
	.set _ZN2at6native12_GLOBAL__N_16kernel17lstm_cell_forwardIfflLi2EEEvNS_4cuda6detail10TensorInfoIT_T1_EES9_S9_S9_S9_S9_S9_S9_S8_S8_.num_named_barrier, 0
	.set _ZN2at6native12_GLOBAL__N_16kernel17lstm_cell_forwardIfflLi2EEEvNS_4cuda6detail10TensorInfoIT_T1_EES9_S9_S9_S9_S9_S9_S9_S8_S8_.private_seg_size, 0
	.set _ZN2at6native12_GLOBAL__N_16kernel17lstm_cell_forwardIfflLi2EEEvNS_4cuda6detail10TensorInfoIT_T1_EES9_S9_S9_S9_S9_S9_S9_S8_S8_.uses_vcc, 1
	.set _ZN2at6native12_GLOBAL__N_16kernel17lstm_cell_forwardIfflLi2EEEvNS_4cuda6detail10TensorInfoIT_T1_EES9_S9_S9_S9_S9_S9_S9_S8_S8_.uses_flat_scratch, 0
	.set _ZN2at6native12_GLOBAL__N_16kernel17lstm_cell_forwardIfflLi2EEEvNS_4cuda6detail10TensorInfoIT_T1_EES9_S9_S9_S9_S9_S9_S9_S8_S8_.has_dyn_sized_stack, 0
	.set _ZN2at6native12_GLOBAL__N_16kernel17lstm_cell_forwardIfflLi2EEEvNS_4cuda6detail10TensorInfoIT_T1_EES9_S9_S9_S9_S9_S9_S9_S8_S8_.has_recursion, 0
	.set _ZN2at6native12_GLOBAL__N_16kernel17lstm_cell_forwardIfflLi2EEEvNS_4cuda6detail10TensorInfoIT_T1_EES9_S9_S9_S9_S9_S9_S9_S8_S8_.has_indirect_call, 0
	.section	.AMDGPU.csdata,"",@progbits
; Kernel info:
; codeLenInByte = 17124
; TotalNumSgprs: 92
; NumVgprs: 55
; ScratchSize: 0
; MemoryBound: 0
; FloatMode: 240
; IeeeMode: 1
; LDSByteSize: 0 bytes/workgroup (compile time only)
; SGPRBlocks: 0
; VGPRBlocks: 6
; NumSGPRsForWavesPerEU: 92
; NumVGPRsForWavesPerEU: 55
; Occupancy: 16
; WaveLimiterHint : 1
; COMPUTE_PGM_RSRC2:SCRATCH_EN: 0
; COMPUTE_PGM_RSRC2:USER_SGPR: 6
; COMPUTE_PGM_RSRC2:TRAP_HANDLER: 0
; COMPUTE_PGM_RSRC2:TGID_X_EN: 1
; COMPUTE_PGM_RSRC2:TGID_Y_EN: 0
; COMPUTE_PGM_RSRC2:TGID_Z_EN: 0
; COMPUTE_PGM_RSRC2:TIDIG_COMP_CNT: 0
	.section	.text._ZN2at6native12_GLOBAL__N_16kernel17lstm_cell_forwardIN3c104HalfEfiLi1EEEvNS_4cuda6detail10TensorInfoIT_T1_EESB_SB_SB_SB_SB_SB_SB_SA_SA_,"axG",@progbits,_ZN2at6native12_GLOBAL__N_16kernel17lstm_cell_forwardIN3c104HalfEfiLi1EEEvNS_4cuda6detail10TensorInfoIT_T1_EESB_SB_SB_SB_SB_SB_SB_SA_SA_,comdat
	.globl	_ZN2at6native12_GLOBAL__N_16kernel17lstm_cell_forwardIN3c104HalfEfiLi1EEEvNS_4cuda6detail10TensorInfoIT_T1_EESB_SB_SB_SB_SB_SB_SB_SA_SA_ ; -- Begin function _ZN2at6native12_GLOBAL__N_16kernel17lstm_cell_forwardIN3c104HalfEfiLi1EEEvNS_4cuda6detail10TensorInfoIT_T1_EESB_SB_SB_SB_SB_SB_SB_SA_SA_
	.p2align	8
	.type	_ZN2at6native12_GLOBAL__N_16kernel17lstm_cell_forwardIN3c104HalfEfiLi1EEEvNS_4cuda6detail10TensorInfoIT_T1_EESB_SB_SB_SB_SB_SB_SB_SA_SA_,@function
_ZN2at6native12_GLOBAL__N_16kernel17lstm_cell_forwardIN3c104HalfEfiLi1EEEvNS_4cuda6detail10TensorInfoIT_T1_EESB_SB_SB_SB_SB_SB_SB_SA_SA_: ; @_ZN2at6native12_GLOBAL__N_16kernel17lstm_cell_forwardIN3c104HalfEfiLi1EEEvNS_4cuda6detail10TensorInfoIT_T1_EESB_SB_SB_SB_SB_SB_SB_SA_SA_
; %bb.0:
	s_clause 0x1
	s_load_dword s7, s[4:5], 0x6d4
	s_load_dwordx2 s[2:3], s[4:5], 0x6c0
	s_add_u32 s0, s4, 0x6c8
	s_addc_u32 s1, s5, 0
	s_waitcnt lgkmcnt(0)
	s_and_b32 s28, s7, 0xffff
	v_mad_u64_u32 v[0:1], null, s6, s28, v[0:1]
	s_mov_b32 s6, exec_lo
	v_cmpx_gt_i32_e64 s3, v0
	s_cbranch_execz .LBB8_13
; %bb.1:
	s_clause 0x3
	s_load_dwordx2 s[6:7], s[4:5], 0x1b0
	s_load_dword s22, s[4:5], 0x21c
	s_load_dwordx2 s[8:9], s[4:5], 0x288
	s_load_dword s23, s[4:5], 0x2f4
	s_load_dword s0, s[0:1], 0x0
	s_clause 0x8
	s_load_dwordx2 s[10:11], s[4:5], 0x360
	s_load_dword s31, s[4:5], 0x3cc
	s_load_dwordx2 s[12:13], s[4:5], 0x438
	s_load_dword s33, s[4:5], 0x4a4
	s_load_dword s34, s[4:5], 0x57c
	s_load_dwordx2 s[14:15], s[4:5], 0x0
	s_load_dword s1, s[4:5], 0x6c
	s_load_dwordx2 s[16:17], s[4:5], 0xd8
	s_load_dword s26, s[4:5], 0x144
	s_mul_i32 s27, s2, 3
	s_mov_b32 s35, 0xbbbac73d
	s_waitcnt lgkmcnt(0)
	s_cmp_lg_u64 s[6:7], 0
	s_cselect_b32 s24, -1, 0
	s_abs_i32 s25, s2
	v_mul_lo_u32 v3, v0, s33
	v_cvt_f32_u32_e32 v1, s25
	s_sub_i32 s18, 0, s25
	v_mul_lo_u32 v5, v0, s34
	s_mul_i32 s28, s0, s28
	s_ashr_i32 s29, s2, 31
	v_rcp_iflag_f32_e32 v1, v1
	s_sub_i32 s30, 0, s2
	s_mul_i32 s33, s28, s33
	s_mul_i32 s34, s28, s34
	v_mul_f32_e32 v1, 0x4f7ffffe, v1
	v_cvt_u32_f32_e32 v2, v1
	v_mul_lo_u32 v1, s18, v2
	s_clause 0x2
	s_load_dwordx2 s[18:19], s[4:5], 0x510
	s_load_dwordx2 s[20:21], s[4:5], 0x5e8
	s_load_dword s4, s[4:5], 0x654
	s_mov_b32 s5, 0
	v_mul_hi_u32 v4, v2, v1
	v_mul_lo_u32 v1, v0, s31
	s_mul_i32 s31, s28, s31
	v_add_nc_u32_e32 v12, v2, v4
	s_branch .LBB8_3
.LBB8_2:                                ;   in Loop: Header=BB8_3 Depth=1
	s_or_b32 exec_lo, exec_lo, s0
	v_cvt_f32_f16_e32 v4, v4
	v_cvt_f32_f16_e32 v7, v7
	v_bfi_b32 v23, 0x7fffffff, v17, v9
	v_cvt_f16_f32_e32 v27, v16
	s_waitcnt lgkmcnt(0)
	v_mul_lo_u32 v18, v6, s4
	v_ashrrev_i32_e32 v6, 31, v5
	v_add_f32_e32 v4, v4, v7
	v_add_nc_u32_e32 v0, s28, v0
	v_cvt_f16_f32_e32 v28, v11
	v_cvt_f16_f32_e32 v24, v9
	v_lshlrev_b64 v[20:21], 1, v[5:6]
	v_add_f32_e32 v4, v4, v15
	v_ashrrev_i32_e32 v19, 31, v18
	v_cvt_f16_f32_e32 v26, v13
	v_add_nc_u32_e32 v1, s31, v1
	v_add_nc_u32_e32 v5, s34, v5
	v_add_f32_e32 v4, v14, v4
	v_mul_f32_e32 v7, 0xbfb8aa3b, v4
	v_cmp_nlt_f32_e32 vcc_lo, 0x42ce8ed0, v4
	v_fma_f32 v14, 0xbfb8aa3b, v4, -v7
	v_rndne_f32_e32 v15, v7
	v_fmac_f32_e32 v14, 0xb2a5705f, v4
	v_sub_f32_e32 v7, v7, v15
	v_add_f32_e32 v7, v7, v14
	v_cvt_i32_f32_e32 v14, v15
	v_exp_f32_e32 v7, v7
	v_ldexp_f32 v7, v7, v14
	v_mul_lo_u32 v14, v8, s4
	v_cndmask_b32_e32 v7, 0, v7, vcc_lo
	v_cmp_ngt_f32_e32 vcc_lo, 0xc2b17218, v4
	v_ashrrev_i32_e32 v15, 31, v14
	v_cndmask_b32_e32 v4, 0x7f800000, v7, vcc_lo
	v_mul_lo_u32 v7, v10, s4
	v_mul_lo_u32 v10, v2, s4
	v_cmp_le_i32_e32 vcc_lo, s3, v0
	v_add_f32_e32 v22, 1.0, v4
	v_ashrrev_i32_e32 v4, 31, v3
	s_or_b32 s5, vcc_lo, s5
	v_ashrrev_i32_e32 v8, 31, v7
	v_div_scale_f32 v2, null, v22, v22, 1.0
	v_lshlrev_b64 v[16:17], 1, v[3:4]
	v_div_scale_f32 v29, s0, 1.0, v22, 1.0
	v_rcp_f32_e32 v25, v2
	v_ashrrev_i32_e32 v11, 31, v10
	v_add_nc_u32_e32 v3, s33, v3
	v_add_co_u32 v16, vcc_lo, s12, v16
	v_add_co_ci_u32_e64 v17, null, s13, v17, vcc_lo
	v_add_co_u32 v20, vcc_lo, s18, v20
	v_add_co_ci_u32_e64 v21, null, s19, v21, vcc_lo
	v_fma_f32 v4, -v2, v25, 1.0
	v_fmac_f32_e32 v25, v4, v25
	v_mul_f32_e32 v4, v29, v25
	v_fma_f32 v6, -v2, v4, v29
	v_fmac_f32_e32 v4, v6, v25
	v_lshlrev_b64 v[6:7], 1, v[7:8]
	v_lshlrev_b64 v[8:9], 1, v[10:11]
	;; [unrolled: 1-line block ×4, first 2 shown]
	v_fma_f32 v2, -v2, v4, v29
	v_add_co_u32 v6, vcc_lo, s20, v6
	v_add_co_ci_u32_e64 v7, null, s21, v7, vcc_lo
	s_mov_b32 vcc_lo, s0
	v_div_fmas_f32 v2, v2, v25, v4
	v_add_co_u32 v8, vcc_lo, s20, v8
	v_add_co_ci_u32_e64 v9, null, s21, v9, vcc_lo
	v_div_fixup_f32 v2, v2, v22, 1.0
	v_add_co_u32 v10, vcc_lo, s20, v10
	v_add_co_ci_u32_e64 v11, null, s21, v11, vcc_lo
	v_fma_mixlo_f16 v4, v2, v23, 0
	v_add_co_u32 v13, vcc_lo, s20, v13
	v_add_co_ci_u32_e64 v14, null, s21, v14, vcc_lo
	v_cvt_f16_f32_e32 v2, v2
	global_store_short v[16:17], v4, off
	global_store_short v[20:21], v24, off
	;; [unrolled: 1-line block ×6, first 2 shown]
	s_andn2_b32 exec_lo, exec_lo, s5
	s_cbranch_execz .LBB8_13
.LBB8_3:                                ; =>This Inner Loop Header: Depth=1
	v_sub_nc_u32_e32 v2, 0, v0
	v_max_i32_e32 v2, v0, v2
	v_mul_hi_u32 v4, v2, v12
	v_mul_lo_u32 v6, v4, s25
	v_sub_nc_u32_e32 v2, v2, v6
	v_add_nc_u32_e32 v6, 1, v4
	v_subrev_nc_u32_e32 v7, s25, v2
	v_cmp_le_u32_e32 vcc_lo, s25, v2
	v_cndmask_b32_e32 v4, v4, v6, vcc_lo
	v_cndmask_b32_e32 v2, v2, v7, vcc_lo
	v_ashrrev_i32_e32 v6, 31, v0
	v_add_nc_u32_e32 v7, 1, v4
	v_cmp_le_u32_e32 vcc_lo, s25, v2
	v_xor_b32_e32 v18, s29, v6
	v_cndmask_b32_e32 v2, v4, v7, vcc_lo
	v_mul_i32_i24_e32 v4, 3, v18
	v_xor_b32_e32 v19, v2, v18
	v_ashrrev_i32_e32 v2, 31, v1
	v_lshl_add_u32 v6, v19, 1, v19
	v_sub_nc_u32_e32 v22, v19, v18
	v_lshlrev_b64 v[13:14], 1, v[1:2]
	v_sub_nc_u32_e32 v4, v6, v4
	v_mad_u64_u32 v[10:11], null, s27, v22, v[0:1]
	v_add_co_u32 v23, vcc_lo, s10, v13
	v_mul_lo_u32 v2, s2, v4
	v_add_nc_u32_e32 v6, 2, v4
	v_add_nc_u32_e32 v4, 3, v4
	v_add_co_ci_u32_e64 v24, null, s11, v14, vcc_lo
	v_mul_lo_u32 v15, v10, s1
	v_mul_lo_u32 v20, v10, s26
	v_mad_u64_u32 v[8:9], null, s2, v6, v[0:1]
	v_add3_u32 v2, v2, s2, v0
	v_mad_u64_u32 v[6:7], null, s2, v4, v[0:1]
	v_ashrrev_i32_e32 v16, 31, v15
	v_mul_lo_u32 v13, v2, s1
	v_ashrrev_i32_e32 v21, 31, v20
	v_mul_lo_u32 v25, v8, s1
	v_mul_lo_u32 v29, v2, s26
	;; [unrolled: 1-line block ×3, first 2 shown]
	v_lshlrev_b64 v[15:16], 1, v[15:16]
	v_lshlrev_b64 v[20:21], 1, v[20:21]
	v_mul_lo_u32 v31, v8, s26
	v_ashrrev_i32_e32 v14, 31, v13
	v_mul_lo_u32 v33, v6, s26
	v_ashrrev_i32_e32 v26, 31, v25
	v_add_co_u32 v15, vcc_lo, s14, v15
	v_ashrrev_i32_e32 v28, 31, v27
	v_add_co_ci_u32_e64 v16, null, s15, v16, vcc_lo
	v_add_co_u32 v35, vcc_lo, s16, v20
	v_lshlrev_b64 v[13:14], 1, v[13:14]
	v_ashrrev_i32_e32 v30, 31, v29
	v_add_co_ci_u32_e64 v36, null, s17, v21, vcc_lo
	v_lshlrev_b64 v[20:21], 1, v[25:26]
	v_ashrrev_i32_e32 v32, 31, v31
	v_lshlrev_b64 v[25:26], 1, v[27:28]
	v_ashrrev_i32_e32 v34, 31, v33
	v_lshlrev_b64 v[27:28], 1, v[29:30]
	v_add_co_u32 v13, vcc_lo, s14, v13
	v_lshlrev_b64 v[29:30], 1, v[31:32]
	v_add_co_ci_u32_e64 v14, null, s15, v14, vcc_lo
	v_add_co_u32 v20, vcc_lo, s14, v20
	v_lshlrev_b64 v[31:32], 1, v[33:34]
	v_add_co_ci_u32_e64 v21, null, s15, v21, vcc_lo
	v_add_co_u32 v25, vcc_lo, s14, v25
	v_add_co_ci_u32_e64 v26, null, s15, v26, vcc_lo
	v_add_co_u32 v27, vcc_lo, s16, v27
	;; [unrolled: 2-line block ×4, first 2 shown]
	v_add_co_ci_u32_e64 v32, null, s17, v32, vcc_lo
	s_clause 0x3
	global_load_ushort v16, v[15:16], off
	global_load_ushort v11, v[13:14], off
	;; [unrolled: 1-line block ×4, first 2 shown]
	s_clause 0x3
	global_load_ushort v17, v[35:36], off
	global_load_ushort v13, v[27:28], off
	;; [unrolled: 1-line block ×5, first 2 shown]
	v_mov_b32_e32 v14, 0
	v_mov_b32_e32 v27, 0
	;; [unrolled: 1-line block ×8, first 2 shown]
	s_andn2_b32 vcc_lo, exec_lo, s24
	s_cbranch_vccnz .LBB8_5
; %bb.4:                                ;   in Loop: Header=BB8_3 Depth=1
	v_mad_u64_u32 v[14:15], null, s30, v22, v[0:1]
	v_sub_nc_u32_e32 v15, v18, v19
	v_mul_lo_u32 v19, s2, v15
	v_add_nc_u32_e32 v22, 2, v15
	v_add_nc_u32_e32 v15, 3, v15
	v_mul_lo_u32 v18, v14, s22
	v_mul_lo_u32 v14, v14, s23
	v_mad_u64_u32 v[22:23], null, s2, v22, v[0:1]
	v_add3_u32 v25, v19, s2, v0
	v_mad_u64_u32 v[23:24], null, s2, v15, v[0:1]
	v_ashrrev_i32_e32 v19, 31, v18
	v_ashrrev_i32_e32 v15, 31, v14
	v_mul_lo_u32 v24, v25, s22
	v_mul_lo_u32 v26, v22, s22
	;; [unrolled: 1-line block ×3, first 2 shown]
	v_lshlrev_b64 v[18:19], 1, v[18:19]
	v_mul_lo_u32 v28, v23, s22
	v_mul_lo_u32 v22, v22, s23
	v_lshlrev_b64 v[14:15], 1, v[14:15]
	v_ashrrev_i32_e32 v25, 31, v24
	v_ashrrev_i32_e32 v27, 31, v26
	v_add_co_u32 v18, vcc_lo, s6, v18
	v_add_co_ci_u32_e64 v19, null, s7, v19, vcc_lo
	v_lshlrev_b64 v[24:25], 1, v[24:25]
	v_lshlrev_b64 v[26:27], 1, v[26:27]
	v_ashrrev_i32_e32 v29, 31, v28
	v_ashrrev_i32_e32 v31, 31, v30
	v_add_co_u32 v24, vcc_lo, s6, v24
	v_add_co_ci_u32_e64 v25, null, s7, v25, vcc_lo
	s_clause 0x1
	global_load_ushort v32, v[18:19], off
	global_load_ushort v33, v[24:25], off
	v_mul_lo_u32 v24, v23, s23
	v_add_co_u32 v26, vcc_lo, s6, v26
	v_add_co_ci_u32_e64 v27, null, s7, v27, vcc_lo
	v_add_co_u32 v14, vcc_lo, s8, v14
	v_add_co_ci_u32_e64 v15, null, s9, v15, vcc_lo
	v_ashrrev_i32_e32 v23, 31, v22
	v_lshlrev_b64 v[28:29], 1, v[28:29]
	v_ashrrev_i32_e32 v25, 31, v24
	v_lshlrev_b64 v[18:19], 1, v[30:31]
	global_load_ushort v30, v[14:15], off
	v_lshlrev_b64 v[14:15], 1, v[22:23]
	v_add_co_u32 v28, vcc_lo, s6, v28
	v_lshlrev_b64 v[22:23], 1, v[24:25]
	v_add_co_ci_u32_e64 v29, null, s7, v29, vcc_lo
	v_add_co_u32 v18, vcc_lo, s8, v18
	v_add_co_ci_u32_e64 v19, null, s9, v19, vcc_lo
	v_add_co_u32 v14, vcc_lo, s8, v14
	;; [unrolled: 2-line block ×3, first 2 shown]
	v_add_co_ci_u32_e64 v23, null, s9, v23, vcc_lo
	global_load_ushort v18, v[18:19], off
	global_load_ushort v19, v[26:27], off
	;; [unrolled: 1-line block ×5, first 2 shown]
	s_waitcnt vmcnt(7)
	v_cvt_f32_f16_e32 v26, v32
	s_waitcnt vmcnt(6)
	v_cvt_f32_f16_e32 v25, v33
	;; [unrolled: 2-line block ×8, first 2 shown]
.LBB8_5:                                ;   in Loop: Header=BB8_3 Depth=1
	s_waitcnt vmcnt(6)
	v_cvt_f32_f16_e32 v18, v20
	s_waitcnt vmcnt(2)
	v_cvt_f32_f16_e32 v19, v21
	v_add_f32_e32 v18, v18, v19
                                        ; implicit-def: $vgpr19
	v_add_f32_e32 v18, v18, v28
	v_add_f32_e32 v18, v27, v18
	v_cmp_ngt_f32_e64 s0, 0x3f200000, |v18|
	s_and_saveexec_b32 s36, s0
	s_xor_b32 s0, exec_lo, s36
	s_cbranch_execz .LBB8_7
; %bb.6:                                ;   in Loop: Header=BB8_3 Depth=1
	v_add_f32_e64 v19, |v18|, |v18|
	v_mul_f32_e32 v20, 0x3fb8aa3b, v19
	v_cmp_ngt_f32_e32 vcc_lo, 0xc2ce8ed0, v19
	v_rndne_f32_e32 v21, v20
	v_fma_f32 v22, 0x3fb8aa3b, v19, -v20
	v_sub_f32_e32 v20, v20, v21
	v_fmac_f32_e32 v22, 0x32a5705f, v19
	v_cvt_i32_f32_e32 v21, v21
	v_add_f32_e32 v20, v20, v22
	v_exp_f32_e32 v20, v20
	v_ldexp_f32 v20, v20, v21
	v_cndmask_b32_e32 v20, 0, v20, vcc_lo
	v_cmp_nlt_f32_e32 vcc_lo, 0x42b17218, v19
	v_cndmask_b32_e32 v19, 0x7f800000, v20, vcc_lo
	v_add_f32_e32 v19, 1.0, v19
	v_rcp_f32_e32 v19, v19
	v_fma_f32 v19, v19, -2.0, 1.0
.LBB8_7:                                ;   in Loop: Header=BB8_3 Depth=1
	s_andn2_saveexec_b32 s0, s0
	s_cbranch_execz .LBB8_9
; %bb.8:                                ;   in Loop: Header=BB8_3 Depth=1
	v_mul_f32_e32 v19, v18, v18
	v_fmaak_f32 v20, s35, v19, 0x3ca908c9
	v_fmaak_f32 v20, v19, v20, 0xbd5c1c4e
	v_fmaak_f32 v20, v19, v20, 0x3e088382
	v_fmaak_f32 v20, v19, v20, 0xbeaaaa99
	v_mul_f32_e64 v20, |v18|, v20
	v_fma_f32 v19, v19, v20, |v18|
.LBB8_9:                                ;   in Loop: Header=BB8_3 Depth=1
	s_or_b32 exec_lo, exec_lo, s0
	v_cvt_f32_f16_e32 v16, v16
	v_cvt_f32_f16_e32 v17, v17
	;; [unrolled: 1-line block ×4, first 2 shown]
	v_add_f32_e32 v16, v16, v17
	v_add_f32_e32 v11, v11, v13
	;; [unrolled: 1-line block ×6, first 2 shown]
	v_mul_f32_e32 v16, 0xbfb8aa3b, v13
	v_cmp_nlt_f32_e32 vcc_lo, 0x42ce8ed0, v13
	v_mul_f32_e32 v17, 0xbfb8aa3b, v11
	v_fma_f32 v20, 0xbfb8aa3b, v13, -v16
	v_rndne_f32_e32 v21, v16
	v_fma_f32 v22, 0xbfb8aa3b, v11, -v17
	v_rndne_f32_e32 v23, v17
	v_fmac_f32_e32 v20, 0xb2a5705f, v13
	v_sub_f32_e32 v16, v16, v21
	v_fmac_f32_e32 v22, 0xb2a5705f, v11
	v_sub_f32_e32 v17, v17, v23
	v_add_f32_e32 v16, v16, v20
	v_cvt_i32_f32_e32 v20, v21
	v_add_f32_e32 v17, v17, v22
	v_cvt_i32_f32_e32 v21, v23
	v_exp_f32_e32 v16, v16
	v_exp_f32_e32 v17, v17
	v_ldexp_f32 v16, v16, v20
	v_ldexp_f32 v17, v17, v21
	v_cndmask_b32_e32 v16, 0, v16, vcc_lo
	v_cmp_nlt_f32_e32 vcc_lo, 0x42ce8ed0, v11
	v_cndmask_b32_e32 v17, 0, v17, vcc_lo
	v_cmp_ngt_f32_e32 vcc_lo, 0xc2b17218, v13
	v_cndmask_b32_e32 v13, 0x7f800000, v16, vcc_lo
	v_cmp_ngt_f32_e32 vcc_lo, 0xc2b17218, v11
	v_add_f32_e32 v13, 1.0, v13
	v_cndmask_b32_e32 v11, 0x7f800000, v17, vcc_lo
	v_div_scale_f32 v24, vcc_lo, 1.0, v13, 1.0
	v_add_f32_e32 v16, 1.0, v11
	v_div_scale_f32 v11, null, v13, v13, 1.0
	v_div_scale_f32 v17, null, v16, v16, 1.0
	v_rcp_f32_e32 v20, v11
	v_rcp_f32_e32 v21, v17
	v_fma_f32 v22, -v11, v20, 1.0
	v_fma_f32 v23, -v17, v21, 1.0
	v_fmac_f32_e32 v20, v22, v20
	v_div_scale_f32 v22, s0, 1.0, v16, 1.0
	v_fmac_f32_e32 v21, v23, v21
	v_mul_f32_e32 v23, v24, v20
	v_mul_f32_e32 v25, v22, v21
	v_fma_f32 v26, -v11, v23, v24
	v_fma_f32 v27, -v17, v25, v22
	v_fmac_f32_e32 v23, v26, v20
	v_fmac_f32_e32 v25, v27, v21
	v_fma_f32 v11, -v11, v23, v24
	v_fma_f32 v17, -v17, v25, v22
	v_div_fmas_f32 v11, v11, v20, v23
	s_mov_b32 vcc_lo, s0
	v_div_fmas_f32 v17, v17, v21, v25
	v_div_fixup_f32 v13, v11, v13, 1.0
	v_bfi_b32 v11, 0x7fffffff, v19, v18
	v_div_fixup_f32 v16, v17, v16, 1.0
	v_mul_f32_e32 v17, v13, v11
	s_waitcnt vmcnt(0)
	v_fma_mix_f32 v9, v16, v9, v17 op_sel_hi:[0,1,0]
                                        ; implicit-def: $vgpr17
	v_cmp_ngt_f32_e64 s0, 0x3f200000, |v9|
	s_and_saveexec_b32 s36, s0
	s_xor_b32 s0, exec_lo, s36
	s_cbranch_execz .LBB8_11
; %bb.10:                               ;   in Loop: Header=BB8_3 Depth=1
	v_add_f32_e64 v17, |v9|, |v9|
	v_mul_f32_e32 v18, 0x3fb8aa3b, v17
	v_cmp_ngt_f32_e32 vcc_lo, 0xc2ce8ed0, v17
	v_rndne_f32_e32 v19, v18
	v_fma_f32 v20, 0x3fb8aa3b, v17, -v18
	v_sub_f32_e32 v18, v18, v19
	v_fmac_f32_e32 v20, 0x32a5705f, v17
	v_cvt_i32_f32_e32 v19, v19
	v_add_f32_e32 v18, v18, v20
	v_exp_f32_e32 v18, v18
	v_ldexp_f32 v18, v18, v19
	v_cndmask_b32_e32 v18, 0, v18, vcc_lo
	v_cmp_nlt_f32_e32 vcc_lo, 0x42b17218, v17
	v_cndmask_b32_e32 v17, 0x7f800000, v18, vcc_lo
	v_add_f32_e32 v17, 1.0, v17
	v_rcp_f32_e32 v17, v17
	v_fma_f32 v17, v17, -2.0, 1.0
.LBB8_11:                               ;   in Loop: Header=BB8_3 Depth=1
	s_andn2_saveexec_b32 s0, s0
	s_cbranch_execz .LBB8_2
; %bb.12:                               ;   in Loop: Header=BB8_3 Depth=1
	v_mul_f32_e32 v17, v9, v9
	v_fmaak_f32 v18, s35, v17, 0x3ca908c9
	v_fmaak_f32 v18, v17, v18, 0xbd5c1c4e
	;; [unrolled: 1-line block ×4, first 2 shown]
	v_mul_f32_e64 v18, |v9|, v18
	v_fma_f32 v17, v17, v18, |v9|
	s_branch .LBB8_2
.LBB8_13:
	s_endpgm
	.section	.rodata,"a",@progbits
	.p2align	6, 0x0
	.amdhsa_kernel _ZN2at6native12_GLOBAL__N_16kernel17lstm_cell_forwardIN3c104HalfEfiLi1EEEvNS_4cuda6detail10TensorInfoIT_T1_EESB_SB_SB_SB_SB_SB_SB_SA_SA_
		.amdhsa_group_segment_fixed_size 0
		.amdhsa_private_segment_fixed_size 0
		.amdhsa_kernarg_size 1992
		.amdhsa_user_sgpr_count 6
		.amdhsa_user_sgpr_private_segment_buffer 1
		.amdhsa_user_sgpr_dispatch_ptr 0
		.amdhsa_user_sgpr_queue_ptr 0
		.amdhsa_user_sgpr_kernarg_segment_ptr 1
		.amdhsa_user_sgpr_dispatch_id 0
		.amdhsa_user_sgpr_flat_scratch_init 0
		.amdhsa_user_sgpr_private_segment_size 0
		.amdhsa_wavefront_size32 1
		.amdhsa_uses_dynamic_stack 0
		.amdhsa_system_sgpr_private_segment_wavefront_offset 0
		.amdhsa_system_sgpr_workgroup_id_x 1
		.amdhsa_system_sgpr_workgroup_id_y 0
		.amdhsa_system_sgpr_workgroup_id_z 0
		.amdhsa_system_sgpr_workgroup_info 0
		.amdhsa_system_vgpr_workitem_id 0
		.amdhsa_next_free_vgpr 37
		.amdhsa_next_free_sgpr 37
		.amdhsa_reserve_vcc 1
		.amdhsa_reserve_flat_scratch 0
		.amdhsa_float_round_mode_32 0
		.amdhsa_float_round_mode_16_64 0
		.amdhsa_float_denorm_mode_32 3
		.amdhsa_float_denorm_mode_16_64 3
		.amdhsa_dx10_clamp 1
		.amdhsa_ieee_mode 1
		.amdhsa_fp16_overflow 0
		.amdhsa_workgroup_processor_mode 1
		.amdhsa_memory_ordered 1
		.amdhsa_forward_progress 1
		.amdhsa_shared_vgpr_count 0
		.amdhsa_exception_fp_ieee_invalid_op 0
		.amdhsa_exception_fp_denorm_src 0
		.amdhsa_exception_fp_ieee_div_zero 0
		.amdhsa_exception_fp_ieee_overflow 0
		.amdhsa_exception_fp_ieee_underflow 0
		.amdhsa_exception_fp_ieee_inexact 0
		.amdhsa_exception_int_div_zero 0
	.end_amdhsa_kernel
	.section	.text._ZN2at6native12_GLOBAL__N_16kernel17lstm_cell_forwardIN3c104HalfEfiLi1EEEvNS_4cuda6detail10TensorInfoIT_T1_EESB_SB_SB_SB_SB_SB_SB_SA_SA_,"axG",@progbits,_ZN2at6native12_GLOBAL__N_16kernel17lstm_cell_forwardIN3c104HalfEfiLi1EEEvNS_4cuda6detail10TensorInfoIT_T1_EESB_SB_SB_SB_SB_SB_SB_SA_SA_,comdat
.Lfunc_end8:
	.size	_ZN2at6native12_GLOBAL__N_16kernel17lstm_cell_forwardIN3c104HalfEfiLi1EEEvNS_4cuda6detail10TensorInfoIT_T1_EESB_SB_SB_SB_SB_SB_SB_SA_SA_, .Lfunc_end8-_ZN2at6native12_GLOBAL__N_16kernel17lstm_cell_forwardIN3c104HalfEfiLi1EEEvNS_4cuda6detail10TensorInfoIT_T1_EESB_SB_SB_SB_SB_SB_SB_SA_SA_
                                        ; -- End function
	.set _ZN2at6native12_GLOBAL__N_16kernel17lstm_cell_forwardIN3c104HalfEfiLi1EEEvNS_4cuda6detail10TensorInfoIT_T1_EESB_SB_SB_SB_SB_SB_SB_SA_SA_.num_vgpr, 37
	.set _ZN2at6native12_GLOBAL__N_16kernel17lstm_cell_forwardIN3c104HalfEfiLi1EEEvNS_4cuda6detail10TensorInfoIT_T1_EESB_SB_SB_SB_SB_SB_SB_SA_SA_.num_agpr, 0
	.set _ZN2at6native12_GLOBAL__N_16kernel17lstm_cell_forwardIN3c104HalfEfiLi1EEEvNS_4cuda6detail10TensorInfoIT_T1_EESB_SB_SB_SB_SB_SB_SB_SA_SA_.numbered_sgpr, 37
	.set _ZN2at6native12_GLOBAL__N_16kernel17lstm_cell_forwardIN3c104HalfEfiLi1EEEvNS_4cuda6detail10TensorInfoIT_T1_EESB_SB_SB_SB_SB_SB_SB_SA_SA_.num_named_barrier, 0
	.set _ZN2at6native12_GLOBAL__N_16kernel17lstm_cell_forwardIN3c104HalfEfiLi1EEEvNS_4cuda6detail10TensorInfoIT_T1_EESB_SB_SB_SB_SB_SB_SB_SA_SA_.private_seg_size, 0
	.set _ZN2at6native12_GLOBAL__N_16kernel17lstm_cell_forwardIN3c104HalfEfiLi1EEEvNS_4cuda6detail10TensorInfoIT_T1_EESB_SB_SB_SB_SB_SB_SB_SA_SA_.uses_vcc, 1
	.set _ZN2at6native12_GLOBAL__N_16kernel17lstm_cell_forwardIN3c104HalfEfiLi1EEEvNS_4cuda6detail10TensorInfoIT_T1_EESB_SB_SB_SB_SB_SB_SB_SA_SA_.uses_flat_scratch, 0
	.set _ZN2at6native12_GLOBAL__N_16kernel17lstm_cell_forwardIN3c104HalfEfiLi1EEEvNS_4cuda6detail10TensorInfoIT_T1_EESB_SB_SB_SB_SB_SB_SB_SA_SA_.has_dyn_sized_stack, 0
	.set _ZN2at6native12_GLOBAL__N_16kernel17lstm_cell_forwardIN3c104HalfEfiLi1EEEvNS_4cuda6detail10TensorInfoIT_T1_EESB_SB_SB_SB_SB_SB_SB_SA_SA_.has_recursion, 0
	.set _ZN2at6native12_GLOBAL__N_16kernel17lstm_cell_forwardIN3c104HalfEfiLi1EEEvNS_4cuda6detail10TensorInfoIT_T1_EESB_SB_SB_SB_SB_SB_SB_SA_SA_.has_indirect_call, 0
	.section	.AMDGPU.csdata,"",@progbits
; Kernel info:
; codeLenInByte = 2720
; TotalNumSgprs: 39
; NumVgprs: 37
; ScratchSize: 0
; MemoryBound: 0
; FloatMode: 240
; IeeeMode: 1
; LDSByteSize: 0 bytes/workgroup (compile time only)
; SGPRBlocks: 0
; VGPRBlocks: 4
; NumSGPRsForWavesPerEU: 39
; NumVGPRsForWavesPerEU: 37
; Occupancy: 16
; WaveLimiterHint : 1
; COMPUTE_PGM_RSRC2:SCRATCH_EN: 0
; COMPUTE_PGM_RSRC2:USER_SGPR: 6
; COMPUTE_PGM_RSRC2:TRAP_HANDLER: 0
; COMPUTE_PGM_RSRC2:TGID_X_EN: 1
; COMPUTE_PGM_RSRC2:TGID_Y_EN: 0
; COMPUTE_PGM_RSRC2:TGID_Z_EN: 0
; COMPUTE_PGM_RSRC2:TIDIG_COMP_CNT: 0
	.section	.text._ZN2at6native12_GLOBAL__N_16kernel17lstm_cell_forwardIN3c104HalfEfiLi2EEEvNS_4cuda6detail10TensorInfoIT_T1_EESB_SB_SB_SB_SB_SB_SB_SA_SA_,"axG",@progbits,_ZN2at6native12_GLOBAL__N_16kernel17lstm_cell_forwardIN3c104HalfEfiLi2EEEvNS_4cuda6detail10TensorInfoIT_T1_EESB_SB_SB_SB_SB_SB_SB_SA_SA_,comdat
	.globl	_ZN2at6native12_GLOBAL__N_16kernel17lstm_cell_forwardIN3c104HalfEfiLi2EEEvNS_4cuda6detail10TensorInfoIT_T1_EESB_SB_SB_SB_SB_SB_SB_SA_SA_ ; -- Begin function _ZN2at6native12_GLOBAL__N_16kernel17lstm_cell_forwardIN3c104HalfEfiLi2EEEvNS_4cuda6detail10TensorInfoIT_T1_EESB_SB_SB_SB_SB_SB_SB_SA_SA_
	.p2align	8
	.type	_ZN2at6native12_GLOBAL__N_16kernel17lstm_cell_forwardIN3c104HalfEfiLi2EEEvNS_4cuda6detail10TensorInfoIT_T1_EESB_SB_SB_SB_SB_SB_SB_SA_SA_,@function
_ZN2at6native12_GLOBAL__N_16kernel17lstm_cell_forwardIN3c104HalfEfiLi2EEEvNS_4cuda6detail10TensorInfoIT_T1_EESB_SB_SB_SB_SB_SB_SB_SA_SA_: ; @_ZN2at6native12_GLOBAL__N_16kernel17lstm_cell_forwardIN3c104HalfEfiLi2EEEvNS_4cuda6detail10TensorInfoIT_T1_EESB_SB_SB_SB_SB_SB_SB_SA_SA_
; %bb.0:
	s_clause 0x1
	s_load_dword s2, s[4:5], 0x6d4
	s_load_dwordx2 s[8:9], s[4:5], 0x6c0
	s_add_u32 s0, s4, 0x6c8
	s_addc_u32 s1, s5, 0
	s_mov_b32 s3, exec_lo
	s_waitcnt lgkmcnt(0)
	s_and_b32 s2, s2, 0xffff
	v_mad_u64_u32 v[0:1], null, s6, s2, v[0:1]
	v_cmpx_gt_i32_e64 s9, v0
	s_cbranch_execz .LBB9_13
; %bb.1:
	s_clause 0x7
	s_load_dwordx2 s[6:7], s[4:5], 0x1b0
	s_load_dwordx2 s[10:11], s[4:5], 0x0
	s_load_dword s3, s[4:5], 0xc
	s_load_dwordx2 s[12:13], s[4:5], 0x6c
	s_load_dwordx2 s[14:15], s[4:5], 0xd8
	s_load_dword s33, s[4:5], 0xe4
	s_load_dwordx2 s[16:17], s[4:5], 0x144
	s_load_dword s36, s[4:5], 0x21c
	s_load_dword s43, s[0:1], 0x0
	s_clause 0xd
	s_load_dwordx2 s[18:19], s[4:5], 0x288
	s_load_dword s37, s[4:5], 0x2f4
	s_load_dwordx2 s[20:21], s[4:5], 0x360
	s_load_dword s0, s[4:5], 0x36c
	s_load_dword s1, s[4:5], 0x444
	;; [unrolled: 1-line block ×4, first 2 shown]
	s_load_dwordx2 s[22:23], s[4:5], 0x3cc
	s_load_dwordx2 s[24:25], s[4:5], 0x438
	;; [unrolled: 1-line block ×7, first 2 shown]
	s_mov_b32 s41, 0
	s_mul_i32 s56, s8, 3
	s_waitcnt lgkmcnt(0)
	s_cmp_lg_u64 s[6:7], 0
	s_mov_b32 s61, 0xbbbac73d
	s_cselect_b32 s39, -1, 0
	s_abs_i32 s40, s8
	s_abs_i32 s42, s3
	v_cvt_f32_u32_e32 v1, s40
	v_cvt_f32_u32_e32 v2, s42
	s_abs_i32 s45, s33
	s_mul_i32 s43, s43, s2
	v_cvt_f32_u32_e32 v3, s45
	v_rcp_iflag_f32_e32 v1, v1
	v_rcp_iflag_f32_e32 v2, v2
	s_sub_i32 s2, 0, s40
	s_abs_i32 s47, s0
	s_abs_i32 s46, s38
	v_rcp_iflag_f32_e32 v3, v3
	s_abs_i32 s48, s1
	s_abs_i32 s49, s60
	v_cvt_f32_u32_e32 v4, s46
	v_cvt_f32_u32_e32 v5, s47
	v_mul_f32_e32 v1, 0x4f7ffffe, v1
	v_cvt_f32_u32_e32 v6, s48
	v_cvt_f32_u32_e32 v8, s49
	v_mul_f32_e32 v2, 0x4f7ffffe, v2
	v_rcp_iflag_f32_e32 v4, v4
	v_cvt_u32_f32_e32 v1, v1
	v_rcp_iflag_f32_e32 v5, v5
	v_rcp_iflag_f32_e32 v6, v6
	v_rcp_iflag_f32_e32 v8, v8
	v_cvt_u32_f32_e32 v2, v2
	v_mul_lo_u32 v7, s2, v1
	v_mul_f32_e32 v3, 0x4f7ffffe, v3
	s_sub_i32 s2, 0, s42
	s_sub_i32 s50, 0, s46
	v_mul_lo_u32 v9, s2, v2
	v_mul_f32_e32 v4, 0x4f7ffffe, v4
	v_cvt_u32_f32_e32 v10, v3
	s_sub_i32 s2, 0, s45
	v_mul_hi_u32 v7, v1, v7
	v_mul_f32_e32 v8, 0x4f7ffffe, v8
	v_cvt_u32_f32_e32 v11, v4
	s_ashr_i32 s44, s8, 31
	v_mul_hi_u32 v4, v2, v9
	s_ashr_i32 s51, s33, 31
	v_cvt_u32_f32_e32 v12, v8
	s_ashr_i32 s52, s38, 31
	v_add_nc_u32_e32 v3, v1, v7
	v_mul_f32_e32 v1, 0x4f7ffffe, v5
	v_mul_f32_e32 v5, 0x4f7ffffe, v6
	v_mul_lo_u32 v6, s2, v10
	s_sub_i32 s2, 0, s47
	v_mul_lo_u32 v7, s50, v11
	v_cvt_u32_f32_e32 v1, v1
	v_cvt_u32_f32_e32 v9, v5
	s_sub_i32 s50, 0, s48
	v_add_nc_u32_e32 v4, v2, v4
	s_ashr_i32 s53, s0, 31
	v_mul_lo_u32 v5, s2, v1
	s_sub_i32 s2, 0, s49
	v_mul_lo_u32 v8, s50, v9
	v_mul_hi_u32 v6, v10, v6
	v_mul_lo_u32 v13, s2, v12
	v_mul_hi_u32 v7, v11, v7
	s_ashr_i32 s50, s3, 31
	s_ashr_i32 s54, s1, 31
	v_mul_hi_u32 v2, v1, v5
	s_ashr_i32 s55, s60, 31
	v_mul_hi_u32 v8, v9, v8
	v_add_nc_u32_e32 v5, v10, v6
	v_mul_hi_u32 v10, v12, v13
	v_add_nc_u32_e32 v6, v11, v7
	s_sub_i32 s57, 0, s8
	s_sub_i32 s58, 0, s0
	v_add_nc_u32_e32 v7, v1, v2
	s_sub_i32 s59, 0, s1
	v_add_nc_u32_e32 v8, v9, v8
	;; [unrolled: 2-line block ×3, first 2 shown]
	s_branch .LBB9_3
.LBB9_2:                                ;   in Loop: Header=BB9_3 Depth=1
	s_or_b32 exec_lo, exec_lo, s0
	v_cvt_f32_f16_e32 v25, v25
	v_cvt_f32_f16_e32 v27, v27
	v_mul_hi_u32 v33, v11, v8
	v_mul_hi_u32 v34, v11, v9
	;; [unrolled: 1-line block ×3, first 2 shown]
	v_xor_b32_e32 v21, s52, v21
	v_add_f32_e32 v25, v25, v27
	v_mul_hi_u32 v27, v14, v6
	v_xor_b32_e32 v19, s52, v19
	v_xor_b32_e32 v20, s52, v20
	v_mul_lo_u32 v46, v33, s48
	v_add_f32_e32 v25, v25, v30
	v_mul_hi_u32 v30, v15, v6
	v_mul_lo_u32 v48, v34, s49
	v_mul_lo_u32 v42, v31, s46
	;; [unrolled: 1-line block ×3, first 2 shown]
	v_add_f32_e32 v25, v28, v25
	v_add_nc_u32_e32 v37, 1, v27
	v_mul_hi_u32 v28, v16, v6
	v_add_nc_u32_e32 v43, 1, v31
	v_mul_lo_u32 v38, v30, s46
	v_mul_f32_e32 v35, 0xbfb8aa3b, v25
	v_cmp_nlt_f32_e64 s2, 0x42ce8ed0, v25
	v_sub_nc_u32_e32 v14, v14, v36
	v_sub_nc_u32_e32 v36, v11, v46
	v_add_nc_u32_e32 v39, 1, v30
	v_fma_f32 v40, 0xbfb8aa3b, v25, -v35
	v_rndne_f32_e32 v41, v35
	v_sub_nc_u32_e32 v15, v15, v38
	v_sub_nc_u32_e32 v38, v11, v48
	v_cmp_le_u32_e32 vcc_lo, s46, v14
	v_fmac_f32_e32 v40, 0xb2a5705f, v25
	v_sub_f32_e32 v35, v35, v41
	v_cvt_i32_f32_e32 v11, v41
	v_sub_nc_u32_e32 v17, v17, v42
	v_cndmask_b32_e32 v27, v27, v37, vcc_lo
	v_subrev_nc_u32_e32 v37, s46, v14
	v_add_f32_e32 v35, v35, v40
	v_cmp_le_u32_e64 s0, s46, v15
	v_mul_lo_u32 v44, v28, s46
	v_cmp_le_u32_e64 s1, s46, v17
	v_cndmask_b32_e32 v14, v14, v37, vcc_lo
	v_exp_f32_e32 v35, v35
	v_cmp_ngt_f32_e32 vcc_lo, 0xc2b17218, v25
	v_add_nc_u32_e32 v37, 1, v27
	v_cndmask_b32_e64 v30, v30, v39, s0
	v_subrev_nc_u32_e32 v39, s46, v17
	v_sub_nc_u32_e32 v16, v16, v44
	v_cndmask_b32_e64 v31, v31, v43, s1
	v_add_nc_u32_e32 v45, 1, v28
	v_xor_b32_e32 v18, s52, v18
	v_cndmask_b32_e64 v17, v17, v39, s1
	v_ldexp_f32 v11, v35, v11
	v_subrev_nc_u32_e32 v35, s46, v15
	v_add_nc_u32_e32 v47, 1, v33
	v_add_nc_u32_e32 v40, 1, v34
	v_xor_b32_e32 v32, s54, v10
	v_cndmask_b32_e64 v11, 0, v11, s2
	v_cmp_le_u32_e64 s2, s46, v14
	v_cndmask_b32_e32 v11, 0x7f800000, v11, vcc_lo
	v_cndmask_b32_e64 v14, v27, v37, s2
	v_cmp_le_u32_e32 vcc_lo, s46, v16
	v_add_nc_u32_e32 v37, 1, v31
	v_cmp_le_u32_e64 s2, s48, v36
	v_add_f32_e32 v27, 1.0, v11
	v_cndmask_b32_e64 v11, v15, v35, s0
	v_xor_b32_e32 v14, v14, v21
	v_add_nc_u32_e32 v35, 1, v30
	v_cndmask_b32_e32 v25, v28, v45, vcc_lo
	v_div_scale_f32 v15, null, v27, v27, 1.0
	v_sub_nc_u32_e32 v14, v14, v21
	v_cmp_le_u32_e64 s0, s46, v11
	v_subrev_nc_u32_e32 v28, s46, v16
	v_rcp_f32_e32 v21, v15
	v_cndmask_b32_e64 v33, v33, v47, s2
	v_cndmask_b32_e64 v11, v30, v35, s0
	v_cmp_le_u32_e64 s0, s46, v17
	v_mul_lo_u32 v30, v14, s38
	v_cndmask_b32_e32 v16, v16, v28, vcc_lo
	v_add_nc_u32_e32 v28, 1, v25
	v_xor_b32_e32 v11, v11, v19
	v_cndmask_b32_e64 v17, v31, v37, s0
	v_fma_f32 v35, -v15, v21, 1.0
	v_cmp_le_u32_e64 s0, s46, v16
	v_subrev_nc_u32_e32 v31, s48, v36
	v_sub_nc_u32_e32 v19, v11, v19
	v_xor_b32_e32 v17, v17, v20
	v_sub_nc_u32_e32 v11, v12, v30
	v_div_scale_f32 v30, vcc_lo, 1.0, v27, 1.0
	v_fmac_f32_e32 v21, v35, v21
	v_sub_nc_u32_e32 v16, v17, v20
	v_add_nc_u32_e32 v11, v0, v11
	v_cndmask_b32_e64 v12, v25, v28, s0
	v_cndmask_b32_e64 v25, v36, v31, s2
	v_mul_f32_e32 v20, v30, v21
	v_mul_lo_u32 v17, v19, s38
	v_mul_lo_u32 v11, v11, s5
	v_xor_b32_e32 v12, v12, v18
	v_cmp_le_u32_e64 s0, s49, v38
	v_fma_f32 v31, -v15, v20, v30
	v_mul_lo_u32 v28, v16, s38
	v_sub_nc_u32_e32 v35, v12, v18
	v_sub_nc_u32_e32 v1, v1, v17
	v_fmac_f32_e32 v20, v31, v21
	v_mad_u64_u32 v[11:12], null, v14, s4, v[11:12]
	v_add_nc_u32_e32 v17, 1, v33
	v_cndmask_b32_e64 v14, v34, v40, s0
	v_fma_f32 v12, -v15, v20, v30
	v_subrev_nc_u32_e32 v15, s49, v38
	v_sub_nc_u32_e32 v13, v13, v28
	v_add_nc_u32_e32 v1, v0, v1
	v_div_fmas_f32 v18, v12, v21, v20
	v_cmp_le_u32_e32 vcc_lo, s48, v25
	v_cndmask_b32_e64 v15, v38, v15, s0
	v_add_nc_u32_e32 v13, v0, v13
	v_mul_lo_u32 v20, v35, s38
	v_mul_lo_u32 v1, v1, s5
	v_cndmask_b32_e32 v12, v33, v17, vcc_lo
	v_add_nc_u32_e32 v17, 1, v14
	v_cmp_le_u32_e32 vcc_lo, s49, v15
	v_xor_b32_e32 v21, s55, v10
	v_mul_lo_u32 v10, v13, s5
	v_xor_b32_e32 v12, v12, v32
	v_div_fixup_f32 v30, v18, v27, 1.0
	v_cndmask_b32_e32 v14, v14, v17, vcc_lo
	v_sub_nc_u32_e32 v17, v2, v20
	v_sub_nc_u32_e32 v25, v12, v32
	v_ashrrev_i32_e32 v12, 31, v11
	v_xor_b32_e32 v15, v14, v21
	v_mad_u64_u32 v[13:14], null, s59, v25, v[0:1]
	v_mad_u64_u32 v[1:2], null, v19, s4, v[1:2]
	v_sub_nc_u32_e32 v21, v15, v21
	v_mad_u64_u32 v[14:15], null, v16, s4, v[10:11]
	v_add_nc_u32_e32 v19, v0, v17
	v_mul_lo_u32 v10, v13, s27
	v_lshlrev_b64 v[11:12], 1, v[11:12]
	v_mad_u64_u32 v[16:17], null, s60, v21, v[0:1]
	v_mul_lo_u32 v13, v19, s5
	v_ashrrev_i32_e32 v15, 31, v14
	v_ashrrev_i32_e32 v2, 31, v1
	v_add_nc_u32_e32 v0, s43, v0
	v_mad_u64_u32 v[17:18], null, v25, s26, v[10:11]
	v_mul_lo_u32 v10, v16, s31
	v_lshlrev_b64 v[14:15], 1, v[14:15]
	v_add_co_u32 v11, vcc_lo, s34, v11
	v_lshlrev_b64 v[1:2], 1, v[1:2]
	v_add_co_ci_u32_e64 v12, null, s35, v12, vcc_lo
	v_mad_u64_u32 v[19:20], null, v35, s4, v[13:14]
	v_mad_u64_u32 v[27:28], null, v21, s30, v[10:11]
	v_ashrrev_i32_e32 v18, 31, v17
	v_add_co_u32 v1, vcc_lo, s34, v1
	v_add_co_ci_u32_e64 v2, null, s35, v2, vcc_lo
	v_ashrrev_i32_e32 v20, 31, v19
	v_ashrrev_i32_e32 v28, 31, v27
	v_lshlrev_b64 v[16:17], 1, v[17:18]
	v_add_co_u32 v13, vcc_lo, s34, v14
	v_lshlrev_b64 v[18:19], 1, v[19:20]
	v_lshlrev_b64 v[20:21], 1, v[27:28]
	v_bfi_b32 v10, 0x7fffffff, v29, v26
	v_add_co_ci_u32_e64 v14, null, s35, v15, vcc_lo
	v_add_co_u32 v15, vcc_lo, s24, v16
	v_add_co_ci_u32_e64 v16, null, s25, v17, vcc_lo
	v_add_co_u32 v20, vcc_lo, s28, v20
	v_fma_mixlo_f16 v10, v30, v10, 0
	v_add_co_ci_u32_e64 v21, null, s29, v21, vcc_lo
	v_cvt_f16_f32_e32 v25, v26
	v_add_co_u32 v17, vcc_lo, s34, v18
	v_add_co_ci_u32_e64 v18, null, s35, v19, vcc_lo
	v_cmp_le_i32_e32 vcc_lo, s9, v0
	global_store_short v[15:16], v10, off
	global_store_short v[20:21], v25, off
	v_cvt_f16_f32_e32 v10, v23
	v_cvt_f16_f32_e32 v16, v22
	;; [unrolled: 1-line block ×4, first 2 shown]
	s_or_b32 s41, vcc_lo, s41
	global_store_short v[11:12], v10, off
	global_store_short v[1:2], v15, off
	global_store_short v[13:14], v16, off
	global_store_short v[17:18], v19, off
	s_andn2_b32 exec_lo, exec_lo, s41
	s_cbranch_execz .LBB9_13
.LBB9_3:                                ; =>This Inner Loop Header: Depth=1
	v_sub_nc_u32_e32 v1, 0, v0
	v_max_i32_e32 v11, v0, v1
	v_mul_hi_u32 v1, v11, v3
	v_mul_lo_u32 v2, v1, s40
	v_add_nc_u32_e32 v10, 1, v1
	v_sub_nc_u32_e32 v2, v11, v2
	v_subrev_nc_u32_e32 v12, s40, v2
	v_cmp_le_u32_e32 vcc_lo, s40, v2
	v_cndmask_b32_e32 v1, v1, v10, vcc_lo
	v_cndmask_b32_e32 v2, v2, v12, vcc_lo
	v_ashrrev_i32_e32 v10, 31, v0
	v_add_nc_u32_e32 v12, 1, v1
	v_cmp_le_u32_e32 vcc_lo, s40, v2
	v_xor_b32_e32 v22, s44, v10
	v_cndmask_b32_e32 v1, v1, v12, vcc_lo
	v_xor_b32_e32 v23, v1, v22
	v_mul_i32_i24_e32 v1, 3, v22
	v_sub_nc_u32_e32 v24, v23, v22
	v_lshl_add_u32 v2, v23, 1, v23
	v_mul_lo_u32 v12, s56, v24
	v_sub_nc_u32_e32 v13, v2, v1
	v_mad_u64_u32 v[1:2], null, s8, v13, s[8:9]
	v_add_nc_u32_e32 v14, v0, v12
	v_add_nc_u32_e32 v2, 2, v13
	;; [unrolled: 1-line block ×3, first 2 shown]
	v_ashrrev_i32_e32 v21, 31, v14
	v_mul_lo_u32 v13, s8, v2
	v_mul_lo_u32 v2, s8, v15
	v_add_nc_u32_e32 v14, v0, v1
	v_add3_u32 v15, v21, v12, v0
	v_xor_b32_e32 v25, s50, v21
	v_xor_b32_e32 v27, s51, v21
	v_ashrrev_i32_e32 v19, 31, v14
	v_add_nc_u32_e32 v16, v0, v13
	v_xor_b32_e32 v14, v15, v21
	v_add_nc_u32_e32 v17, v0, v2
	v_add3_u32 v15, v19, v1, v0
	v_ashrrev_i32_e32 v20, 31, v16
	v_mul_hi_u32 v28, v14, v4
	v_mul_hi_u32 v32, v14, v5
	v_ashrrev_i32_e32 v18, 31, v17
	v_xor_b32_e32 v15, v15, v19
	v_add3_u32 v16, v20, v13, v0
	v_xor_b32_e32 v26, s50, v19
	v_xor_b32_e32 v29, s50, v20
	v_add3_u32 v31, v18, v2, v0
	v_mul_lo_u32 v34, v28, s42
	v_mul_hi_u32 v33, v15, v4
	v_mul_lo_u32 v38, v32, s45
	v_xor_b32_e32 v17, v16, v20
	v_add_nc_u32_e32 v37, 1, v28
	v_xor_b32_e32 v16, v31, v18
	v_add_nc_u32_e32 v39, 1, v32
	v_mul_hi_u32 v31, v15, v5
	v_sub_nc_u32_e32 v34, v14, v34
	v_mul_lo_u32 v44, v33, s42
	v_sub_nc_u32_e32 v38, v14, v38
	v_mul_hi_u32 v40, v17, v4
	v_mul_hi_u32 v41, v16, v4
	v_cmp_le_u32_e32 vcc_lo, s42, v34
	v_add_nc_u32_e32 v45, 1, v33
	v_cmp_le_u32_e64 s0, s45, v38
	v_mul_hi_u32 v42, v17, v5
	v_sub_nc_u32_e32 v44, v15, v44
	v_cndmask_b32_e32 v28, v28, v37, vcc_lo
	v_subrev_nc_u32_e32 v37, s42, v34
	v_cndmask_b32_e64 v32, v32, v39, s0
	v_subrev_nc_u32_e32 v39, s45, v38
	v_mul_lo_u32 v48, v40, s42
	v_mul_lo_u32 v50, v41, s42
	v_cndmask_b32_e32 v34, v34, v37, vcc_lo
	v_cmp_le_u32_e32 vcc_lo, s42, v44
	v_cndmask_b32_e64 v38, v38, v39, s0
	v_add_nc_u32_e32 v37, 1, v28
	v_add_nc_u32_e32 v39, 1, v32
	v_cmp_le_u32_e64 s1, s42, v34
	v_cndmask_b32_e32 v33, v33, v45, vcc_lo
	v_subrev_nc_u32_e32 v45, s42, v44
	v_sub_nc_u32_e32 v48, v17, v48
	v_cmp_le_u32_e64 s2, s45, v38
	v_add_nc_u32_e32 v49, 1, v40
	v_sub_nc_u32_e32 v50, v16, v50
	v_cndmask_b32_e32 v34, v44, v45, vcc_lo
	v_cndmask_b32_e64 v28, v28, v37, s1
	v_add_nc_u32_e32 v37, 1, v33
	v_cmp_le_u32_e32 vcc_lo, s42, v48
	v_subrev_nc_u32_e32 v44, s42, v48
	v_cndmask_b32_e64 v32, v32, v39, s2
	v_cmp_le_u32_e64 s2, s42, v34
	v_add_nc_u32_e32 v51, 1, v41
	v_cndmask_b32_e32 v40, v40, v49, vcc_lo
	v_cmp_le_u32_e64 s1, s42, v50
	v_subrev_nc_u32_e32 v45, s42, v50
	v_xor_b32_e32 v28, v28, v25
	v_cndmask_b32_e64 v33, v33, v37, s2
	v_cndmask_b32_e32 v34, v48, v44, vcc_lo
	v_mul_lo_u32 v46, v31, s45
	v_cndmask_b32_e64 v41, v41, v51, s1
	v_add_nc_u32_e32 v37, 1, v40
	v_cndmask_b32_e64 v38, v50, v45, s1
	v_sub_nc_u32_e32 v28, v28, v25
	v_xor_b32_e32 v25, v33, v26
	v_cmp_le_u32_e32 vcc_lo, s42, v34
	v_add_nc_u32_e32 v39, 1, v41
	v_mul_lo_u32 v52, v42, s45
	v_sub_nc_u32_e32 v46, v15, v46
	v_xor_b32_e32 v30, s50, v18
	v_cndmask_b32_e32 v33, v40, v37, vcc_lo
	v_cmp_le_u32_e32 vcc_lo, s42, v38
	v_sub_nc_u32_e32 v38, v25, v26
	v_mul_lo_u32 v37, v28, s3
	v_add_nc_u32_e32 v47, 1, v31
	v_cmp_le_u32_e64 s0, s45, v46
	v_cndmask_b32_e32 v34, v41, v39, vcc_lo
	v_mul_lo_u32 v39, v38, s3
	v_xor_b32_e32 v25, v33, v29
	v_sub_nc_u32_e32 v52, v17, v52
	v_cndmask_b32_e64 v31, v31, v47, s0
	v_xor_b32_e32 v34, v34, v30
	v_subrev_nc_u32_e32 v47, s45, v46
	v_sub_nc_u32_e32 v40, v25, v29
	v_sub_nc_u32_e32 v25, v12, v37
	;; [unrolled: 1-line block ×3, first 2 shown]
	v_add_nc_u32_e32 v53, 1, v42
	v_cmp_le_u32_e32 vcc_lo, s45, v52
	v_sub_nc_u32_e32 v34, v34, v30
	v_cndmask_b32_e64 v26, v46, v47, s0
	v_add_nc_u32_e32 v25, v0, v25
	v_add_nc_u32_e32 v39, v0, v39
	v_cndmask_b32_e32 v37, v42, v53, vcc_lo
	v_mul_lo_u32 v30, v40, s3
	v_mul_lo_u32 v42, v34, s3
	v_mul_lo_u32 v25, v25, s13
	v_cmp_le_u32_e64 s0, s45, v26
	v_mul_lo_u32 v26, v39, s13
	v_subrev_nc_u32_e32 v29, s45, v52
	v_xor_b32_e32 v32, v32, v27
	v_add_nc_u32_e32 v33, 1, v31
	v_sub_nc_u32_e32 v30, v13, v30
	v_mul_hi_u32 v43, v16, v5
	v_cndmask_b32_e32 v44, v52, v29, vcc_lo
	v_sub_nc_u32_e32 v29, v2, v42
	v_sub_nc_u32_e32 v39, v32, v27
	v_mad_u64_u32 v[27:28], null, v28, s12, v[25:26]
	v_add_nc_u32_e32 v30, v0, v30
	v_add_nc_u32_e32 v28, v0, v29
	v_cndmask_b32_e64 v33, v31, v33, s0
	v_mul_lo_u32 v54, v43, s45
	v_xor_b32_e32 v35, s51, v19
	v_mul_lo_u32 v25, v30, s13
	v_mad_u64_u32 v[29:30], null, v38, s12, v[26:27]
	v_mul_lo_u32 v26, v28, s13
	v_ashrrev_i32_e32 v28, 31, v27
	v_add_nc_u32_e32 v55, 1, v43
	v_sub_nc_u32_e32 v54, v16, v54
	v_add_nc_u32_e32 v42, 1, v37
	v_cmp_le_u32_e64 s0, s45, v44
	v_ashrrev_i32_e32 v30, 31, v29
	v_lshlrev_b64 v[27:28], 1, v[27:28]
	v_mad_u64_u32 v[31:32], null, v40, s12, v[25:26]
	v_xor_b32_e32 v40, v33, v35
	v_lshlrev_b64 v[29:30], 1, v[29:30]
	v_subrev_nc_u32_e32 v41, s45, v54
	v_mad_u64_u32 v[25:26], null, v34, s12, v[26:27]
	v_add_co_u32 v27, vcc_lo, s10, v27
	v_ashrrev_i32_e32 v32, 31, v31
	v_add_co_ci_u32_e64 v28, null, s11, v28, vcc_lo
	v_add_co_u32 v29, vcc_lo, s10, v29
	v_lshlrev_b64 v[31:32], 1, v[31:32]
	v_add_co_ci_u32_e64 v30, null, s11, v30, vcc_lo
	v_mul_lo_u32 v38, v39, s33
	v_xor_b32_e32 v36, s51, v20
	v_add_co_u32 v33, vcc_lo, s10, v31
	v_add_co_ci_u32_e64 v34, null, s11, v32, vcc_lo
	v_cmp_le_u32_e32 vcc_lo, s45, v54
	v_cndmask_b32_e64 v31, v37, v42, s0
	v_sub_nc_u32_e32 v37, v40, v35
	v_mul_hi_u32 v40, v11, v7
	v_xor_b32_e32 v42, s51, v18
	v_cndmask_b32_e32 v26, v43, v55, vcc_lo
	v_cndmask_b32_e32 v32, v54, v41, vcc_lo
	v_sub_nc_u32_e32 v38, v12, v38
	v_xor_b32_e32 v31, v31, v36
	v_mul_lo_u32 v41, v37, s33
	v_add_nc_u32_e32 v35, 1, v26
	v_cmp_le_u32_e32 vcc_lo, s45, v32
	v_sub_nc_u32_e32 v43, v31, v36
	v_add_nc_u32_e32 v31, v0, v38
	v_cndmask_b32_e32 v32, v26, v35, vcc_lo
	v_mul_lo_u32 v35, v40, s47
	v_mul_lo_u32 v36, v43, s33
	;; [unrolled: 1-line block ×3, first 2 shown]
	v_sub_nc_u32_e32 v38, v1, v41
	v_xor_b32_e32 v32, v32, v42
	v_ashrrev_i32_e32 v26, 31, v25
	v_add_nc_u32_e32 v38, v0, v38
	v_sub_nc_u32_e32 v44, v32, v42
	v_sub_nc_u32_e32 v32, v11, v35
	v_add_nc_u32_e32 v35, 1, v40
	v_sub_nc_u32_e32 v41, v13, v36
	v_lshlrev_b64 v[25:26], 1, v[25:26]
	v_mul_lo_u32 v42, v44, s33
	v_subrev_nc_u32_e32 v45, s47, v32
	v_cmp_le_u32_e32 vcc_lo, s47, v32
	v_cndmask_b32_e32 v40, v40, v35, vcc_lo
	v_mad_u64_u32 v[35:36], null, v39, s16, v[31:32]
	v_cndmask_b32_e32 v32, v32, v45, vcc_lo
	v_mul_lo_u32 v31, v38, s17
	v_add_nc_u32_e32 v36, 1, v40
	v_add_nc_u32_e32 v38, v0, v41
	v_xor_b32_e32 v41, s53, v10
	v_cmp_le_u32_e32 vcc_lo, s47, v32
	v_sub_nc_u32_e32 v39, v2, v42
	v_mul_lo_u32 v32, v38, s17
	v_cndmask_b32_e32 v36, v40, v36, vcc_lo
	v_add_co_u32 v25, vcc_lo, s10, v25
	v_add_co_ci_u32_e64 v26, null, s11, v26, vcc_lo
	v_xor_b32_e32 v40, v36, v41
	v_add_nc_u32_e32 v42, v0, v39
	v_mad_u64_u32 v[37:38], null, v37, s16, v[31:32]
	v_ashrrev_i32_e32 v36, 31, v35
	v_sub_nc_u32_e32 v45, v40, v41
	v_mad_u64_u32 v[39:40], null, v43, s16, v[32:33]
	s_clause 0x3
	global_load_ushort v32, v[27:28], off
	global_load_ushort v29, v[29:30], off
	;; [unrolled: 1-line block ×4, first 2 shown]
	v_mul_lo_u32 v31, v42, s17
	v_mad_u64_u32 v[41:42], null, s58, v45, v[0:1]
	v_ashrrev_i32_e32 v38, 31, v37
	v_lshlrev_b64 v[26:27], 1, v[35:36]
	v_ashrrev_i32_e32 v40, 31, v39
	v_lshlrev_b64 v[35:36], 1, v[37:38]
	v_mul_lo_u32 v28, v41, s23
	v_lshlrev_b64 v[39:40], 1, v[39:40]
	v_add_co_u32 v26, vcc_lo, s14, v26
	v_add_co_ci_u32_e64 v27, null, s15, v27, vcc_lo
	v_add_co_u32 v35, vcc_lo, s14, v35
	v_add_co_ci_u32_e64 v36, null, s15, v36, vcc_lo
	;; [unrolled: 2-line block ×3, first 2 shown]
	s_waitcnt vmcnt(3)
	v_mad_u64_u32 v[30:31], null, v44, s16, v[31:32]
	s_waitcnt vmcnt(2)
	v_mad_u64_u32 v[37:38], null, v45, s22, v[28:29]
	v_mov_b32_e32 v28, 0
	v_ashrrev_i32_e32 v31, 31, v30
	v_ashrrev_i32_e32 v38, 31, v37
	v_lshlrev_b64 v[30:31], 1, v[30:31]
	v_lshlrev_b64 v[37:38], 1, v[37:38]
	v_add_co_u32 v41, vcc_lo, s14, v30
	v_add_co_ci_u32_e64 v42, null, s15, v31, vcc_lo
	v_add_co_u32 v37, vcc_lo, s20, v37
	v_add_co_ci_u32_e64 v38, null, s21, v38, vcc_lo
	s_clause 0x3
	global_load_ushort v33, v[26:27], off
	global_load_ushort v31, v[35:36], off
	;; [unrolled: 1-line block ×5, first 2 shown]
	v_mov_b32_e32 v40, 0
	v_mov_b32_e32 v36, 0
	;; [unrolled: 1-line block ×7, first 2 shown]
	s_andn2_b32 vcc_lo, exec_lo, s39
	s_cbranch_vccnz .LBB9_5
; %bb.4:                                ;   in Loop: Header=BB9_3 Depth=1
	v_sub_nc_u32_e32 v22, v22, v23
	v_mad_u64_u32 v[36:37], null, s57, v24, v[0:1]
	v_mul_lo_u32 v23, s8, v22
	v_add_nc_u32_e32 v24, 2, v22
	v_add_nc_u32_e32 v28, 3, v22
	v_mul_lo_u32 v22, v36, s36
	v_mul_lo_u32 v36, v36, s37
	v_mad_u64_u32 v[38:39], null, s8, v24, v[0:1]
	v_add3_u32 v24, v23, s8, v0
	v_mad_u64_u32 v[39:40], null, s8, v28, v[0:1]
	v_ashrrev_i32_e32 v23, 31, v22
	v_mul_lo_u32 v40, v24, s36
	v_mul_lo_u32 v42, v38, s36
	v_ashrrev_i32_e32 v37, 31, v36
	v_mul_lo_u32 v46, v24, s37
	v_lshlrev_b64 v[22:23], 1, v[22:23]
	v_mul_lo_u32 v44, v39, s36
	v_mul_lo_u32 v38, v38, s37
	v_lshlrev_b64 v[36:37], 1, v[36:37]
	v_ashrrev_i32_e32 v41, 31, v40
	v_ashrrev_i32_e32 v43, 31, v42
	v_add_co_u32 v22, vcc_lo, s6, v22
	v_add_co_ci_u32_e64 v23, null, s7, v23, vcc_lo
	v_lshlrev_b64 v[40:41], 1, v[40:41]
	v_lshlrev_b64 v[42:43], 1, v[42:43]
	v_ashrrev_i32_e32 v45, 31, v44
	v_ashrrev_i32_e32 v47, 31, v46
	v_add_co_u32 v40, vcc_lo, s6, v40
	v_add_co_ci_u32_e64 v41, null, s7, v41, vcc_lo
	v_add_co_u32 v42, vcc_lo, s6, v42
	s_clause 0x1
	global_load_ushort v24, v[22:23], off
	global_load_ushort v28, v[40:41], off
	v_mul_lo_u32 v40, v39, s37
	v_add_co_ci_u32_e64 v43, null, s7, v43, vcc_lo
	v_add_co_u32 v22, vcc_lo, s18, v36
	v_add_co_ci_u32_e64 v23, null, s19, v37, vcc_lo
	v_ashrrev_i32_e32 v39, 31, v38
	v_lshlrev_b64 v[44:45], 1, v[44:45]
	v_ashrrev_i32_e32 v41, 31, v40
	v_lshlrev_b64 v[36:37], 1, v[46:47]
	global_load_ushort v30, v[22:23], off
	v_lshlrev_b64 v[22:23], 1, v[38:39]
	v_add_co_u32 v44, vcc_lo, s6, v44
	v_lshlrev_b64 v[38:39], 1, v[40:41]
	v_add_co_ci_u32_e64 v45, null, s7, v45, vcc_lo
	v_add_co_u32 v36, vcc_lo, s18, v36
	v_add_co_ci_u32_e64 v37, null, s19, v37, vcc_lo
	v_add_co_u32 v22, vcc_lo, s18, v22
	;; [unrolled: 2-line block ×3, first 2 shown]
	v_add_co_ci_u32_e64 v39, null, s19, v39, vcc_lo
	global_load_ushort v36, v[36:37], off
	global_load_ushort v40, v[42:43], off
	;; [unrolled: 1-line block ×5, first 2 shown]
	s_waitcnt vmcnt(7)
	v_cvt_f32_f16_e32 v39, v24
	s_waitcnt vmcnt(6)
	v_cvt_f32_f16_e32 v38, v28
	;; [unrolled: 2-line block ×8, first 2 shown]
.LBB9_5:                                ;   in Loop: Header=BB9_3 Depth=1
	s_waitcnt vmcnt(6)
	v_cvt_f32_f16_e32 v22, v34
	s_waitcnt vmcnt(2)
	v_cvt_f32_f16_e32 v23, v35
                                        ; implicit-def: $vgpr24
	v_add_f32_e32 v22, v22, v23
	v_add_f32_e32 v22, v22, v41
	;; [unrolled: 1-line block ×3, first 2 shown]
	v_cmp_ngt_f32_e64 s0, 0x3f200000, |v22|
	s_and_saveexec_b32 s1, s0
	s_xor_b32 s0, exec_lo, s1
	s_cbranch_execz .LBB9_7
; %bb.6:                                ;   in Loop: Header=BB9_3 Depth=1
	v_add_f32_e64 v23, |v22|, |v22|
	v_mul_f32_e32 v24, 0x3fb8aa3b, v23
	v_cmp_ngt_f32_e32 vcc_lo, 0xc2ce8ed0, v23
	v_rndne_f32_e32 v34, v24
	v_fma_f32 v35, 0x3fb8aa3b, v23, -v24
	v_sub_f32_e32 v24, v24, v34
	v_fmac_f32_e32 v35, 0x32a5705f, v23
	v_cvt_i32_f32_e32 v34, v34
	v_add_f32_e32 v24, v24, v35
	v_exp_f32_e32 v24, v24
	v_ldexp_f32 v24, v24, v34
	v_cndmask_b32_e32 v24, 0, v24, vcc_lo
	v_cmp_nlt_f32_e32 vcc_lo, 0x42b17218, v23
	v_cndmask_b32_e32 v23, 0x7f800000, v24, vcc_lo
	v_add_f32_e32 v23, 1.0, v23
	v_rcp_f32_e32 v23, v23
	v_fma_f32 v24, v23, -2.0, 1.0
.LBB9_7:                                ;   in Loop: Header=BB9_3 Depth=1
	s_andn2_saveexec_b32 s0, s0
	s_cbranch_execz .LBB9_9
; %bb.8:                                ;   in Loop: Header=BB9_3 Depth=1
	v_mul_f32_e32 v23, v22, v22
	v_fmaak_f32 v24, s61, v23, 0x3ca908c9
	v_fmaak_f32 v24, v23, v24, 0xbd5c1c4e
	;; [unrolled: 1-line block ×4, first 2 shown]
	v_mul_f32_e64 v24, |v22|, v24
	v_fma_f32 v24, v23, v24, |v22|
.LBB9_9:                                ;   in Loop: Header=BB9_3 Depth=1
	s_or_b32 exec_lo, exec_lo, s0
	v_cvt_f32_f16_e32 v23, v32
	v_cvt_f32_f16_e32 v32, v33
	;; [unrolled: 1-line block ×4, first 2 shown]
	v_bfi_b32 v22, 0x7fffffff, v24, v22
	v_add_f32_e32 v23, v23, v32
	v_add_f32_e32 v29, v29, v31
	;; [unrolled: 1-line block ×6, first 2 shown]
	v_mul_f32_e32 v31, 0xbfb8aa3b, v23
	v_cmp_nlt_f32_e32 vcc_lo, 0x42ce8ed0, v23
	v_mul_f32_e32 v32, 0xbfb8aa3b, v29
	v_fma_f32 v33, 0xbfb8aa3b, v23, -v31
	v_rndne_f32_e32 v34, v31
	v_fma_f32 v35, 0xbfb8aa3b, v29, -v32
	v_rndne_f32_e32 v36, v32
	v_fmac_f32_e32 v33, 0xb2a5705f, v23
	v_sub_f32_e32 v31, v31, v34
	v_fmac_f32_e32 v35, 0xb2a5705f, v29
	v_sub_f32_e32 v32, v32, v36
	v_add_f32_e32 v31, v31, v33
	v_cvt_i32_f32_e32 v33, v34
	v_add_f32_e32 v32, v32, v35
	v_cvt_i32_f32_e32 v34, v36
	v_exp_f32_e32 v31, v31
	v_exp_f32_e32 v32, v32
	v_ldexp_f32 v31, v31, v33
	v_ldexp_f32 v32, v32, v34
	v_cndmask_b32_e32 v31, 0, v31, vcc_lo
	v_cmp_nlt_f32_e32 vcc_lo, 0x42ce8ed0, v29
	v_cndmask_b32_e32 v32, 0, v32, vcc_lo
	v_cmp_ngt_f32_e32 vcc_lo, 0xc2b17218, v23
	v_cndmask_b32_e32 v23, 0x7f800000, v31, vcc_lo
	v_cmp_ngt_f32_e32 vcc_lo, 0xc2b17218, v29
	v_add_f32_e32 v23, 1.0, v23
	v_cndmask_b32_e32 v29, 0x7f800000, v32, vcc_lo
	v_div_scale_f32 v31, null, v23, v23, 1.0
	v_add_f32_e32 v29, 1.0, v29
	v_div_scale_f32 v37, vcc_lo, 1.0, v23, 1.0
	v_rcp_f32_e32 v33, v31
	v_div_scale_f32 v32, null, v29, v29, 1.0
	v_rcp_f32_e32 v34, v32
	v_fma_f32 v35, -v31, v33, 1.0
	v_fmac_f32_e32 v33, v35, v33
	v_div_scale_f32 v35, s0, 1.0, v29, 1.0
	v_fma_f32 v36, -v32, v34, 1.0
	v_fmac_f32_e32 v34, v36, v34
	v_mul_f32_e32 v36, v37, v33
	v_mul_f32_e32 v38, v35, v34
	v_fma_f32 v39, -v31, v36, v37
	v_fma_f32 v40, -v32, v38, v35
	v_fmac_f32_e32 v36, v39, v33
	v_fmac_f32_e32 v38, v40, v34
	v_fma_f32 v31, -v31, v36, v37
	v_fma_f32 v32, -v32, v38, v35
	v_div_fmas_f32 v31, v31, v33, v36
	s_mov_b32 vcc_lo, s0
	v_div_fmas_f32 v32, v32, v34, v38
	v_div_fixup_f32 v23, v31, v23, 1.0
	v_div_fixup_f32 v24, v32, v29, 1.0
	v_mul_f32_e32 v29, v23, v22
	s_waitcnt vmcnt(0)
	v_fma_mix_f32 v26, v24, v26, v29 op_sel_hi:[0,1,0]
                                        ; implicit-def: $vgpr29
	v_cmp_ngt_f32_e64 s0, 0x3f200000, |v26|
	s_and_saveexec_b32 s1, s0
	s_xor_b32 s0, exec_lo, s1
	s_cbranch_execz .LBB9_11
; %bb.10:                               ;   in Loop: Header=BB9_3 Depth=1
	v_add_f32_e64 v29, |v26|, |v26|
	v_mul_f32_e32 v31, 0x3fb8aa3b, v29
	v_cmp_ngt_f32_e32 vcc_lo, 0xc2ce8ed0, v29
	v_rndne_f32_e32 v32, v31
	v_fma_f32 v33, 0x3fb8aa3b, v29, -v31
	v_sub_f32_e32 v31, v31, v32
	v_fmac_f32_e32 v33, 0x32a5705f, v29
	v_cvt_i32_f32_e32 v32, v32
	v_add_f32_e32 v31, v31, v33
	v_exp_f32_e32 v31, v31
	v_ldexp_f32 v31, v31, v32
	v_cndmask_b32_e32 v31, 0, v31, vcc_lo
	v_cmp_nlt_f32_e32 vcc_lo, 0x42b17218, v29
	v_cndmask_b32_e32 v29, 0x7f800000, v31, vcc_lo
	v_add_f32_e32 v29, 1.0, v29
	v_rcp_f32_e32 v29, v29
	v_fma_f32 v29, v29, -2.0, 1.0
.LBB9_11:                               ;   in Loop: Header=BB9_3 Depth=1
	s_andn2_saveexec_b32 s0, s0
	s_cbranch_execz .LBB9_2
; %bb.12:                               ;   in Loop: Header=BB9_3 Depth=1
	v_mul_f32_e32 v29, v26, v26
	v_fmaak_f32 v31, s61, v29, 0x3ca908c9
	v_fmaak_f32 v31, v29, v31, 0xbd5c1c4e
	v_fmaak_f32 v31, v29, v31, 0x3e088382
	v_fmaak_f32 v31, v29, v31, 0xbeaaaa99
	v_mul_f32_e64 v31, |v26|, v31
	v_fma_f32 v29, v29, v31, |v26|
	s_branch .LBB9_2
.LBB9_13:
	s_endpgm
	.section	.rodata,"a",@progbits
	.p2align	6, 0x0
	.amdhsa_kernel _ZN2at6native12_GLOBAL__N_16kernel17lstm_cell_forwardIN3c104HalfEfiLi2EEEvNS_4cuda6detail10TensorInfoIT_T1_EESB_SB_SB_SB_SB_SB_SB_SA_SA_
		.amdhsa_group_segment_fixed_size 0
		.amdhsa_private_segment_fixed_size 0
		.amdhsa_kernarg_size 1992
		.amdhsa_user_sgpr_count 6
		.amdhsa_user_sgpr_private_segment_buffer 1
		.amdhsa_user_sgpr_dispatch_ptr 0
		.amdhsa_user_sgpr_queue_ptr 0
		.amdhsa_user_sgpr_kernarg_segment_ptr 1
		.amdhsa_user_sgpr_dispatch_id 0
		.amdhsa_user_sgpr_flat_scratch_init 0
		.amdhsa_user_sgpr_private_segment_size 0
		.amdhsa_wavefront_size32 1
		.amdhsa_uses_dynamic_stack 0
		.amdhsa_system_sgpr_private_segment_wavefront_offset 0
		.amdhsa_system_sgpr_workgroup_id_x 1
		.amdhsa_system_sgpr_workgroup_id_y 0
		.amdhsa_system_sgpr_workgroup_id_z 0
		.amdhsa_system_sgpr_workgroup_info 0
		.amdhsa_system_vgpr_workitem_id 0
		.amdhsa_next_free_vgpr 56
		.amdhsa_next_free_sgpr 62
		.amdhsa_reserve_vcc 1
		.amdhsa_reserve_flat_scratch 0
		.amdhsa_float_round_mode_32 0
		.amdhsa_float_round_mode_16_64 0
		.amdhsa_float_denorm_mode_32 3
		.amdhsa_float_denorm_mode_16_64 3
		.amdhsa_dx10_clamp 1
		.amdhsa_ieee_mode 1
		.amdhsa_fp16_overflow 0
		.amdhsa_workgroup_processor_mode 1
		.amdhsa_memory_ordered 1
		.amdhsa_forward_progress 1
		.amdhsa_shared_vgpr_count 0
		.amdhsa_exception_fp_ieee_invalid_op 0
		.amdhsa_exception_fp_denorm_src 0
		.amdhsa_exception_fp_ieee_div_zero 0
		.amdhsa_exception_fp_ieee_overflow 0
		.amdhsa_exception_fp_ieee_underflow 0
		.amdhsa_exception_fp_ieee_inexact 0
		.amdhsa_exception_int_div_zero 0
	.end_amdhsa_kernel
	.section	.text._ZN2at6native12_GLOBAL__N_16kernel17lstm_cell_forwardIN3c104HalfEfiLi2EEEvNS_4cuda6detail10TensorInfoIT_T1_EESB_SB_SB_SB_SB_SB_SB_SA_SA_,"axG",@progbits,_ZN2at6native12_GLOBAL__N_16kernel17lstm_cell_forwardIN3c104HalfEfiLi2EEEvNS_4cuda6detail10TensorInfoIT_T1_EESB_SB_SB_SB_SB_SB_SB_SA_SA_,comdat
.Lfunc_end9:
	.size	_ZN2at6native12_GLOBAL__N_16kernel17lstm_cell_forwardIN3c104HalfEfiLi2EEEvNS_4cuda6detail10TensorInfoIT_T1_EESB_SB_SB_SB_SB_SB_SB_SA_SA_, .Lfunc_end9-_ZN2at6native12_GLOBAL__N_16kernel17lstm_cell_forwardIN3c104HalfEfiLi2EEEvNS_4cuda6detail10TensorInfoIT_T1_EESB_SB_SB_SB_SB_SB_SB_SA_SA_
                                        ; -- End function
	.set _ZN2at6native12_GLOBAL__N_16kernel17lstm_cell_forwardIN3c104HalfEfiLi2EEEvNS_4cuda6detail10TensorInfoIT_T1_EESB_SB_SB_SB_SB_SB_SB_SA_SA_.num_vgpr, 56
	.set _ZN2at6native12_GLOBAL__N_16kernel17lstm_cell_forwardIN3c104HalfEfiLi2EEEvNS_4cuda6detail10TensorInfoIT_T1_EESB_SB_SB_SB_SB_SB_SB_SA_SA_.num_agpr, 0
	.set _ZN2at6native12_GLOBAL__N_16kernel17lstm_cell_forwardIN3c104HalfEfiLi2EEEvNS_4cuda6detail10TensorInfoIT_T1_EESB_SB_SB_SB_SB_SB_SB_SA_SA_.numbered_sgpr, 62
	.set _ZN2at6native12_GLOBAL__N_16kernel17lstm_cell_forwardIN3c104HalfEfiLi2EEEvNS_4cuda6detail10TensorInfoIT_T1_EESB_SB_SB_SB_SB_SB_SB_SA_SA_.num_named_barrier, 0
	.set _ZN2at6native12_GLOBAL__N_16kernel17lstm_cell_forwardIN3c104HalfEfiLi2EEEvNS_4cuda6detail10TensorInfoIT_T1_EESB_SB_SB_SB_SB_SB_SB_SA_SA_.private_seg_size, 0
	.set _ZN2at6native12_GLOBAL__N_16kernel17lstm_cell_forwardIN3c104HalfEfiLi2EEEvNS_4cuda6detail10TensorInfoIT_T1_EESB_SB_SB_SB_SB_SB_SB_SA_SA_.uses_vcc, 1
	.set _ZN2at6native12_GLOBAL__N_16kernel17lstm_cell_forwardIN3c104HalfEfiLi2EEEvNS_4cuda6detail10TensorInfoIT_T1_EESB_SB_SB_SB_SB_SB_SB_SA_SA_.uses_flat_scratch, 0
	.set _ZN2at6native12_GLOBAL__N_16kernel17lstm_cell_forwardIN3c104HalfEfiLi2EEEvNS_4cuda6detail10TensorInfoIT_T1_EESB_SB_SB_SB_SB_SB_SB_SA_SA_.has_dyn_sized_stack, 0
	.set _ZN2at6native12_GLOBAL__N_16kernel17lstm_cell_forwardIN3c104HalfEfiLi2EEEvNS_4cuda6detail10TensorInfoIT_T1_EESB_SB_SB_SB_SB_SB_SB_SA_SA_.has_recursion, 0
	.set _ZN2at6native12_GLOBAL__N_16kernel17lstm_cell_forwardIN3c104HalfEfiLi2EEEvNS_4cuda6detail10TensorInfoIT_T1_EESB_SB_SB_SB_SB_SB_SB_SA_SA_.has_indirect_call, 0
	.section	.AMDGPU.csdata,"",@progbits
; Kernel info:
; codeLenInByte = 4596
; TotalNumSgprs: 64
; NumVgprs: 56
; ScratchSize: 0
; MemoryBound: 0
; FloatMode: 240
; IeeeMode: 1
; LDSByteSize: 0 bytes/workgroup (compile time only)
; SGPRBlocks: 0
; VGPRBlocks: 6
; NumSGPRsForWavesPerEU: 64
; NumVGPRsForWavesPerEU: 56
; Occupancy: 16
; WaveLimiterHint : 1
; COMPUTE_PGM_RSRC2:SCRATCH_EN: 0
; COMPUTE_PGM_RSRC2:USER_SGPR: 6
; COMPUTE_PGM_RSRC2:TRAP_HANDLER: 0
; COMPUTE_PGM_RSRC2:TGID_X_EN: 1
; COMPUTE_PGM_RSRC2:TGID_Y_EN: 0
; COMPUTE_PGM_RSRC2:TGID_Z_EN: 0
; COMPUTE_PGM_RSRC2:TIDIG_COMP_CNT: 0
	.section	.text._ZN2at6native12_GLOBAL__N_16kernel17lstm_cell_forwardIN3c104HalfEflLi1EEEvNS_4cuda6detail10TensorInfoIT_T1_EESB_SB_SB_SB_SB_SB_SB_SA_SA_,"axG",@progbits,_ZN2at6native12_GLOBAL__N_16kernel17lstm_cell_forwardIN3c104HalfEflLi1EEEvNS_4cuda6detail10TensorInfoIT_T1_EESB_SB_SB_SB_SB_SB_SB_SA_SA_,comdat
	.globl	_ZN2at6native12_GLOBAL__N_16kernel17lstm_cell_forwardIN3c104HalfEflLi1EEEvNS_4cuda6detail10TensorInfoIT_T1_EESB_SB_SB_SB_SB_SB_SB_SA_SA_ ; -- Begin function _ZN2at6native12_GLOBAL__N_16kernel17lstm_cell_forwardIN3c104HalfEflLi1EEEvNS_4cuda6detail10TensorInfoIT_T1_EESB_SB_SB_SB_SB_SB_SB_SA_SA_
	.p2align	8
	.type	_ZN2at6native12_GLOBAL__N_16kernel17lstm_cell_forwardIN3c104HalfEflLi1EEEvNS_4cuda6detail10TensorInfoIT_T1_EESB_SB_SB_SB_SB_SB_SB_SA_SA_,@function
_ZN2at6native12_GLOBAL__N_16kernel17lstm_cell_forwardIN3c104HalfEflLi1EEEvNS_4cuda6detail10TensorInfoIT_T1_EESB_SB_SB_SB_SB_SB_SB_SA_SA_: ; @_ZN2at6native12_GLOBAL__N_16kernel17lstm_cell_forwardIN3c104HalfEflLi1EEEvNS_4cuda6detail10TensorInfoIT_T1_EESB_SB_SB_SB_SB_SB_SB_SA_SA_
; %bb.0:
	s_clause 0x1
	s_load_dword s2, s[4:5], 0xd1c
	s_load_dwordx4 s[8:11], s[4:5], 0xd00
	v_mov_b32_e32 v1, 0
	s_add_u32 s0, s4, 0xd10
	s_addc_u32 s1, s5, 0
	s_waitcnt lgkmcnt(0)
	s_and_b32 s26, s2, 0xffff
	s_mov_b32 s2, exec_lo
	v_mad_u64_u32 v[3:4], null, s6, s26, v[0:1]
	v_mov_b32_e32 v4, v1
	v_cmpx_gt_i64_e64 s[10:11], v[3:4]
	s_cbranch_execz .LBB10_18
; %bb.1:
	s_clause 0x4
	s_load_dwordx2 s[28:29], s[4:5], 0x750
	s_load_dwordx2 s[2:3], s[4:5], 0x340
	;; [unrolled: 1-line block ×5, first 2 shown]
	s_load_dword s27, s[0:1], 0x0
	s_clause 0xa
	s_load_dwordx2 s[6:7], s[4:5], 0x0
	s_load_dwordx2 s[12:13], s[4:5], 0xd0
	;; [unrolled: 1-line block ×11, first 2 shown]
	s_mul_i32 s40, s9, 3
	s_mul_hi_u32 s41, s8, 3
	s_mov_b32 s33, 0
	s_waitcnt lgkmcnt(0)
	v_mul_lo_u32 v0, 0, s28
	v_mul_lo_u32 v2, v3, s29
	v_mad_u64_u32 v[5:6], null, v3, s28, 0
	v_mul_lo_u32 v9, 0, s36
	v_mad_u64_u32 v[7:8], null, v3, s36, 0
	s_cmp_lg_u64 s[2:3], 0
	s_mul_i32 s38, s27, s26
	s_cselect_b32 s39, -1, 0
	v_add3_u32 v6, v6, v2, v0
	v_mul_lo_u32 v0, v3, s37
	s_add_i32 s40, s41, s40
	s_mul_i32 s26, s38, s29
	v_mul_lo_u32 v2, v3, s45
	v_lshlrev_b64 v[5:6], 1, v[5:6]
	s_mul_hi_u32 s27, s38, s28
	s_sub_u32 s42, 0, s8
	s_subb_u32 s43, 0, s9
	v_add3_u32 v8, v8, v0, v9
	v_mul_lo_u32 v0, 0, s44
	v_mad_u64_u32 v[9:10], null, v3, s44, 0
	v_add_co_u32 v5, vcc_lo, s30, v5
	v_lshlrev_b64 v[7:8], 1, v[7:8]
	v_add_co_ci_u32_e64 v6, null, s31, v6, vcc_lo
	s_add_i32 s27, s27, s26
	v_add3_u32 v10, v10, v2, v0
	s_mul_i32 s26, s38, s28
	v_add_co_u32 v7, vcc_lo, s34, v7
	v_add_co_ci_u32_e64 v8, null, s35, v8, vcc_lo
	v_lshlrev_b64 v[9:10], 1, v[9:10]
	s_mul_i32 s28, s38, s37
	s_mul_hi_u32 s29, s38, s36
	s_mul_i32 s30, s38, s45
	s_mul_hi_u32 s31, s38, s44
	s_add_i32 s29, s29, s28
	v_add_co_u32 v9, vcc_lo, s0, v9
	v_add_co_ci_u32_e64 v10, null, s1, v10, vcc_lo
	s_mul_i32 s28, s38, s36
	s_add_i32 s31, s31, s30
	s_mul_i32 s30, s38, s44
	s_mul_i32 s41, s8, 3
	s_lshl_b64 s[26:27], s[26:27], 1
	s_lshl_b64 s[28:29], s[28:29], 1
	;; [unrolled: 1-line block ×3, first 2 shown]
	s_ashr_i32 s34, s9, 31
	s_mov_b32 s44, 0xbbbac73d
	s_branch .LBB10_3
.LBB10_2:                               ;   in Loop: Header=BB10_3 Depth=1
	s_or_b32 exec_lo, exec_lo, s0
	v_cvt_f32_f16_e32 v16, v16
	v_cvt_f32_f16_e32 v20, v20
	v_mul_lo_u32 v27, v19, s4
	v_mul_lo_u32 v28, v14, s5
	;; [unrolled: 1-line block ×4, first 2 shown]
	v_add_f32_e32 v16, v16, v20
	v_mul_lo_u32 v0, v0, s4
	v_mul_lo_u32 v31, v12, s5
	;; [unrolled: 1-line block ×3, first 2 shown]
	v_bfi_b32 v25, 0x7fffffff, v25, v21
	v_add_f32_e32 v16, v16, v18
	v_add_co_u32 v3, s0, v3, s38
	v_cvt_f16_f32_e32 v21, v21
	v_add_co_ci_u32_e64 v4, null, 0, v4, s0
	v_add_f32_e32 v16, v17, v16
	v_cvt_f16_f32_e32 v23, v23
	v_add_co_u32 v5, s0, v5, s26
	v_add_co_ci_u32_e64 v6, null, s27, v6, s0
	v_mul_f32_e32 v17, 0xbfb8aa3b, v16
	v_cmp_nlt_f32_e32 vcc_lo, 0x42ce8ed0, v16
	v_cmp_le_i64_e64 s0, s[10:11], v[3:4]
	v_cvt_f16_f32_e32 v24, v24
	v_cvt_f16_f32_e32 v22, v22
	v_fma_f32 v18, 0xbfb8aa3b, v16, -v17
	v_rndne_f32_e32 v20, v17
	s_or_b32 s33, s0, s33
	v_fmac_f32_e32 v18, 0xb2a5705f, v16
	v_sub_f32_e32 v17, v17, v20
	v_add_f32_e32 v17, v17, v18
	v_cvt_i32_f32_e32 v18, v20
	v_mul_lo_u32 v20, v11, s5
	v_exp_f32_e32 v17, v17
	v_ldexp_f32 v17, v17, v18
	v_mad_u64_u32 v[18:19], null, v14, s4, 0
	v_mad_u64_u32 v[13:14], null, v15, s4, 0
	v_cndmask_b32_e32 v17, 0, v17, vcc_lo
	v_cmp_ngt_f32_e32 vcc_lo, 0xc2b17218, v16
	v_add3_u32 v19, v19, v28, v27
	v_cndmask_b32_e32 v16, 0x7f800000, v17, vcc_lo
	v_add3_u32 v14, v14, v33, v2
	v_add_f32_e32 v26, 1.0, v16
	v_mad_u64_u32 v[16:17], null, v11, s4, 0
	v_mad_u64_u32 v[11:12], null, v12, s4, 0
	v_div_scale_f32 v29, null, v26, v26, 1.0
	v_div_scale_f32 v34, vcc_lo, 1.0, v26, 1.0
	v_add3_u32 v17, v17, v20, v0
	v_rcp_f32_e32 v32, v29
	v_add3_u32 v12, v12, v31, v30
	v_lshlrev_b64 v[13:14], 1, v[13:14]
	v_lshlrev_b64 v[11:12], 1, v[11:12]
	v_fma_f32 v15, -v29, v32, 1.0
	v_fmac_f32_e32 v32, v15, v32
	v_mul_f32_e32 v35, v34, v32
	v_fma_f32 v15, -v29, v35, v34
	v_fmac_f32_e32 v35, v15, v32
	v_lshlrev_b64 v[15:16], 1, v[16:17]
	v_lshlrev_b64 v[17:18], 1, v[18:19]
	v_fma_f32 v0, -v29, v35, v34
	v_add_co_u32 v15, s1, s24, v15
	v_add_co_ci_u32_e64 v16, null, s25, v16, s1
	v_div_fmas_f32 v0, v0, v32, v35
	v_add_co_u32 v17, vcc_lo, s24, v17
	v_add_co_ci_u32_e64 v18, null, s25, v18, vcc_lo
	v_div_fixup_f32 v0, v0, v26, 1.0
	v_add_co_u32 v11, vcc_lo, s24, v11
	v_add_co_ci_u32_e64 v12, null, s25, v12, vcc_lo
	v_fma_mixlo_f16 v2, v0, v25, 0
	v_add_co_u32 v13, vcc_lo, s24, v13
	v_add_co_ci_u32_e64 v14, null, s25, v14, vcc_lo
	global_store_short v[7:8], v2, off
	global_store_short v[9:10], v21, off
	;; [unrolled: 1-line block ×3, first 2 shown]
	v_add_co_u32 v7, vcc_lo, v7, s28
	v_add_co_ci_u32_e64 v8, null, s29, v8, vcc_lo
	v_add_co_u32 v9, vcc_lo, v9, s30
	v_add_co_ci_u32_e64 v10, null, s31, v10, vcc_lo
	v_cvt_f16_f32_e32 v0, v0
	global_store_short v[17:18], v24, off
	global_store_short v[11:12], v22, off
	;; [unrolled: 1-line block ×3, first 2 shown]
	s_andn2_b32 exec_lo, exec_lo, s33
	s_cbranch_execz .LBB10_18
.LBB10_3:                               ; =>This Inner Loop Header: Depth=1
	v_or_b32_e32 v2, s9, v4
                                        ; implicit-def: $vgpr17_vgpr18
	s_mov_b32 s0, exec_lo
	v_cmpx_ne_u64_e32 0, v[1:2]
	s_xor_b32 s1, exec_lo, s0
	s_cbranch_execz .LBB10_5
; %bb.4:                                ;   in Loop: Header=BB10_3 Depth=1
	s_add_u32 s36, s8, s34
	s_mov_b32 s35, s34
	s_addc_u32 s37, s9, s34
	v_ashrrev_i32_e32 v17, 31, v4
	s_xor_b64 s[36:37], s[36:37], s[34:35]
	v_cvt_f32_u32_e32 v0, s36
	v_cvt_f32_u32_e32 v2, s37
	s_sub_u32 s0, 0, s36
	s_subb_u32 s46, 0, s37
	v_add_co_u32 v11, vcc_lo, v3, v17
	v_fmac_f32_e32 v0, 0x4f800000, v2
	v_rcp_f32_e32 v0, v0
	v_mul_f32_e32 v0, 0x5f7ffffc, v0
	v_mul_f32_e32 v2, 0x2f800000, v0
	v_trunc_f32_e32 v2, v2
	v_fmac_f32_e32 v0, 0xcf800000, v2
	v_cvt_u32_f32_e32 v2, v2
	v_cvt_u32_f32_e32 v0, v0
	v_readfirstlane_b32 s35, v2
	v_xor_b32_e32 v2, v11, v17
	v_readfirstlane_b32 s45, v0
	s_mul_i32 s47, s0, s35
	v_add_co_ci_u32_e64 v0, null, v4, v17, vcc_lo
	s_mul_hi_u32 s49, s0, s45
	s_mul_i32 s48, s46, s45
	s_add_i32 s47, s49, s47
	s_mul_i32 s50, s0, s45
	s_add_i32 s47, s47, s48
	s_mul_hi_u32 s49, s45, s50
	s_mul_i32 s52, s45, s47
	s_mul_hi_u32 s51, s35, s50
	s_mul_i32 s48, s35, s50
	s_mul_hi_u32 s50, s45, s47
	s_add_u32 s49, s49, s52
	s_addc_u32 s50, 0, s50
	s_mul_hi_u32 s53, s35, s47
	s_add_u32 s48, s49, s48
	s_mul_i32 s47, s35, s47
	s_addc_u32 s48, s50, s51
	s_addc_u32 s49, s53, 0
	s_add_u32 s47, s48, s47
	s_addc_u32 s48, 0, s49
	s_add_u32 s45, s45, s47
	s_cselect_b32 s47, -1, 0
	s_mul_hi_u32 s49, s0, s45
	s_cmp_lg_u32 s47, 0
	s_mul_i32 s47, s0, s45
	s_addc_u32 s35, s35, s48
	s_mul_i32 s46, s46, s45
	s_mul_i32 s0, s0, s35
	s_mul_hi_u32 s48, s45, s47
	s_add_i32 s0, s49, s0
	s_mul_hi_u32 s49, s35, s47
	s_add_i32 s0, s0, s46
	s_mul_i32 s46, s35, s47
	s_mul_i32 s51, s45, s0
	s_mul_hi_u32 s50, s45, s0
	s_add_u32 s48, s48, s51
	s_addc_u32 s50, 0, s50
	s_mul_hi_u32 s47, s35, s0
	s_add_u32 s46, s48, s46
	s_mul_i32 s0, s35, s0
	s_addc_u32 s46, s50, s49
	s_addc_u32 s47, s47, 0
	s_add_u32 s0, s46, s0
	s_addc_u32 s46, 0, s47
	s_add_u32 s0, s45, s0
	s_cselect_b32 s45, -1, 0
	v_xor_b32_e32 v0, v0, v17
	s_cmp_lg_u32 s45, 0
	v_mul_hi_u32 v18, v2, s0
	s_addc_u32 s35, s35, s46
	v_mad_u64_u32 v[11:12], null, v2, s35, 0
	v_mad_u64_u32 v[13:14], null, v0, s0, 0
	;; [unrolled: 1-line block ×3, first 2 shown]
	v_add_co_u32 v11, vcc_lo, v18, v11
	v_add_co_ci_u32_e64 v12, null, 0, v12, vcc_lo
	v_add_co_u32 v11, vcc_lo, v11, v13
	v_add_co_ci_u32_e32 v11, vcc_lo, v12, v14, vcc_lo
	v_add_co_ci_u32_e32 v12, vcc_lo, 0, v16, vcc_lo
	v_add_co_u32 v13, vcc_lo, v11, v15
	v_add_co_ci_u32_e64 v14, null, 0, v12, vcc_lo
	v_mul_lo_u32 v15, s37, v13
	v_mad_u64_u32 v[11:12], null, s36, v13, 0
	v_mul_lo_u32 v16, s36, v14
	v_sub_co_u32 v2, vcc_lo, v2, v11
	v_add3_u32 v12, v12, v16, v15
	v_sub_nc_u32_e32 v15, v0, v12
	v_sub_co_ci_u32_e64 v0, null, v0, v12, vcc_lo
	v_subrev_co_ci_u32_e64 v11, null, s37, v15, vcc_lo
	v_add_co_u32 v15, s0, v13, 2
	v_add_co_ci_u32_e64 v16, null, 0, v14, s0
	v_sub_co_u32 v18, s0, v2, s36
	v_subrev_co_ci_u32_e64 v11, null, 0, v11, s0
	v_cmp_le_u32_e32 vcc_lo, s36, v18
	v_cndmask_b32_e64 v12, 0, -1, vcc_lo
	v_cmp_le_u32_e32 vcc_lo, s37, v11
	v_cndmask_b32_e64 v18, 0, -1, vcc_lo
	;; [unrolled: 2-line block ×4, first 2 shown]
	v_cmp_eq_u32_e32 vcc_lo, s37, v11
	v_cndmask_b32_e32 v11, v18, v12, vcc_lo
	v_add_co_u32 v12, vcc_lo, v13, 1
	v_add_co_ci_u32_e64 v18, null, 0, v14, vcc_lo
	v_cmp_eq_u32_e32 vcc_lo, s37, v0
	v_cndmask_b32_e32 v0, v19, v2, vcc_lo
	v_cmp_ne_u32_e32 vcc_lo, 0, v11
	v_xor_b32_e32 v11, s34, v17
	v_cmp_ne_u32_e64 s0, 0, v0
	v_cndmask_b32_e32 v0, v12, v15, vcc_lo
	v_cndmask_b32_e32 v2, v18, v16, vcc_lo
	v_cndmask_b32_e64 v0, v13, v0, s0
	v_cndmask_b32_e64 v2, v14, v2, s0
	v_xor_b32_e32 v0, v0, v11
	v_xor_b32_e32 v2, v2, v11
	v_sub_co_u32 v17, vcc_lo, v0, v11
	v_sub_co_ci_u32_e64 v18, null, v2, v11, vcc_lo
.LBB10_5:                               ;   in Loop: Header=BB10_3 Depth=1
	s_andn2_saveexec_b32 s0, s1
	s_cbranch_execz .LBB10_7
; %bb.6:                                ;   in Loop: Header=BB10_3 Depth=1
	v_cvt_f32_u32_e32 v0, s8
	s_sub_i32 s1, 0, s8
	v_mov_b32_e32 v18, v1
	v_rcp_iflag_f32_e32 v0, v0
	v_mul_f32_e32 v0, 0x4f7ffffe, v0
	v_cvt_u32_f32_e32 v0, v0
	v_mul_lo_u32 v2, s1, v0
	v_mul_hi_u32 v2, v0, v2
	v_add_nc_u32_e32 v0, v0, v2
	v_mul_hi_u32 v0, v3, v0
	v_mul_lo_u32 v2, v0, s8
	v_add_nc_u32_e32 v11, 1, v0
	v_sub_nc_u32_e32 v2, v3, v2
	v_subrev_nc_u32_e32 v12, s8, v2
	v_cmp_le_u32_e32 vcc_lo, s8, v2
	v_cndmask_b32_e32 v2, v2, v12, vcc_lo
	v_cndmask_b32_e32 v0, v0, v11, vcc_lo
	v_cmp_le_u32_e32 vcc_lo, s8, v2
	v_add_nc_u32_e32 v11, 1, v0
	v_cndmask_b32_e32 v17, v0, v11, vcc_lo
.LBB10_7:                               ;   in Loop: Header=BB10_3 Depth=1
	s_or_b32 exec_lo, exec_lo, s0
	v_mad_u64_u32 v[19:20], null, v17, 3, 0
	v_mad_u64_u32 v[11:12], null, s41, v17, v[3:4]
	v_mul_lo_u32 v0, s41, v18
	v_mul_lo_u32 v13, s40, v17
	v_mov_b32_e32 v2, v20
	v_mul_lo_u32 v27, v11, s13
	v_add3_u32 v0, v13, v12, v0
	v_mad_u64_u32 v[20:21], null, v18, 3, v[2:3]
	v_add_co_u32 v12, vcc_lo, v19, 1
	v_add_co_u32 v13, s0, v19, 2
	v_mad_u64_u32 v[21:22], null, v11, s12, 0
	v_add_co_ci_u32_e64 v16, null, 0, v20, vcc_lo
	v_add_co_ci_u32_e64 v24, null, 0, v20, s0
	v_mul_lo_u32 v23, s9, v12
	v_mad_u64_u32 v[14:15], null, s8, v12, v[3:4]
	v_mul_lo_u32 v16, s8, v16
	v_mul_lo_u32 v25, s9, v13
	v_mad_u64_u32 v[12:13], null, s8, v13, v[3:4]
	v_mul_lo_u32 v26, s8, v24
	v_add_co_u32 v28, vcc_lo, v19, 3
	v_add_co_ci_u32_e64 v20, null, 0, v20, vcc_lo
	v_add3_u32 v19, v23, v15, v16
	v_mul_lo_u32 v2, v0, s12
	v_mul_lo_u32 v31, s9, v28
	v_add3_u32 v13, v25, v13, v26
	v_mul_lo_u32 v20, s8, v20
	v_mad_u64_u32 v[15:16], null, s8, v28, v[3:4]
	v_mul_lo_u32 v29, v14, s13
	v_mad_u64_u32 v[23:24], null, v14, s12, 0
	v_mul_lo_u32 v30, v19, s12
	v_mul_lo_u32 v28, v13, s12
	;; [unrolled: 1-line block ×3, first 2 shown]
	v_mad_u64_u32 v[25:26], null, v12, s12, 0
	v_add3_u32 v22, v22, v27, v2
	v_add3_u32 v2, v31, v16, v20
	v_mul_lo_u32 v35, v19, s16
	v_add3_u32 v24, v24, v29, v30
	v_mul_lo_u32 v29, v15, s13
	v_lshlrev_b64 v[20:21], 1, v[21:22]
	v_add3_u32 v26, v26, v32, v28
	v_mul_lo_u32 v16, v2, s12
	v_mad_u64_u32 v[27:28], null, v15, s12, 0
	v_lshlrev_b64 v[22:23], 1, v[23:24]
	v_lshlrev_b64 v[24:25], 1, v[25:26]
	v_add_co_u32 v20, vcc_lo, s6, v20
	v_add_co_ci_u32_e64 v21, null, s7, v21, vcc_lo
	v_add3_u32 v28, v28, v29, v16
	v_add_co_u32 v22, vcc_lo, s6, v22
	v_add_co_ci_u32_e64 v23, null, s7, v23, vcc_lo
	v_add_co_u32 v29, vcc_lo, s6, v24
	v_add_co_ci_u32_e64 v30, null, s7, v25, vcc_lo
	v_lshlrev_b64 v[24:25], 1, v[27:28]
	v_mul_lo_u32 v16, v11, s17
	v_mul_lo_u32 v28, v0, s16
	v_mad_u64_u32 v[26:27], null, v11, s16, 0
	v_mul_lo_u32 v36, v14, s17
	v_mad_u64_u32 v[31:32], null, v14, s16, 0
	v_add_co_u32 v33, vcc_lo, s6, v24
	v_add_co_ci_u32_e64 v34, null, s7, v25, vcc_lo
	v_add3_u32 v27, v27, v16, v28
	v_mul_lo_u32 v16, v13, s16
	v_mul_lo_u32 v28, v12, s17
	v_mad_u64_u32 v[24:25], null, v12, s16, 0
	v_add3_u32 v32, v32, v36, v35
	v_mul_lo_u32 v39, v2, s16
	v_mul_lo_u32 v40, v15, s17
	v_mad_u64_u32 v[35:36], null, v15, s16, 0
	v_lshlrev_b64 v[26:27], 1, v[26:27]
	v_lshlrev_b64 v[31:32], 1, v[31:32]
	v_add3_u32 v25, v25, v28, v16
	v_add3_u32 v36, v36, v40, v39
	v_add_co_u32 v37, vcc_lo, s14, v26
	v_add_co_ci_u32_e64 v38, null, s15, v27, vcc_lo
	v_lshlrev_b64 v[24:25], 1, v[24:25]
	v_add_co_u32 v27, vcc_lo, s14, v31
	v_add_co_ci_u32_e64 v28, null, s15, v32, vcc_lo
	v_lshlrev_b64 v[31:32], 1, v[35:36]
	v_add_co_u32 v35, vcc_lo, s14, v24
	v_add_co_ci_u32_e64 v36, null, s15, v25, vcc_lo
	v_add_co_u32 v31, vcc_lo, s14, v31
	v_add_co_ci_u32_e64 v32, null, s15, v32, vcc_lo
	s_clause 0x3
	global_load_ushort v24, v[20:21], off
	global_load_ushort v22, v[22:23], off
	;; [unrolled: 1-line block ×4, first 2 shown]
	s_clause 0x3
	global_load_ushort v25, v[37:38], off
	global_load_ushort v23, v[27:28], off
	;; [unrolled: 1-line block ×5, first 2 shown]
	s_andn2_b32 vcc_lo, exec_lo, s39
	s_cbranch_vccnz .LBB10_9
; %bb.8:                                ;   in Loop: Header=BB10_3 Depth=1
	v_mad_u64_u32 v[28:29], null, s42, v17, v[3:4]
	v_mul_lo_u32 v30, s42, v18
	v_mul_lo_u32 v31, s43, v17
	v_sub_co_u32 v32, vcc_lo, 1, v17
	v_sub_co_ci_u32_e64 v33, null, 0, v18, vcc_lo
	v_mul_lo_u32 v37, v28, s19
	v_mul_lo_u32 v34, s9, v32
	;; [unrolled: 1-line block ×3, first 2 shown]
	v_add3_u32 v38, v31, v29, v30
	v_mul_lo_u32 v33, s8, v33
	v_mad_u64_u32 v[29:30], null, s8, v32, v[3:4]
	v_mad_u64_u32 v[31:32], null, v28, s18, 0
	v_mul_lo_u32 v39, v38, s18
	v_mul_lo_u32 v46, v38, s22
	v_add3_u32 v40, v34, v30, v33
	v_sub_co_u32 v30, vcc_lo, 2, v17
	v_sub_co_ci_u32_e64 v35, null, 0, v18, vcc_lo
	v_mul_lo_u32 v41, v40, s18
	v_mul_lo_u32 v42, v29, s19
	v_mad_u64_u32 v[33:34], null, v29, s18, 0
	v_mul_lo_u32 v43, s8, v35
	v_mul_lo_u32 v44, s9, v30
	v_mad_u64_u32 v[35:36], null, s8, v30, v[3:4]
	v_add3_u32 v32, v32, v37, v39
	v_add3_u32 v34, v34, v42, v41
	;; [unrolled: 1-line block ×3, first 2 shown]
	v_sub_co_u32 v36, vcc_lo, 3, v17
	v_sub_co_ci_u32_e64 v37, null, 0, v18, vcc_lo
	v_lshlrev_b64 v[17:18], 1, v[31:32]
	v_lshlrev_b64 v[30:31], 1, v[33:34]
	v_mul_lo_u32 v42, s9, v36
	v_mul_lo_u32 v39, s8, v37
	v_mad_u64_u32 v[32:33], null, s8, v36, v[3:4]
	v_mul_lo_u32 v34, v41, s18
	v_mul_lo_u32 v43, v35, s19
	v_mad_u64_u32 v[36:37], null, v35, s18, 0
	v_add_co_u32 v17, vcc_lo, s2, v17
	v_add3_u32 v42, v42, v33, v39
	v_add_co_ci_u32_e64 v18, null, s3, v18, vcc_lo
	v_add_co_u32 v30, vcc_lo, s2, v30
	v_add3_u32 v37, v37, v43, v34
	v_mul_lo_u32 v43, v42, s18
	v_mul_lo_u32 v44, v32, s19
	v_mad_u64_u32 v[33:34], null, v32, s18, 0
	v_mad_u64_u32 v[38:39], null, v28, s22, 0
	v_add_co_ci_u32_e64 v31, null, s3, v31, vcc_lo
	s_clause 0x1
	global_load_ushort v47, v[17:18], off
	global_load_ushort v48, v[30:31], off
	v_lshlrev_b64 v[17:18], 1, v[36:37]
	v_mul_lo_u32 v36, v40, s22
	v_mul_lo_u32 v37, v29, s23
	v_mad_u64_u32 v[28:29], null, v29, s22, 0
	v_add3_u32 v34, v34, v44, v43
	v_add3_u32 v39, v39, v45, v46
	v_mul_lo_u32 v40, v35, s23
	v_add_co_u32 v17, vcc_lo, s2, v17
	v_lshlrev_b64 v[30:31], 1, v[33:34]
	v_lshlrev_b64 v[33:34], 1, v[38:39]
	v_add3_u32 v29, v29, v37, v36
	v_mul_lo_u32 v39, v41, s22
	v_mad_u64_u32 v[35:36], null, v35, s22, 0
	v_mul_lo_u32 v41, v42, s22
	v_mul_lo_u32 v42, v32, s23
	v_mad_u64_u32 v[37:38], null, v32, s22, 0
	v_add_co_ci_u32_e64 v18, null, s3, v18, vcc_lo
	v_add_co_u32 v33, vcc_lo, s20, v33
	v_add_co_ci_u32_e64 v34, null, s21, v34, vcc_lo
	v_add3_u32 v36, v36, v40, v39
	v_add3_u32 v38, v38, v42, v41
	v_lshlrev_b64 v[28:29], 1, v[28:29]
	global_load_ushort v39, v[33:34], off
	v_add_co_u32 v30, vcc_lo, s2, v30
	v_lshlrev_b64 v[32:33], 1, v[35:36]
	v_lshlrev_b64 v[34:35], 1, v[37:38]
	v_add_co_ci_u32_e64 v31, null, s3, v31, vcc_lo
	v_add_co_u32 v28, vcc_lo, s20, v28
	v_add_co_ci_u32_e64 v29, null, s21, v29, vcc_lo
	v_add_co_u32 v32, vcc_lo, s20, v32
	;; [unrolled: 2-line block ×3, first 2 shown]
	v_add_co_ci_u32_e64 v35, null, s21, v35, vcc_lo
	global_load_ushort v28, v[28:29], off
	global_load_ushort v17, v[17:18], off
	;; [unrolled: 1-line block ×5, first 2 shown]
	s_waitcnt vmcnt(7)
	v_cvt_f32_f16_e32 v31, v47
	s_waitcnt vmcnt(6)
	v_cvt_f32_f16_e32 v30, v48
	;; [unrolled: 2-line block ×8, first 2 shown]
	s_branch .LBB10_10
.LBB10_9:                               ;   in Loop: Header=BB10_3 Depth=1
	v_mov_b32_e32 v17, 0
	v_mov_b32_e32 v32, 0
	;; [unrolled: 1-line block ×8, first 2 shown]
.LBB10_10:                              ;   in Loop: Header=BB10_3 Depth=1
	s_waitcnt vmcnt(6)
	v_cvt_f32_f16_e32 v26, v26
	s_waitcnt vmcnt(2)
	v_cvt_f32_f16_e32 v27, v27
	v_add_f32_e32 v26, v26, v27
                                        ; implicit-def: $vgpr27
	v_add_f32_e32 v26, v26, v33
	v_add_f32_e32 v26, v32, v26
	v_cmp_ngt_f32_e64 s0, 0x3f200000, |v26|
	s_and_saveexec_b32 s1, s0
	s_xor_b32 s0, exec_lo, s1
	s_cbranch_execz .LBB10_12
; %bb.11:                               ;   in Loop: Header=BB10_3 Depth=1
	v_add_f32_e64 v27, |v26|, |v26|
	v_mul_f32_e32 v32, 0x3fb8aa3b, v27
	v_cmp_ngt_f32_e32 vcc_lo, 0xc2ce8ed0, v27
	v_rndne_f32_e32 v33, v32
	v_fma_f32 v34, 0x3fb8aa3b, v27, -v32
	v_sub_f32_e32 v32, v32, v33
	v_fmac_f32_e32 v34, 0x32a5705f, v27
	v_cvt_i32_f32_e32 v33, v33
	v_add_f32_e32 v32, v32, v34
	v_exp_f32_e32 v32, v32
	v_ldexp_f32 v32, v32, v33
	v_cndmask_b32_e32 v32, 0, v32, vcc_lo
	v_cmp_nlt_f32_e32 vcc_lo, 0x42b17218, v27
	v_cndmask_b32_e32 v27, 0x7f800000, v32, vcc_lo
	v_add_f32_e32 v27, 1.0, v27
	v_rcp_f32_e32 v27, v27
	v_fma_f32 v27, v27, -2.0, 1.0
.LBB10_12:                              ;   in Loop: Header=BB10_3 Depth=1
	s_andn2_saveexec_b32 s0, s0
	s_cbranch_execz .LBB10_14
; %bb.13:                               ;   in Loop: Header=BB10_3 Depth=1
	v_mul_f32_e32 v27, v26, v26
	v_fmaak_f32 v32, s44, v27, 0x3ca908c9
	v_fmaak_f32 v32, v27, v32, 0xbd5c1c4e
	;; [unrolled: 1-line block ×4, first 2 shown]
	v_mul_f32_e64 v32, |v26|, v32
	v_fma_f32 v27, v27, v32, |v26|
.LBB10_14:                              ;   in Loop: Header=BB10_3 Depth=1
	s_or_b32 exec_lo, exec_lo, s0
	v_cvt_f32_f16_e32 v24, v24
	v_cvt_f32_f16_e32 v25, v25
	;; [unrolled: 1-line block ×4, first 2 shown]
	v_add_f32_e32 v24, v24, v25
	v_add_f32_e32 v22, v22, v23
	;; [unrolled: 1-line block ×6, first 2 shown]
	v_mul_f32_e32 v24, 0xbfb8aa3b, v23
	v_cmp_nlt_f32_e32 vcc_lo, 0x42ce8ed0, v23
	v_mul_f32_e32 v25, 0xbfb8aa3b, v22
	v_fma_f32 v28, 0xbfb8aa3b, v23, -v24
	v_rndne_f32_e32 v29, v24
	v_fma_f32 v30, 0xbfb8aa3b, v22, -v25
	v_rndne_f32_e32 v31, v25
	v_fmac_f32_e32 v28, 0xb2a5705f, v23
	v_sub_f32_e32 v24, v24, v29
	v_fmac_f32_e32 v30, 0xb2a5705f, v22
	v_sub_f32_e32 v25, v25, v31
	v_add_f32_e32 v24, v24, v28
	v_cvt_i32_f32_e32 v28, v29
	v_add_f32_e32 v25, v25, v30
	v_cvt_i32_f32_e32 v29, v31
	v_exp_f32_e32 v24, v24
	v_exp_f32_e32 v25, v25
	v_ldexp_f32 v24, v24, v28
	v_ldexp_f32 v25, v25, v29
	v_cndmask_b32_e32 v24, 0, v24, vcc_lo
	v_cmp_nlt_f32_e32 vcc_lo, 0x42ce8ed0, v22
	v_cndmask_b32_e32 v25, 0, v25, vcc_lo
	v_cmp_ngt_f32_e32 vcc_lo, 0xc2b17218, v23
	v_cndmask_b32_e32 v23, 0x7f800000, v24, vcc_lo
	v_cmp_ngt_f32_e32 vcc_lo, 0xc2b17218, v22
	v_add_f32_e32 v23, 1.0, v23
	v_cndmask_b32_e32 v22, 0x7f800000, v25, vcc_lo
	v_div_scale_f32 v32, vcc_lo, 1.0, v23, 1.0
	v_add_f32_e32 v24, 1.0, v22
	v_div_scale_f32 v22, null, v23, v23, 1.0
	v_div_scale_f32 v25, null, v24, v24, 1.0
	v_rcp_f32_e32 v28, v22
	v_rcp_f32_e32 v29, v25
	v_fma_f32 v30, -v22, v28, 1.0
	v_fma_f32 v31, -v25, v29, 1.0
	v_fmac_f32_e32 v28, v30, v28
	v_div_scale_f32 v30, s0, 1.0, v24, 1.0
	v_fmac_f32_e32 v29, v31, v29
	v_mul_f32_e32 v31, v32, v28
	v_mul_f32_e32 v33, v30, v29
	v_fma_f32 v34, -v22, v31, v32
	v_fma_f32 v35, -v25, v33, v30
	v_fmac_f32_e32 v31, v34, v28
	v_fmac_f32_e32 v33, v35, v29
	v_fma_f32 v22, -v22, v31, v32
	v_fma_f32 v25, -v25, v33, v30
	v_div_fmas_f32 v22, v22, v28, v31
	s_mov_b32 vcc_lo, s0
	v_div_fmas_f32 v25, v25, v29, v33
	v_div_fixup_f32 v23, v22, v23, 1.0
	v_bfi_b32 v22, 0x7fffffff, v27, v26
	v_div_fixup_f32 v24, v25, v24, 1.0
	v_mul_f32_e32 v25, v23, v22
	s_waitcnt vmcnt(0)
	v_fma_mix_f32 v21, v24, v21, v25 op_sel_hi:[0,1,0]
                                        ; implicit-def: $vgpr25
	v_cmp_ngt_f32_e64 s0, 0x3f200000, |v21|
	s_and_saveexec_b32 s1, s0
	s_xor_b32 s0, exec_lo, s1
	s_cbranch_execz .LBB10_16
; %bb.15:                               ;   in Loop: Header=BB10_3 Depth=1
	v_add_f32_e64 v25, |v21|, |v21|
	v_mul_f32_e32 v26, 0x3fb8aa3b, v25
	v_cmp_ngt_f32_e32 vcc_lo, 0xc2ce8ed0, v25
	v_rndne_f32_e32 v27, v26
	v_fma_f32 v28, 0x3fb8aa3b, v25, -v26
	v_sub_f32_e32 v26, v26, v27
	v_fmac_f32_e32 v28, 0x32a5705f, v25
	v_cvt_i32_f32_e32 v27, v27
	v_add_f32_e32 v26, v26, v28
	v_exp_f32_e32 v26, v26
	v_ldexp_f32 v26, v26, v27
	v_cndmask_b32_e32 v26, 0, v26, vcc_lo
	v_cmp_nlt_f32_e32 vcc_lo, 0x42b17218, v25
	v_cndmask_b32_e32 v25, 0x7f800000, v26, vcc_lo
	v_add_f32_e32 v25, 1.0, v25
	v_rcp_f32_e32 v25, v25
	v_fma_f32 v25, v25, -2.0, 1.0
.LBB10_16:                              ;   in Loop: Header=BB10_3 Depth=1
	s_andn2_saveexec_b32 s0, s0
	s_cbranch_execz .LBB10_2
; %bb.17:                               ;   in Loop: Header=BB10_3 Depth=1
	v_mul_f32_e32 v25, v21, v21
	v_fmaak_f32 v26, s44, v25, 0x3ca908c9
	v_fmaak_f32 v26, v25, v26, 0xbd5c1c4e
	;; [unrolled: 1-line block ×4, first 2 shown]
	v_mul_f32_e64 v26, |v21|, v26
	v_fma_f32 v25, v25, v26, |v21|
	s_branch .LBB10_2
.LBB10_18:
	s_endpgm
	.section	.rodata,"a",@progbits
	.p2align	6, 0x0
	.amdhsa_kernel _ZN2at6native12_GLOBAL__N_16kernel17lstm_cell_forwardIN3c104HalfEflLi1EEEvNS_4cuda6detail10TensorInfoIT_T1_EESB_SB_SB_SB_SB_SB_SB_SA_SA_
		.amdhsa_group_segment_fixed_size 0
		.amdhsa_private_segment_fixed_size 0
		.amdhsa_kernarg_size 3600
		.amdhsa_user_sgpr_count 6
		.amdhsa_user_sgpr_private_segment_buffer 1
		.amdhsa_user_sgpr_dispatch_ptr 0
		.amdhsa_user_sgpr_queue_ptr 0
		.amdhsa_user_sgpr_kernarg_segment_ptr 1
		.amdhsa_user_sgpr_dispatch_id 0
		.amdhsa_user_sgpr_flat_scratch_init 0
		.amdhsa_user_sgpr_private_segment_size 0
		.amdhsa_wavefront_size32 1
		.amdhsa_uses_dynamic_stack 0
		.amdhsa_system_sgpr_private_segment_wavefront_offset 0
		.amdhsa_system_sgpr_workgroup_id_x 1
		.amdhsa_system_sgpr_workgroup_id_y 0
		.amdhsa_system_sgpr_workgroup_id_z 0
		.amdhsa_system_sgpr_workgroup_info 0
		.amdhsa_system_vgpr_workitem_id 0
		.amdhsa_next_free_vgpr 49
		.amdhsa_next_free_sgpr 54
		.amdhsa_reserve_vcc 1
		.amdhsa_reserve_flat_scratch 0
		.amdhsa_float_round_mode_32 0
		.amdhsa_float_round_mode_16_64 0
		.amdhsa_float_denorm_mode_32 3
		.amdhsa_float_denorm_mode_16_64 3
		.amdhsa_dx10_clamp 1
		.amdhsa_ieee_mode 1
		.amdhsa_fp16_overflow 0
		.amdhsa_workgroup_processor_mode 1
		.amdhsa_memory_ordered 1
		.amdhsa_forward_progress 1
		.amdhsa_shared_vgpr_count 0
		.amdhsa_exception_fp_ieee_invalid_op 0
		.amdhsa_exception_fp_denorm_src 0
		.amdhsa_exception_fp_ieee_div_zero 0
		.amdhsa_exception_fp_ieee_overflow 0
		.amdhsa_exception_fp_ieee_underflow 0
		.amdhsa_exception_fp_ieee_inexact 0
		.amdhsa_exception_int_div_zero 0
	.end_amdhsa_kernel
	.section	.text._ZN2at6native12_GLOBAL__N_16kernel17lstm_cell_forwardIN3c104HalfEflLi1EEEvNS_4cuda6detail10TensorInfoIT_T1_EESB_SB_SB_SB_SB_SB_SB_SA_SA_,"axG",@progbits,_ZN2at6native12_GLOBAL__N_16kernel17lstm_cell_forwardIN3c104HalfEflLi1EEEvNS_4cuda6detail10TensorInfoIT_T1_EESB_SB_SB_SB_SB_SB_SB_SA_SA_,comdat
.Lfunc_end10:
	.size	_ZN2at6native12_GLOBAL__N_16kernel17lstm_cell_forwardIN3c104HalfEflLi1EEEvNS_4cuda6detail10TensorInfoIT_T1_EESB_SB_SB_SB_SB_SB_SB_SA_SA_, .Lfunc_end10-_ZN2at6native12_GLOBAL__N_16kernel17lstm_cell_forwardIN3c104HalfEflLi1EEEvNS_4cuda6detail10TensorInfoIT_T1_EESB_SB_SB_SB_SB_SB_SB_SA_SA_
                                        ; -- End function
	.set _ZN2at6native12_GLOBAL__N_16kernel17lstm_cell_forwardIN3c104HalfEflLi1EEEvNS_4cuda6detail10TensorInfoIT_T1_EESB_SB_SB_SB_SB_SB_SB_SA_SA_.num_vgpr, 49
	.set _ZN2at6native12_GLOBAL__N_16kernel17lstm_cell_forwardIN3c104HalfEflLi1EEEvNS_4cuda6detail10TensorInfoIT_T1_EESB_SB_SB_SB_SB_SB_SB_SA_SA_.num_agpr, 0
	.set _ZN2at6native12_GLOBAL__N_16kernel17lstm_cell_forwardIN3c104HalfEflLi1EEEvNS_4cuda6detail10TensorInfoIT_T1_EESB_SB_SB_SB_SB_SB_SB_SA_SA_.numbered_sgpr, 54
	.set _ZN2at6native12_GLOBAL__N_16kernel17lstm_cell_forwardIN3c104HalfEflLi1EEEvNS_4cuda6detail10TensorInfoIT_T1_EESB_SB_SB_SB_SB_SB_SB_SA_SA_.num_named_barrier, 0
	.set _ZN2at6native12_GLOBAL__N_16kernel17lstm_cell_forwardIN3c104HalfEflLi1EEEvNS_4cuda6detail10TensorInfoIT_T1_EESB_SB_SB_SB_SB_SB_SB_SA_SA_.private_seg_size, 0
	.set _ZN2at6native12_GLOBAL__N_16kernel17lstm_cell_forwardIN3c104HalfEflLi1EEEvNS_4cuda6detail10TensorInfoIT_T1_EESB_SB_SB_SB_SB_SB_SB_SA_SA_.uses_vcc, 1
	.set _ZN2at6native12_GLOBAL__N_16kernel17lstm_cell_forwardIN3c104HalfEflLi1EEEvNS_4cuda6detail10TensorInfoIT_T1_EESB_SB_SB_SB_SB_SB_SB_SA_SA_.uses_flat_scratch, 0
	.set _ZN2at6native12_GLOBAL__N_16kernel17lstm_cell_forwardIN3c104HalfEflLi1EEEvNS_4cuda6detail10TensorInfoIT_T1_EESB_SB_SB_SB_SB_SB_SB_SA_SA_.has_dyn_sized_stack, 0
	.set _ZN2at6native12_GLOBAL__N_16kernel17lstm_cell_forwardIN3c104HalfEflLi1EEEvNS_4cuda6detail10TensorInfoIT_T1_EESB_SB_SB_SB_SB_SB_SB_SA_SA_.has_recursion, 0
	.set _ZN2at6native12_GLOBAL__N_16kernel17lstm_cell_forwardIN3c104HalfEflLi1EEEvNS_4cuda6detail10TensorInfoIT_T1_EESB_SB_SB_SB_SB_SB_SB_SA_SA_.has_indirect_call, 0
	.section	.AMDGPU.csdata,"",@progbits
; Kernel info:
; codeLenInByte = 4184
; TotalNumSgprs: 56
; NumVgprs: 49
; ScratchSize: 0
; MemoryBound: 0
; FloatMode: 240
; IeeeMode: 1
; LDSByteSize: 0 bytes/workgroup (compile time only)
; SGPRBlocks: 0
; VGPRBlocks: 6
; NumSGPRsForWavesPerEU: 56
; NumVGPRsForWavesPerEU: 49
; Occupancy: 16
; WaveLimiterHint : 1
; COMPUTE_PGM_RSRC2:SCRATCH_EN: 0
; COMPUTE_PGM_RSRC2:USER_SGPR: 6
; COMPUTE_PGM_RSRC2:TRAP_HANDLER: 0
; COMPUTE_PGM_RSRC2:TGID_X_EN: 1
; COMPUTE_PGM_RSRC2:TGID_Y_EN: 0
; COMPUTE_PGM_RSRC2:TGID_Z_EN: 0
; COMPUTE_PGM_RSRC2:TIDIG_COMP_CNT: 0
	.section	.text._ZN2at6native12_GLOBAL__N_16kernel17lstm_cell_forwardIN3c104HalfEflLi2EEEvNS_4cuda6detail10TensorInfoIT_T1_EESB_SB_SB_SB_SB_SB_SB_SA_SA_,"axG",@progbits,_ZN2at6native12_GLOBAL__N_16kernel17lstm_cell_forwardIN3c104HalfEflLi2EEEvNS_4cuda6detail10TensorInfoIT_T1_EESB_SB_SB_SB_SB_SB_SB_SA_SA_,comdat
	.globl	_ZN2at6native12_GLOBAL__N_16kernel17lstm_cell_forwardIN3c104HalfEflLi2EEEvNS_4cuda6detail10TensorInfoIT_T1_EESB_SB_SB_SB_SB_SB_SB_SA_SA_ ; -- Begin function _ZN2at6native12_GLOBAL__N_16kernel17lstm_cell_forwardIN3c104HalfEflLi2EEEvNS_4cuda6detail10TensorInfoIT_T1_EESB_SB_SB_SB_SB_SB_SB_SA_SA_
	.p2align	8
	.type	_ZN2at6native12_GLOBAL__N_16kernel17lstm_cell_forwardIN3c104HalfEflLi2EEEvNS_4cuda6detail10TensorInfoIT_T1_EESB_SB_SB_SB_SB_SB_SB_SA_SA_,@function
_ZN2at6native12_GLOBAL__N_16kernel17lstm_cell_forwardIN3c104HalfEflLi2EEEvNS_4cuda6detail10TensorInfoIT_T1_EESB_SB_SB_SB_SB_SB_SB_SA_SA_: ; @_ZN2at6native12_GLOBAL__N_16kernel17lstm_cell_forwardIN3c104HalfEflLi2EEEvNS_4cuda6detail10TensorInfoIT_T1_EESB_SB_SB_SB_SB_SB_SB_SA_SA_
; %bb.0:
	s_clause 0x1
	s_load_dword s2, s[4:5], 0xd1c
	s_load_dwordx4 s[8:11], s[4:5], 0xd00
	v_mov_b32_e32 v1, 0
	s_add_u32 s0, s4, 0xd10
	s_addc_u32 s1, s5, 0
	s_waitcnt lgkmcnt(0)
	s_and_b32 s33, s2, 0xffff
	s_mov_b32 s2, exec_lo
	v_mad_u64_u32 v[3:4], null, s6, s33, v[0:1]
	v_mov_b32_e32 v4, v1
	v_cmpx_gt_i64_e64 s[10:11], v[3:4]
	s_cbranch_execz .LBB11_78
; %bb.1:
	v_cvt_f32_u32_e32 v0, s8
	s_clause 0x6
	s_load_dwordx2 s[2:3], s[4:5], 0x0
	s_load_dwordx2 s[34:35], s[4:5], 0x10
	s_load_dwordx4 s[12:15], s[4:5], 0xd0
	s_load_dwordx2 s[36:37], s[4:5], 0x1a0
	s_load_dwordx2 s[38:39], s[4:5], 0x340
	;; [unrolled: 1-line block ×3, first 2 shown]
	s_load_dwordx4 s[16:19], s[4:5], 0x270
	s_load_dword s0, s[0:1], 0x0
	s_clause 0xe
	s_load_dwordx2 s[42:43], s[4:5], 0x410
	s_load_dwordx2 s[44:45], s[4:5], 0x4e0
	;; [unrolled: 1-line block ×5, first 2 shown]
	s_load_dwordx4 s[20:23], s[4:5], 0x750
	s_load_dwordx2 s[52:53], s[4:5], 0x820
	s_load_dwordx2 s[54:55], s[4:5], 0x830
	s_load_dwordx4 s[24:27], s[4:5], 0x8f0
	s_load_dwordx2 s[56:57], s[4:5], 0x9c0
	s_load_dwordx2 s[58:59], s[4:5], 0x9d0
	;; [unrolled: 3-line block ×3, first 2 shown]
	s_load_dwordx4 s[4:7], s[4:5], 0xc30
	s_mul_hi_u32 s64, s8, 3
	s_mov_b32 s68, 0
	v_rcp_iflag_f32_e32 v0, v0
	s_mul_i32 s70, s8, 3
	s_waitcnt lgkmcnt(0)
	s_cmp_lg_u64 s[38:39], 0
	s_mov_b32 s79, 0xbbbac73d
	s_cselect_b32 s1, -1, 0
	s_mul_i32 s33, s0, s33
	s_mul_i32 s0, s9, 3
	s_add_i32 s69, s64, s0
	s_sub_u32 s71, 0, s8
	v_mul_f32_e32 v0, 0x4f7ffffe, v0
	s_subb_u32 s72, 0, s9
	s_sub_u32 s73, 0, s50
	s_subb_u32 s74, 0, s51
	s_sub_u32 s75, 0, s54
	v_cvt_u32_f32_e32 v0, v0
	s_subb_u32 s76, 0, s55
	s_sub_u32 s77, 0, s58
	s_subb_u32 s78, 0, s59
	s_branch .LBB11_3
.LBB11_2:                               ;   in Loop: Header=BB11_3 Depth=1
	s_or_b32 exec_lo, exec_lo, s0
	v_cvt_f32_f16_e32 v29, v31
	v_cvt_f32_f16_e32 v30, v37
	v_mul_lo_u32 v39, s78, v25
	v_mul_lo_u32 v40, v26, s28
	v_mul_lo_u32 v41, v25, s29
	v_mul_lo_u32 v42, s75, v24
	v_add_f32_e32 v29, v29, v30
	v_mul_lo_u32 v43, s76, v23
	v_mul_lo_u32 v50, v20, s62
	v_mul_lo_u32 v51, v19, s63
	v_mul_lo_u32 v46, v22, s62
	v_add_f32_e32 v29, v29, v38
	v_mul_lo_u32 v38, s77, v26
	v_mul_lo_u32 v47, v21, s63
	v_mul_lo_u32 v48, v22, s4
	v_mul_lo_u32 v49, v21, s5
	v_add_f32_e32 v37, v35, v29
	v_mad_u64_u32 v[29:30], null, s77, v25, v[3:4]
	v_mad_u64_u32 v[25:26], null, v25, s28, 0
	v_mul_f32_e32 v31, 0xbfb8aa3b, v37
	v_cmp_nlt_f32_e32 vcc_lo, 0x42ce8ed0, v37
	v_mul_lo_u32 v44, v24, s24
	v_mul_lo_u32 v45, v23, s25
	v_add3_u32 v38, v39, v30, v38
	v_fma_f32 v33, 0xbfb8aa3b, v37, -v31
	v_rndne_f32_e32 v34, v31
	v_add3_u32 v26, v26, v41, v40
	v_mul_lo_u32 v39, v29, s31
	v_mad_u64_u32 v[29:30], null, v29, s30, 0
	v_fmac_f32_e32 v33, 0xb2a5705f, v37
	v_sub_f32_e32 v35, v31, v34
	v_cvt_i32_f32_e32 v36, v34
	v_mad_u64_u32 v[31:32], null, s75, v23, v[3:4]
	v_mad_u64_u32 v[23:24], null, v23, s24, 0
	v_add_f32_e32 v33, v35, v33
	v_mul_lo_u32 v38, v38, s30
	v_lshlrev_b64 v[25:26], 1, v[25:26]
	v_cvt_f16_f32_e32 v9, v9
	v_add3_u32 v40, v43, v32, v42
	v_exp_f32_e32 v35, v33
	v_mad_u64_u32 v[33:34], null, v21, s62, 0
	v_mad_u64_u32 v[21:22], null, v21, s4, 0
	v_mul_lo_u32 v41, v31, s27
	v_mad_u64_u32 v[31:32], null, v31, s26, 0
	v_add3_u32 v24, v24, v45, v44
	v_add3_u32 v34, v34, v47, v46
	v_ldexp_f32 v35, v35, v36
	v_add3_u32 v22, v22, v49, v48
	v_mul_lo_u32 v40, v40, s26
	v_add3_u32 v30, v30, v39, v38
	v_lshlrev_b64 v[23:24], 1, v[23:24]
	v_cndmask_b32_e32 v52, 0, v35, vcc_lo
	v_cmp_ngt_f32_e32 vcc_lo, 0xc2b17218, v37
	v_mad_u64_u32 v[35:36], null, v19, s62, 0
	v_cvt_f16_f32_e32 v2, v2
	v_add3_u32 v32, v32, v41, v40
	v_cndmask_b32_e32 v37, 0x7f800000, v52, vcc_lo
	v_sub_co_u32 v13, vcc_lo, v13, v33
	v_sub_co_ci_u32_e64 v34, null, v14, v34, vcc_lo
	v_add_f32_e32 v37, 1.0, v37
	v_add3_u32 v33, v36, v51, v50
	v_add_co_u32 v43, vcc_lo, v3, v13
	v_lshlrev_b64 v[13:14], 1, v[21:22]
	v_div_scale_f32 v42, null, v37, v37, 1.0
	v_sub_co_u32 v22, s0, v11, v35
	v_sub_co_ci_u32_e64 v33, null, v12, v33, s0
	v_rcp_f32_e32 v36, v42
	v_div_scale_f32 v35, s0, 1.0, v37, 1.0
	v_mad_u64_u32 v[11:12], null, v43, s6, 0
	v_cvt_f16_f32_e32 v10, v10
	v_fma_f32 v21, -v42, v36, 1.0
	v_fmac_f32_e32 v36, v21, v36
	v_add_co_ci_u32_e64 v21, null, v4, v34, vcc_lo
	v_mul_lo_u32 v34, v43, s7
	v_add_co_u32 v44, vcc_lo, v3, v22
	v_mul_f32_e32 v43, v35, v36
	v_mul_lo_u32 v39, v21, s6
	v_lshlrev_b64 v[21:22], 1, v[29:30]
	v_add_co_ci_u32_e64 v33, null, v4, v33, vcc_lo
	v_fma_f32 v38, -v42, v43, v35
	v_add_co_u32 v25, vcc_lo, s56, v25
	v_add_co_ci_u32_e64 v26, null, s57, v26, vcc_lo
	v_fmac_f32_e32 v43, v38, v36
	v_add_co_u32 v29, vcc_lo, s52, v23
	v_add_co_ci_u32_e64 v30, null, s53, v24, vcc_lo
	v_lshlrev_b64 v[23:24], 1, v[31:32]
	v_fma_f32 v31, -v42, v43, v35
	v_add_co_u32 v21, vcc_lo, v25, v21
	v_add_co_ci_u32_e64 v22, null, v26, v22, vcc_lo
	s_mov_b32 vcc_lo, s0
	v_add3_u32 v12, v12, v34, v39
	v_div_fmas_f32 v25, v31, v36, v43
	v_add_co_u32 v23, vcc_lo, v29, v23
	v_mul_lo_u32 v35, v18, s62
	v_mul_lo_u32 v36, v17, s63
	v_div_fixup_f32 v29, v25, v37, 1.0
	v_mad_u64_u32 v[25:26], null, v17, s62, 0
	v_lshlrev_b64 v[11:12], 1, v[11:12]
	v_add_co_ci_u32_e64 v24, null, v30, v24, vcc_lo
	v_add_co_u32 v30, vcc_lo, s60, v13
	v_add_co_ci_u32_e64 v31, null, s61, v14, vcc_lo
	v_add3_u32 v26, v26, v36, v35
	v_add_co_u32 v11, vcc_lo, v30, v11
	v_add_co_ci_u32_e64 v12, null, v31, v12, vcc_lo
	v_sub_co_u32 v7, vcc_lo, v7, v25
	v_sub_co_ci_u32_e64 v8, null, v8, v26, vcc_lo
	v_mul_lo_u32 v30, v16, s62
	v_add_co_u32 v25, vcc_lo, v3, v7
	v_add_co_ci_u32_e64 v26, null, v4, v8, vcc_lo
	v_mul_lo_u32 v31, v15, s63
	v_mad_u64_u32 v[7:8], null, v15, s62, 0
	v_mul_lo_u32 v32, v33, s6
	v_mul_lo_u32 v33, v44, s7
	v_mad_u64_u32 v[13:14], null, v44, s6, 0
	v_mul_lo_u32 v34, v20, s4
	v_mul_lo_u32 v37, v19, s5
	v_mad_u64_u32 v[19:20], null, v19, s4, 0
	v_add3_u32 v8, v8, v31, v30
	v_mul_lo_u32 v35, v17, s5
	v_add3_u32 v14, v14, v33, v32
	v_mul_lo_u32 v32, v26, s6
	v_mul_lo_u32 v33, v25, s7
	v_mad_u64_u32 v[25:26], null, v25, s6, 0
	v_add3_u32 v20, v20, v37, v34
	v_mul_lo_u32 v34, v18, s4
	v_mad_u64_u32 v[17:18], null, v17, s4, 0
	v_sub_co_u32 v5, vcc_lo, v5, v7
	v_sub_co_ci_u32_e64 v6, null, v6, v8, vcc_lo
	v_lshlrev_b64 v[19:20], 1, v[19:20]
	v_add_co_u32 v30, vcc_lo, v3, v5
	v_add3_u32 v18, v18, v35, v34
	v_add_co_ci_u32_e64 v31, null, v4, v6, vcc_lo
	v_lshlrev_b64 v[5:6], 1, v[13:14]
	v_add3_u32 v26, v26, v33, v32
	v_mul_lo_u32 v33, v16, s4
	v_mul_lo_u32 v34, v15, s5
	v_mad_u64_u32 v[13:14], null, v15, s4, 0
	v_add_co_u32 v19, vcc_lo, s60, v19
	v_lshlrev_b64 v[7:8], 1, v[17:18]
	v_mul_lo_u32 v31, v31, s6
	v_mul_lo_u32 v32, v30, s7
	v_mad_u64_u32 v[15:16], null, v30, s6, 0
	v_add_co_ci_u32_e64 v20, null, s61, v20, vcc_lo
	v_add3_u32 v14, v14, v34, v33
	v_add_co_u32 v5, vcc_lo, v19, v5
	v_add_co_ci_u32_e64 v6, null, v20, v6, vcc_lo
	v_lshlrev_b64 v[17:18], 1, v[25:26]
	v_add_co_u32 v19, vcc_lo, s60, v7
	v_add_co_ci_u32_e64 v20, null, s61, v8, vcc_lo
	v_add3_u32 v16, v16, v32, v31
	v_lshlrev_b64 v[7:8], 1, v[13:14]
	v_add_co_u32 v13, vcc_lo, v19, v17
	v_add_co_ci_u32_e64 v14, null, v20, v18, vcc_lo
	v_lshlrev_b64 v[15:16], 1, v[15:16]
	v_add_co_u32 v7, vcc_lo, s60, v7
	v_add_co_ci_u32_e64 v8, null, s61, v8, vcc_lo
	v_bfi_b32 v17, 0x7fffffff, v28, v27
	v_add_co_u32 v7, vcc_lo, v7, v15
	v_add_co_ci_u32_e64 v8, null, v8, v16, vcc_lo
	v_add_co_u32 v3, vcc_lo, v3, s33
	v_add_co_ci_u32_e64 v4, null, 0, v4, vcc_lo
	v_fma_mixlo_f16 v15, v29, v17, 0
	v_cvt_f16_f32_e32 v16, v27
	v_cmp_le_i64_e32 vcc_lo, s[10:11], v[3:4]
	global_store_short v[23:24], v15, off
	v_cvt_f16_f32_e32 v15, v29
	global_store_short v[21:22], v16, off
	global_store_short v[7:8], v9, off
	global_store_short v[13:14], v10, off
	s_or_b32 s68, vcc_lo, s68
	global_store_short v[5:6], v2, off
	global_store_short v[11:12], v15, off
	s_andn2_b32 exec_lo, exec_lo, s68
	s_cbranch_execz .LBB11_78
.LBB11_3:                               ; =>This Inner Loop Header: Depth=1
	v_or_b32_e32 v2, s9, v4
	v_ashrrev_i32_e32 v27, 31, v4
                                        ; implicit-def: $vgpr9_vgpr10
	s_mov_b32 s0, exec_lo
	v_cmpx_ne_u64_e32 0, v[1:2]
	s_xor_b32 s80, exec_lo, s0
	s_cbranch_execz .LBB11_5
; %bb.4:                                ;   in Loop: Header=BB11_3 Depth=1
	s_ashr_i32 s64, s9, 31
	v_add_co_u32 v6, vcc_lo, v3, v27
	s_add_u32 s66, s8, s64
	s_mov_b32 s65, s64
	s_addc_u32 s67, s9, s64
	v_add_co_ci_u32_e64 v7, null, v4, v27, vcc_lo
	s_xor_b64 s[66:67], s[66:67], s[64:65]
	v_cvt_f32_u32_e32 v2, s66
	v_cvt_f32_u32_e32 v5, s67
	s_sub_u32 s81, 0, s66
	s_subb_u32 s82, 0, s67
	v_xor_b32_e32 v11, v7, v27
	v_fmac_f32_e32 v2, 0x4f800000, v5
	v_rcp_f32_e32 v2, v2
	v_mul_f32_e32 v2, 0x5f7ffffc, v2
	v_mul_f32_e32 v5, 0x2f800000, v2
	v_trunc_f32_e32 v5, v5
	v_fmac_f32_e32 v2, 0xcf800000, v5
	v_cvt_u32_f32_e32 v5, v5
	v_cvt_u32_f32_e32 v2, v2
	v_readfirstlane_b32 s0, v5
	v_readfirstlane_b32 s65, v2
	s_mul_i32 s83, s81, s0
	v_xor_b32_e32 v2, v6, v27
	s_mul_hi_u32 s85, s81, s65
	s_mul_i32 s84, s82, s65
	s_add_i32 s83, s85, s83
	s_mul_i32 s86, s81, s65
	s_add_i32 s83, s83, s84
	s_mul_hi_u32 s85, s65, s86
	s_mul_i32 s88, s65, s83
	s_mul_hi_u32 s87, s0, s86
	s_mul_i32 s84, s0, s86
	s_mul_hi_u32 s86, s65, s83
	s_add_u32 s85, s85, s88
	s_addc_u32 s86, 0, s86
	s_mul_hi_u32 s89, s0, s83
	s_add_u32 s84, s85, s84
	s_mul_i32 s83, s0, s83
	s_addc_u32 s84, s86, s87
	s_addc_u32 s85, s89, 0
	s_add_u32 s83, s84, s83
	s_addc_u32 s84, 0, s85
	s_add_u32 s65, s65, s83
	s_cselect_b32 s83, -1, 0
	s_mul_hi_u32 s85, s81, s65
	s_cmp_lg_u32 s83, 0
	s_mul_i32 s83, s81, s65
	s_addc_u32 s0, s0, s84
	s_mul_i32 s82, s82, s65
	s_mul_i32 s81, s81, s0
	s_mul_hi_u32 s84, s65, s83
	s_add_i32 s81, s85, s81
	s_mul_hi_u32 s85, s0, s83
	s_add_i32 s81, s81, s82
	s_mul_i32 s82, s0, s83
	s_mul_i32 s87, s65, s81
	s_mul_hi_u32 s86, s65, s81
	s_add_u32 s84, s84, s87
	s_addc_u32 s86, 0, s86
	s_mul_hi_u32 s83, s0, s81
	s_add_u32 s82, s84, s82
	s_mul_i32 s81, s0, s81
	s_addc_u32 s82, s86, s85
	s_addc_u32 s83, s83, 0
	s_add_u32 s81, s82, s81
	s_addc_u32 s82, 0, s83
	s_add_u32 s65, s65, s81
	s_cselect_b32 s81, -1, 0
	v_mul_hi_u32 v12, v2, s65
	s_cmp_lg_u32 s81, 0
	v_mad_u64_u32 v[7:8], null, v11, s65, 0
	s_addc_u32 s0, s0, s82
	v_mad_u64_u32 v[5:6], null, v2, s0, 0
	v_mad_u64_u32 v[9:10], null, v11, s0, 0
	v_add_co_u32 v5, vcc_lo, v12, v5
	v_add_co_ci_u32_e64 v6, null, 0, v6, vcc_lo
	v_add_co_u32 v5, vcc_lo, v5, v7
	v_add_co_ci_u32_e32 v5, vcc_lo, v6, v8, vcc_lo
	v_add_co_ci_u32_e32 v6, vcc_lo, 0, v10, vcc_lo
	v_add_co_u32 v7, vcc_lo, v5, v9
	v_add_co_ci_u32_e64 v8, null, 0, v6, vcc_lo
	v_mul_lo_u32 v9, s67, v7
	v_mad_u64_u32 v[5:6], null, s66, v7, 0
	v_mul_lo_u32 v10, s66, v8
	v_sub_co_u32 v2, vcc_lo, v2, v5
	v_add3_u32 v6, v6, v10, v9
	v_sub_nc_u32_e32 v9, v11, v6
	v_sub_co_ci_u32_e64 v6, null, v11, v6, vcc_lo
	v_subrev_co_ci_u32_e64 v5, null, s67, v9, vcc_lo
	v_add_co_u32 v9, s0, v7, 2
	v_add_co_ci_u32_e64 v10, null, 0, v8, s0
	v_sub_co_u32 v12, s0, v2, s66
	v_subrev_co_ci_u32_e64 v5, null, 0, v5, s0
	v_cmp_le_u32_e32 vcc_lo, s66, v12
	v_cndmask_b32_e64 v11, 0, -1, vcc_lo
	v_cmp_le_u32_e32 vcc_lo, s67, v5
	v_cndmask_b32_e64 v12, 0, -1, vcc_lo
	;; [unrolled: 2-line block ×4, first 2 shown]
	v_cmp_eq_u32_e32 vcc_lo, s67, v5
	v_cndmask_b32_e32 v5, v12, v11, vcc_lo
	v_add_co_u32 v11, vcc_lo, v7, 1
	v_add_co_ci_u32_e64 v12, null, 0, v8, vcc_lo
	v_cmp_eq_u32_e32 vcc_lo, s67, v6
	v_xor_b32_e32 v6, s64, v27
	v_cndmask_b32_e32 v2, v13, v2, vcc_lo
	v_cmp_ne_u32_e32 vcc_lo, 0, v5
	v_cmp_ne_u32_e64 s0, 0, v2
	v_cndmask_b32_e32 v2, v11, v9, vcc_lo
	v_cndmask_b32_e32 v5, v12, v10, vcc_lo
	v_cndmask_b32_e64 v2, v7, v2, s0
	v_cndmask_b32_e64 v5, v8, v5, s0
	v_xor_b32_e32 v2, v2, v6
	v_xor_b32_e32 v5, v5, v6
	v_sub_co_u32 v9, vcc_lo, v2, v6
	v_sub_co_ci_u32_e64 v10, null, v5, v6, vcc_lo
.LBB11_5:                               ;   in Loop: Header=BB11_3 Depth=1
	s_andn2_saveexec_b32 s0, s80
	s_cbranch_execz .LBB11_7
; %bb.6:                                ;   in Loop: Header=BB11_3 Depth=1
	s_sub_i32 s64, 0, s8
	v_mov_b32_e32 v10, v1
	v_mul_lo_u32 v2, s64, v0
	v_mul_hi_u32 v2, v0, v2
	v_add_nc_u32_e32 v2, v0, v2
	v_mul_hi_u32 v2, v3, v2
	v_mul_lo_u32 v5, v2, s8
	v_add_nc_u32_e32 v6, 1, v2
	v_sub_nc_u32_e32 v5, v3, v5
	v_subrev_nc_u32_e32 v7, s8, v5
	v_cmp_le_u32_e32 vcc_lo, s8, v5
	v_cndmask_b32_e32 v5, v5, v7, vcc_lo
	v_cndmask_b32_e32 v2, v2, v6, vcc_lo
	v_cmp_le_u32_e32 vcc_lo, s8, v5
	v_add_nc_u32_e32 v6, 1, v2
	v_cndmask_b32_e32 v9, v2, v6, vcc_lo
.LBB11_7:                               ;   in Loop: Header=BB11_3 Depth=1
	s_or_b32 exec_lo, exec_lo, s0
	v_mul_lo_u32 v2, s69, v9
	v_mul_lo_u32 v7, s70, v10
	v_mad_u64_u32 v[5:6], null, s70, v9, 0
	s_mov_b32 s0, exec_lo
	v_add3_u32 v6, v6, v7, v2
	v_add_co_u32 v18, vcc_lo, v3, v5
                                        ; implicit-def: $vgpr7_vgpr8
	v_add_co_ci_u32_e64 v20, null, v4, v6, vcc_lo
	v_or_b32_e32 v2, s35, v20
	v_ashrrev_i32_e32 v17, 31, v20
	v_cmpx_ne_u64_e32 0, v[1:2]
	s_xor_b32 s80, exec_lo, s0
	s_cbranch_execz .LBB11_9
; %bb.8:                                ;   in Loop: Header=BB11_3 Depth=1
	s_ashr_i32 s64, s35, 31
	v_add_co_u32 v8, vcc_lo, v18, v17
	s_add_u32 s66, s34, s64
	s_mov_b32 s65, s64
	s_addc_u32 s67, s35, s64
	v_add_co_ci_u32_e64 v11, null, v20, v17, vcc_lo
	s_xor_b64 s[66:67], s[66:67], s[64:65]
	v_cvt_f32_u32_e32 v2, s66
	v_cvt_f32_u32_e32 v7, s67
	s_sub_u32 s81, 0, s66
	s_subb_u32 s82, 0, s67
	v_xor_b32_e32 v15, v11, v17
	v_fmac_f32_e32 v2, 0x4f800000, v7
	v_rcp_f32_e32 v2, v2
	v_mul_f32_e32 v2, 0x5f7ffffc, v2
	v_mul_f32_e32 v7, 0x2f800000, v2
	v_trunc_f32_e32 v7, v7
	v_fmac_f32_e32 v2, 0xcf800000, v7
	v_cvt_u32_f32_e32 v7, v7
	v_cvt_u32_f32_e32 v2, v2
	v_readfirstlane_b32 s0, v7
	v_readfirstlane_b32 s65, v2
	s_mul_i32 s83, s81, s0
	v_xor_b32_e32 v2, v8, v17
	s_mul_hi_u32 s85, s81, s65
	s_mul_i32 s84, s82, s65
	s_add_i32 s83, s85, s83
	s_mul_i32 s86, s81, s65
	s_add_i32 s83, s83, s84
	s_mul_hi_u32 s85, s65, s86
	s_mul_i32 s88, s65, s83
	s_mul_hi_u32 s87, s0, s86
	s_mul_i32 s84, s0, s86
	s_mul_hi_u32 s86, s65, s83
	s_add_u32 s85, s85, s88
	s_addc_u32 s86, 0, s86
	s_mul_hi_u32 s89, s0, s83
	s_add_u32 s84, s85, s84
	s_mul_i32 s83, s0, s83
	s_addc_u32 s84, s86, s87
	s_addc_u32 s85, s89, 0
	s_add_u32 s83, s84, s83
	s_addc_u32 s84, 0, s85
	s_add_u32 s65, s65, s83
	s_cselect_b32 s83, -1, 0
	s_mul_hi_u32 s85, s81, s65
	s_cmp_lg_u32 s83, 0
	s_mul_i32 s83, s81, s65
	s_addc_u32 s0, s0, s84
	s_mul_i32 s82, s82, s65
	s_mul_i32 s81, s81, s0
	s_mul_hi_u32 s84, s65, s83
	s_add_i32 s81, s85, s81
	s_mul_hi_u32 s85, s0, s83
	s_add_i32 s81, s81, s82
	s_mul_i32 s82, s0, s83
	s_mul_i32 s87, s65, s81
	s_mul_hi_u32 s86, s65, s81
	s_add_u32 s84, s84, s87
	s_addc_u32 s86, 0, s86
	s_mul_hi_u32 s83, s0, s81
	s_add_u32 s82, s84, s82
	s_mul_i32 s81, s0, s81
	s_addc_u32 s82, s86, s85
	s_addc_u32 s83, s83, 0
	s_add_u32 s81, s82, s81
	s_addc_u32 s82, 0, s83
	s_add_u32 s65, s65, s81
	s_cselect_b32 s81, -1, 0
	v_mul_hi_u32 v16, v2, s65
	s_cmp_lg_u32 s81, 0
	v_mad_u64_u32 v[11:12], null, v15, s65, 0
	s_addc_u32 s0, s0, s82
	v_mad_u64_u32 v[7:8], null, v2, s0, 0
	v_mad_u64_u32 v[13:14], null, v15, s0, 0
	v_add_co_u32 v7, vcc_lo, v16, v7
	v_add_co_ci_u32_e64 v8, null, 0, v8, vcc_lo
	v_add_co_u32 v7, vcc_lo, v7, v11
	v_add_co_ci_u32_e32 v7, vcc_lo, v8, v12, vcc_lo
	v_add_co_ci_u32_e32 v8, vcc_lo, 0, v14, vcc_lo
	v_add_co_u32 v11, vcc_lo, v7, v13
	v_add_co_ci_u32_e64 v12, null, 0, v8, vcc_lo
	v_mul_lo_u32 v13, s67, v11
	v_mad_u64_u32 v[7:8], null, s66, v11, 0
	v_mul_lo_u32 v14, s66, v12
	v_sub_co_u32 v2, vcc_lo, v2, v7
	v_add3_u32 v8, v8, v14, v13
	v_sub_nc_u32_e32 v13, v15, v8
	v_sub_co_ci_u32_e64 v8, null, v15, v8, vcc_lo
	v_subrev_co_ci_u32_e64 v7, null, s67, v13, vcc_lo
	v_add_co_u32 v13, s0, v11, 2
	v_add_co_ci_u32_e64 v14, null, 0, v12, s0
	v_sub_co_u32 v16, s0, v2, s66
	v_subrev_co_ci_u32_e64 v7, null, 0, v7, s0
	v_cmp_le_u32_e32 vcc_lo, s66, v16
	v_cndmask_b32_e64 v15, 0, -1, vcc_lo
	v_cmp_le_u32_e32 vcc_lo, s67, v7
	v_cndmask_b32_e64 v16, 0, -1, vcc_lo
	;; [unrolled: 2-line block ×4, first 2 shown]
	v_cmp_eq_u32_e32 vcc_lo, s67, v7
	v_cndmask_b32_e32 v7, v16, v15, vcc_lo
	v_add_co_u32 v15, vcc_lo, v11, 1
	v_add_co_ci_u32_e64 v16, null, 0, v12, vcc_lo
	v_cmp_eq_u32_e32 vcc_lo, s67, v8
	v_xor_b32_e32 v8, s64, v17
	v_cndmask_b32_e32 v2, v19, v2, vcc_lo
	v_cmp_ne_u32_e32 vcc_lo, 0, v7
	v_cmp_ne_u32_e64 s0, 0, v2
	v_cndmask_b32_e32 v2, v15, v13, vcc_lo
	v_cndmask_b32_e32 v7, v16, v14, vcc_lo
	v_cndmask_b32_e64 v2, v11, v2, s0
	v_cndmask_b32_e64 v7, v12, v7, s0
	v_xor_b32_e32 v2, v2, v8
	v_xor_b32_e32 v11, v7, v8
	v_sub_co_u32 v7, vcc_lo, v2, v8
	v_sub_co_ci_u32_e64 v8, null, v11, v8, vcc_lo
.LBB11_9:                               ;   in Loop: Header=BB11_3 Depth=1
	s_or_saveexec_b32 s0, s80
	v_cvt_f32_u32_e32 v31, s34
	s_xor_b32 exec_lo, exec_lo, s0
	s_cbranch_execz .LBB11_11
; %bb.10:                               ;   in Loop: Header=BB11_3 Depth=1
	v_rcp_iflag_f32_e32 v2, v31
	s_sub_i32 s64, 0, s34
	v_mul_f32_e32 v2, 0x4f7ffffe, v2
	v_cvt_u32_f32_e32 v2, v2
	v_mul_lo_u32 v7, s64, v2
	v_mul_hi_u32 v7, v2, v7
	v_add_nc_u32_e32 v2, v2, v7
	v_mul_hi_u32 v2, v18, v2
	v_mul_lo_u32 v7, v2, s34
	v_add_nc_u32_e32 v8, 1, v2
	v_sub_nc_u32_e32 v7, v18, v7
	v_subrev_nc_u32_e32 v11, s34, v7
	v_cmp_le_u32_e32 vcc_lo, s34, v7
	v_cndmask_b32_e32 v7, v7, v11, vcc_lo
	v_cndmask_b32_e32 v2, v2, v8, vcc_lo
	v_cmp_le_u32_e32 vcc_lo, s34, v7
	v_add_nc_u32_e32 v8, 1, v2
	v_cndmask_b32_e32 v7, v2, v8, vcc_lo
	v_mov_b32_e32 v8, v1
.LBB11_11:                              ;   in Loop: Header=BB11_3 Depth=1
	s_or_b32 exec_lo, exec_lo, s0
	v_mul_lo_u32 v2, v8, s34
	v_mul_lo_u32 v13, v7, s35
	v_mad_u64_u32 v[11:12], null, v7, s34, 0
	v_mul_lo_u32 v14, v7, s13
	s_mov_b32 s0, exec_lo
	v_add3_u32 v2, v12, v13, v2
	v_mul_lo_u32 v13, v8, s12
	v_sub_co_u32 v8, vcc_lo, v5, v11
	v_sub_co_ci_u32_e64 v2, null, v6, v2, vcc_lo
	v_add_co_u32 v11, vcc_lo, v3, v8
	v_mad_u64_u32 v[7:8], null, v7, s12, 0
	v_add_co_ci_u32_e64 v2, null, v4, v2, vcc_lo
	v_mul_lo_u32 v15, v11, s15
	v_mad_u64_u32 v[11:12], null, v11, s14, 0
	v_mul_lo_u32 v2, v2, s14
	v_add3_u32 v8, v8, v14, v13
	v_mad_u64_u32 v[13:14], null, v9, 3, 0
	v_lshlrev_b64 v[7:8], 1, v[7:8]
	v_add3_u32 v12, v12, v15, v2
	v_add_co_u32 v2, vcc_lo, s2, v7
	v_lshlrev_b64 v[11:12], 1, v[11:12]
	v_add_co_ci_u32_e64 v8, null, s3, v8, vcc_lo
	v_add_co_u32 v7, vcc_lo, v2, v11
	v_add_co_ci_u32_e64 v8, null, v8, v12, vcc_lo
	v_mov_b32_e32 v2, v14
	global_load_ushort v28, v[7:8], off
	v_mad_u64_u32 v[7:8], null, s8, v13, s[8:9]
	v_mad_u64_u32 v[14:15], null, v10, 3, v[2:3]
	v_mul_lo_u32 v2, s9, v13
	v_add_co_u32 v22, vcc_lo, v3, v7
	v_mul_lo_u32 v11, s8, v14
	v_add3_u32 v8, v2, v8, v11
                                        ; implicit-def: $vgpr11_vgpr12
	v_add_co_ci_u32_e64 v24, null, v4, v8, vcc_lo
	v_or_b32_e32 v2, s35, v24
	v_ashrrev_i32_e32 v19, 31, v24
	v_cmpx_ne_u64_e32 0, v[1:2]
	s_xor_b32 s80, exec_lo, s0
	s_cbranch_execz .LBB11_13
; %bb.12:                               ;   in Loop: Header=BB11_3 Depth=1
	s_ashr_i32 s64, s35, 31
	v_add_co_u32 v12, vcc_lo, v22, v19
	s_add_u32 s66, s34, s64
	s_mov_b32 s65, s64
	s_addc_u32 s67, s35, s64
	v_add_co_ci_u32_e64 v15, null, v24, v19, vcc_lo
	s_xor_b64 s[66:67], s[66:67], s[64:65]
	v_cvt_f32_u32_e32 v2, s66
	v_cvt_f32_u32_e32 v11, s67
	s_sub_u32 s81, 0, s66
	s_subb_u32 s82, 0, s67
	v_xor_b32_e32 v21, v15, v19
	v_fmac_f32_e32 v2, 0x4f800000, v11
	v_rcp_f32_e32 v2, v2
	v_mul_f32_e32 v2, 0x5f7ffffc, v2
	v_mul_f32_e32 v11, 0x2f800000, v2
	v_trunc_f32_e32 v11, v11
	v_fmac_f32_e32 v2, 0xcf800000, v11
	v_cvt_u32_f32_e32 v11, v11
	v_cvt_u32_f32_e32 v2, v2
	v_readfirstlane_b32 s0, v11
	v_readfirstlane_b32 s65, v2
	s_mul_i32 s83, s81, s0
	v_xor_b32_e32 v2, v12, v19
	s_mul_hi_u32 s85, s81, s65
	s_mul_i32 s84, s82, s65
	s_add_i32 s83, s85, s83
	s_mul_i32 s86, s81, s65
	s_add_i32 s83, s83, s84
	s_mul_hi_u32 s85, s65, s86
	s_mul_i32 s88, s65, s83
	s_mul_hi_u32 s87, s0, s86
	s_mul_i32 s84, s0, s86
	s_mul_hi_u32 s86, s65, s83
	s_add_u32 s85, s85, s88
	s_addc_u32 s86, 0, s86
	s_mul_hi_u32 s89, s0, s83
	s_add_u32 s84, s85, s84
	s_mul_i32 s83, s0, s83
	s_addc_u32 s84, s86, s87
	s_addc_u32 s85, s89, 0
	s_add_u32 s83, s84, s83
	s_addc_u32 s84, 0, s85
	s_add_u32 s65, s65, s83
	s_cselect_b32 s83, -1, 0
	s_mul_hi_u32 s85, s81, s65
	s_cmp_lg_u32 s83, 0
	s_mul_i32 s83, s81, s65
	s_addc_u32 s0, s0, s84
	s_mul_i32 s82, s82, s65
	s_mul_i32 s81, s81, s0
	s_mul_hi_u32 s84, s65, s83
	s_add_i32 s81, s85, s81
	s_mul_hi_u32 s85, s0, s83
	s_add_i32 s81, s81, s82
	s_mul_i32 s82, s0, s83
	s_mul_i32 s87, s65, s81
	s_mul_hi_u32 s86, s65, s81
	s_add_u32 s84, s84, s87
	s_addc_u32 s86, 0, s86
	s_mul_hi_u32 s83, s0, s81
	s_add_u32 s82, s84, s82
	s_mul_i32 s81, s0, s81
	s_addc_u32 s82, s86, s85
	s_addc_u32 s83, s83, 0
	s_add_u32 s81, s82, s81
	s_addc_u32 s82, 0, s83
	s_add_u32 s65, s65, s81
	s_cselect_b32 s81, -1, 0
	v_mul_hi_u32 v23, v2, s65
	s_cmp_lg_u32 s81, 0
	v_mad_u64_u32 v[15:16], null, v21, s65, 0
	s_addc_u32 s0, s0, s82
	v_mad_u64_u32 v[11:12], null, v2, s0, 0
	v_mad_u64_u32 v[25:26], null, v21, s0, 0
	v_add_co_u32 v11, vcc_lo, v23, v11
	v_add_co_ci_u32_e64 v12, null, 0, v12, vcc_lo
	v_add_co_u32 v11, vcc_lo, v11, v15
	v_add_co_ci_u32_e32 v11, vcc_lo, v12, v16, vcc_lo
	v_add_co_ci_u32_e32 v12, vcc_lo, 0, v26, vcc_lo
	v_add_co_u32 v15, vcc_lo, v11, v25
	v_add_co_ci_u32_e64 v16, null, 0, v12, vcc_lo
	v_mul_lo_u32 v23, s67, v15
	v_mad_u64_u32 v[11:12], null, s66, v15, 0
	v_mul_lo_u32 v25, s66, v16
	v_sub_co_u32 v2, vcc_lo, v2, v11
	v_add3_u32 v12, v12, v25, v23
	v_sub_nc_u32_e32 v23, v21, v12
	v_sub_co_ci_u32_e64 v12, null, v21, v12, vcc_lo
	v_subrev_co_ci_u32_e64 v11, null, s67, v23, vcc_lo
	v_add_co_u32 v23, s0, v15, 2
	v_add_co_ci_u32_e64 v25, null, 0, v16, s0
	v_sub_co_u32 v26, s0, v2, s66
	v_subrev_co_ci_u32_e64 v11, null, 0, v11, s0
	v_cmp_le_u32_e32 vcc_lo, s66, v26
	v_cndmask_b32_e64 v21, 0, -1, vcc_lo
	v_cmp_le_u32_e32 vcc_lo, s67, v11
	v_cndmask_b32_e64 v26, 0, -1, vcc_lo
	;; [unrolled: 2-line block ×4, first 2 shown]
	v_cmp_eq_u32_e32 vcc_lo, s67, v11
	v_cndmask_b32_e32 v11, v26, v21, vcc_lo
	v_add_co_u32 v21, vcc_lo, v15, 1
	v_add_co_ci_u32_e64 v26, null, 0, v16, vcc_lo
	v_cmp_eq_u32_e32 vcc_lo, s67, v12
	v_xor_b32_e32 v12, s64, v19
	v_cndmask_b32_e32 v2, v29, v2, vcc_lo
	v_cmp_ne_u32_e32 vcc_lo, 0, v11
	v_cmp_ne_u32_e64 s0, 0, v2
	v_cndmask_b32_e32 v2, v21, v23, vcc_lo
	v_cndmask_b32_e32 v11, v26, v25, vcc_lo
	v_cndmask_b32_e64 v2, v15, v2, s0
	v_cndmask_b32_e64 v11, v16, v11, s0
	v_xor_b32_e32 v2, v2, v12
	v_xor_b32_e32 v15, v11, v12
	v_sub_co_u32 v11, vcc_lo, v2, v12
	v_sub_co_ci_u32_e64 v12, null, v15, v12, vcc_lo
.LBB11_13:                              ;   in Loop: Header=BB11_3 Depth=1
	s_andn2_saveexec_b32 s0, s80
	s_cbranch_execz .LBB11_15
; %bb.14:                               ;   in Loop: Header=BB11_3 Depth=1
	v_rcp_iflag_f32_e32 v2, v31
	s_sub_i32 s64, 0, s34
	v_mul_f32_e32 v2, 0x4f7ffffe, v2
	v_cvt_u32_f32_e32 v2, v2
	v_mul_lo_u32 v11, s64, v2
	v_mul_hi_u32 v11, v2, v11
	v_add_nc_u32_e32 v2, v2, v11
	v_mul_hi_u32 v2, v22, v2
	v_mul_lo_u32 v11, v2, s34
	v_add_nc_u32_e32 v12, 1, v2
	v_sub_nc_u32_e32 v11, v22, v11
	v_subrev_nc_u32_e32 v15, s34, v11
	v_cmp_le_u32_e32 vcc_lo, s34, v11
	v_cndmask_b32_e32 v11, v11, v15, vcc_lo
	v_cndmask_b32_e32 v2, v2, v12, vcc_lo
	v_cmp_le_u32_e32 vcc_lo, s34, v11
	v_add_nc_u32_e32 v12, 1, v2
	v_cndmask_b32_e32 v11, v2, v12, vcc_lo
	v_mov_b32_e32 v12, v1
.LBB11_15:                              ;   in Loop: Header=BB11_3 Depth=1
	s_or_b32 exec_lo, exec_lo, s0
	v_mul_lo_u32 v2, v12, s34
	v_mul_lo_u32 v21, v11, s35
	v_mad_u64_u32 v[15:16], null, v11, s34, 0
	v_mul_lo_u32 v23, v11, s13
	s_mov_b32 s0, exec_lo
	v_add3_u32 v2, v16, v21, v2
	v_mul_lo_u32 v21, v12, s12
	v_sub_co_u32 v12, vcc_lo, v7, v15
	v_sub_co_ci_u32_e64 v2, null, v8, v2, vcc_lo
	v_add_co_u32 v15, vcc_lo, v3, v12
	v_mad_u64_u32 v[11:12], null, v11, s12, 0
	v_add_co_ci_u32_e64 v2, null, v4, v2, vcc_lo
	v_mul_lo_u32 v25, v15, s15
	v_mad_u64_u32 v[15:16], null, v15, s14, 0
	v_mul_lo_u32 v2, v2, s14
	v_add3_u32 v12, v12, v23, v21
	v_lshlrev_b64 v[11:12], 1, v[11:12]
	v_add3_u32 v16, v16, v25, v2
	v_add_co_u32 v2, vcc_lo, s2, v11
	v_lshlrev_b64 v[15:16], 1, v[15:16]
	v_add_co_ci_u32_e64 v12, null, s3, v12, vcc_lo
	v_add_co_u32 v11, vcc_lo, v2, v15
	v_add_co_ci_u32_e64 v12, null, v12, v16, vcc_lo
	v_add_co_u32 v2, vcc_lo, v13, 2
	global_load_ushort v29, v[11:12], off
	v_add_co_ci_u32_e64 v11, null, 0, v14, vcc_lo
	v_mul_lo_u32 v15, s9, v2
	v_mul_lo_u32 v16, s8, v11
	v_mad_u64_u32 v[11:12], null, s8, v2, 0
	v_add3_u32 v12, v12, v16, v15
	v_add_co_u32 v25, vcc_lo, v3, v11
                                        ; implicit-def: $vgpr15_vgpr16
	v_add_co_ci_u32_e64 v26, null, v4, v12, vcc_lo
	v_or_b32_e32 v2, s35, v26
	v_ashrrev_i32_e32 v21, 31, v26
	v_cmpx_ne_u64_e32 0, v[1:2]
	s_xor_b32 s80, exec_lo, s0
	s_cbranch_execz .LBB11_17
; %bb.16:                               ;   in Loop: Header=BB11_3 Depth=1
	s_ashr_i32 s64, s35, 31
	v_add_co_u32 v16, vcc_lo, v25, v21
	s_add_u32 s66, s34, s64
	s_mov_b32 s65, s64
	s_addc_u32 s67, s35, s64
	v_add_co_ci_u32_e64 v23, null, v26, v21, vcc_lo
	s_xor_b64 s[66:67], s[66:67], s[64:65]
	v_cvt_f32_u32_e32 v2, s66
	v_cvt_f32_u32_e32 v15, s67
	s_sub_u32 s81, 0, s66
	s_subb_u32 s82, 0, s67
	v_xor_b32_e32 v23, v23, v21
	v_fmac_f32_e32 v2, 0x4f800000, v15
	v_rcp_f32_e32 v2, v2
	v_mul_f32_e32 v2, 0x5f7ffffc, v2
	v_mul_f32_e32 v15, 0x2f800000, v2
	v_trunc_f32_e32 v15, v15
	v_fmac_f32_e32 v2, 0xcf800000, v15
	v_cvt_u32_f32_e32 v15, v15
	v_cvt_u32_f32_e32 v2, v2
	v_readfirstlane_b32 s0, v15
	v_readfirstlane_b32 s65, v2
	s_mul_i32 s83, s81, s0
	v_xor_b32_e32 v2, v16, v21
	s_mul_hi_u32 s85, s81, s65
	s_mul_i32 s84, s82, s65
	s_add_i32 s83, s85, s83
	s_mul_i32 s86, s81, s65
	s_add_i32 s83, s83, s84
	s_mul_hi_u32 s85, s65, s86
	s_mul_i32 s88, s65, s83
	s_mul_hi_u32 s87, s0, s86
	s_mul_i32 s84, s0, s86
	s_mul_hi_u32 s86, s65, s83
	s_add_u32 s85, s85, s88
	s_addc_u32 s86, 0, s86
	s_mul_hi_u32 s89, s0, s83
	s_add_u32 s84, s85, s84
	s_mul_i32 s83, s0, s83
	s_addc_u32 s84, s86, s87
	s_addc_u32 s85, s89, 0
	s_add_u32 s83, s84, s83
	s_addc_u32 s84, 0, s85
	s_add_u32 s65, s65, s83
	s_cselect_b32 s83, -1, 0
	s_mul_hi_u32 s85, s81, s65
	s_cmp_lg_u32 s83, 0
	s_mul_i32 s83, s81, s65
	s_addc_u32 s0, s0, s84
	s_mul_i32 s82, s82, s65
	s_mul_i32 s81, s81, s0
	s_mul_hi_u32 s84, s65, s83
	s_add_i32 s81, s85, s81
	s_mul_hi_u32 s85, s0, s83
	s_add_i32 s81, s81, s82
	s_mul_i32 s82, s0, s83
	s_mul_i32 s87, s65, s81
	s_mul_hi_u32 s86, s65, s81
	s_add_u32 s84, s84, s87
	s_addc_u32 s86, 0, s86
	s_mul_hi_u32 s83, s0, s81
	s_add_u32 s82, s84, s82
	s_mul_i32 s81, s0, s81
	s_addc_u32 s82, s86, s85
	s_addc_u32 s83, s83, 0
	s_add_u32 s81, s82, s81
	s_addc_u32 s82, 0, s83
	s_add_u32 s65, s65, s81
	s_cselect_b32 s81, -1, 0
	v_mul_hi_u32 v30, v2, s65
	s_cmp_lg_u32 s81, 0
	v_mad_u64_u32 v[32:33], null, v23, s65, 0
	s_addc_u32 s0, s0, s82
	v_mad_u64_u32 v[15:16], null, v2, s0, 0
	v_mad_u64_u32 v[34:35], null, v23, s0, 0
	v_add_co_u32 v15, vcc_lo, v30, v15
	v_add_co_ci_u32_e64 v16, null, 0, v16, vcc_lo
	v_add_co_u32 v15, vcc_lo, v15, v32
	v_add_co_ci_u32_e32 v15, vcc_lo, v16, v33, vcc_lo
	v_add_co_ci_u32_e32 v16, vcc_lo, 0, v35, vcc_lo
	v_add_co_u32 v30, vcc_lo, v15, v34
	v_add_co_ci_u32_e64 v32, null, 0, v16, vcc_lo
	v_mul_lo_u32 v33, s67, v30
	v_mad_u64_u32 v[15:16], null, s66, v30, 0
	v_mul_lo_u32 v34, s66, v32
	v_sub_co_u32 v2, vcc_lo, v2, v15
	v_add3_u32 v16, v16, v34, v33
	v_sub_nc_u32_e32 v33, v23, v16
	v_sub_co_ci_u32_e64 v16, null, v23, v16, vcc_lo
	v_subrev_co_ci_u32_e64 v15, null, s67, v33, vcc_lo
	v_add_co_u32 v33, s0, v30, 2
	v_add_co_ci_u32_e64 v34, null, 0, v32, s0
	v_sub_co_u32 v35, s0, v2, s66
	v_subrev_co_ci_u32_e64 v15, null, 0, v15, s0
	v_cmp_le_u32_e32 vcc_lo, s66, v35
	v_cndmask_b32_e64 v23, 0, -1, vcc_lo
	v_cmp_le_u32_e32 vcc_lo, s67, v15
	v_cndmask_b32_e64 v35, 0, -1, vcc_lo
	;; [unrolled: 2-line block ×4, first 2 shown]
	v_cmp_eq_u32_e32 vcc_lo, s67, v15
	v_cndmask_b32_e32 v15, v35, v23, vcc_lo
	v_add_co_u32 v23, vcc_lo, v30, 1
	v_add_co_ci_u32_e64 v35, null, 0, v32, vcc_lo
	v_cmp_eq_u32_e32 vcc_lo, s67, v16
	v_xor_b32_e32 v16, s64, v21
	v_cndmask_b32_e32 v2, v36, v2, vcc_lo
	v_cmp_ne_u32_e32 vcc_lo, 0, v15
	v_cmp_ne_u32_e64 s0, 0, v2
	v_cndmask_b32_e32 v2, v23, v33, vcc_lo
	v_cndmask_b32_e32 v15, v35, v34, vcc_lo
	v_cndmask_b32_e64 v2, v30, v2, s0
	v_cndmask_b32_e64 v15, v32, v15, s0
	v_xor_b32_e32 v2, v2, v16
	v_xor_b32_e32 v23, v15, v16
	v_sub_co_u32 v15, vcc_lo, v2, v16
	v_sub_co_ci_u32_e64 v16, null, v23, v16, vcc_lo
.LBB11_17:                              ;   in Loop: Header=BB11_3 Depth=1
	s_andn2_saveexec_b32 s0, s80
	s_cbranch_execz .LBB11_19
; %bb.18:                               ;   in Loop: Header=BB11_3 Depth=1
	v_rcp_iflag_f32_e32 v2, v31
	s_sub_i32 s64, 0, s34
	v_mul_f32_e32 v2, 0x4f7ffffe, v2
	v_cvt_u32_f32_e32 v2, v2
	v_mul_lo_u32 v15, s64, v2
	v_mul_hi_u32 v15, v2, v15
	v_add_nc_u32_e32 v2, v2, v15
	v_mul_hi_u32 v2, v25, v2
	v_mul_lo_u32 v15, v2, s34
	v_add_nc_u32_e32 v16, 1, v2
	v_sub_nc_u32_e32 v15, v25, v15
	v_subrev_nc_u32_e32 v23, s34, v15
	v_cmp_le_u32_e32 vcc_lo, s34, v15
	v_cndmask_b32_e32 v15, v15, v23, vcc_lo
	v_cndmask_b32_e32 v2, v2, v16, vcc_lo
	v_cmp_le_u32_e32 vcc_lo, s34, v15
	v_add_nc_u32_e32 v16, 1, v2
	v_cndmask_b32_e32 v15, v2, v16, vcc_lo
	v_mov_b32_e32 v16, v1
.LBB11_19:                              ;   in Loop: Header=BB11_3 Depth=1
	s_or_b32 exec_lo, exec_lo, s0
	v_mul_lo_u32 v2, v16, s34
	v_mul_lo_u32 v23, v15, s35
	v_mad_u64_u32 v[32:33], null, v15, s34, 0
	v_mul_lo_u32 v30, v15, s13
	s_mov_b32 s0, exec_lo
	v_add3_u32 v2, v33, v23, v2
	v_mul_lo_u32 v23, v16, s12
	v_sub_co_u32 v16, vcc_lo, v11, v32
	v_sub_co_ci_u32_e64 v2, null, v12, v2, vcc_lo
	v_add_co_u32 v32, vcc_lo, v3, v16
	v_mad_u64_u32 v[15:16], null, v15, s12, 0
	v_add_co_ci_u32_e64 v2, null, v4, v2, vcc_lo
	v_mul_lo_u32 v34, v32, s15
	v_mad_u64_u32 v[32:33], null, v32, s14, 0
	v_mul_lo_u32 v2, v2, s14
	v_add3_u32 v16, v16, v30, v23
	v_lshlrev_b64 v[15:16], 1, v[15:16]
	v_add3_u32 v33, v33, v34, v2
	v_add_co_u32 v2, vcc_lo, s2, v15
	v_lshlrev_b64 v[32:33], 1, v[32:33]
	v_add_co_ci_u32_e64 v16, null, s3, v16, vcc_lo
	v_add_co_u32 v15, vcc_lo, v2, v32
	v_add_co_ci_u32_e64 v16, null, v16, v33, vcc_lo
	v_add_co_u32 v2, vcc_lo, v13, 3
	v_add_co_ci_u32_e64 v13, null, 0, v14, vcc_lo
	global_load_ushort v30, v[15:16], off
	v_mul_lo_u32 v15, s9, v2
	v_mul_lo_u32 v16, s8, v13
	v_mad_u64_u32 v[13:14], null, s8, v2, 0
	v_add3_u32 v14, v14, v16, v15
	v_add_co_u32 v34, vcc_lo, v3, v13
                                        ; implicit-def: $vgpr15_vgpr16
	v_add_co_ci_u32_e64 v35, null, v4, v14, vcc_lo
	v_or_b32_e32 v2, s35, v35
	v_ashrrev_i32_e32 v23, 31, v35
	v_cmpx_ne_u64_e32 0, v[1:2]
	s_xor_b32 s80, exec_lo, s0
	s_cbranch_execz .LBB11_21
; %bb.20:                               ;   in Loop: Header=BB11_3 Depth=1
	s_ashr_i32 s64, s35, 31
	v_add_co_u32 v16, vcc_lo, v34, v23
	s_add_u32 s66, s34, s64
	s_mov_b32 s65, s64
	s_addc_u32 s67, s35, s64
	v_add_co_ci_u32_e64 v31, null, v35, v23, vcc_lo
	s_xor_b64 s[66:67], s[66:67], s[64:65]
	v_cvt_f32_u32_e32 v2, s66
	v_cvt_f32_u32_e32 v15, s67
	s_sub_u32 s81, 0, s66
	s_subb_u32 s82, 0, s67
	v_xor_b32_e32 v33, v31, v23
	v_fmac_f32_e32 v2, 0x4f800000, v15
	v_rcp_f32_e32 v2, v2
	v_mul_f32_e32 v2, 0x5f7ffffc, v2
	v_mul_f32_e32 v15, 0x2f800000, v2
	v_trunc_f32_e32 v15, v15
	v_fmac_f32_e32 v2, 0xcf800000, v15
	v_cvt_u32_f32_e32 v15, v15
	v_cvt_u32_f32_e32 v2, v2
	v_readfirstlane_b32 s0, v15
	v_readfirstlane_b32 s65, v2
	s_mul_i32 s83, s81, s0
	v_xor_b32_e32 v2, v16, v23
	s_mul_hi_u32 s85, s81, s65
	s_mul_i32 s84, s82, s65
	s_add_i32 s83, s85, s83
	s_mul_i32 s86, s81, s65
	s_add_i32 s83, s83, s84
	s_mul_hi_u32 s85, s65, s86
	s_mul_i32 s88, s65, s83
	s_mul_hi_u32 s87, s0, s86
	s_mul_i32 s84, s0, s86
	s_mul_hi_u32 s86, s65, s83
	s_add_u32 s85, s85, s88
	s_addc_u32 s86, 0, s86
	s_mul_hi_u32 s89, s0, s83
	s_add_u32 s84, s85, s84
	s_mul_i32 s83, s0, s83
	s_addc_u32 s84, s86, s87
	s_addc_u32 s85, s89, 0
	s_add_u32 s83, s84, s83
	s_addc_u32 s84, 0, s85
	s_add_u32 s65, s65, s83
	s_cselect_b32 s83, -1, 0
	s_mul_hi_u32 s85, s81, s65
	s_cmp_lg_u32 s83, 0
	s_mul_i32 s83, s81, s65
	s_addc_u32 s0, s0, s84
	s_mul_i32 s82, s82, s65
	s_mul_i32 s81, s81, s0
	s_mul_hi_u32 s84, s65, s83
	s_add_i32 s81, s85, s81
	s_mul_hi_u32 s85, s0, s83
	s_add_i32 s81, s81, s82
	s_mul_i32 s82, s0, s83
	s_mul_i32 s87, s65, s81
	s_mul_hi_u32 s86, s65, s81
	s_add_u32 s84, s84, s87
	s_addc_u32 s86, 0, s86
	s_mul_hi_u32 s83, s0, s81
	s_add_u32 s82, s84, s82
	s_mul_i32 s81, s0, s81
	s_addc_u32 s82, s86, s85
	s_addc_u32 s83, s83, 0
	s_add_u32 s81, s82, s81
	s_addc_u32 s82, 0, s83
	s_add_u32 s65, s65, s81
	s_cselect_b32 s81, -1, 0
	v_mul_hi_u32 v38, v2, s65
	s_cmp_lg_u32 s81, 0
	v_mad_u64_u32 v[31:32], null, v33, s65, 0
	s_addc_u32 s0, s0, s82
	v_mad_u64_u32 v[15:16], null, v2, s0, 0
	v_mad_u64_u32 v[36:37], null, v33, s0, 0
	v_add_co_u32 v15, vcc_lo, v38, v15
	v_add_co_ci_u32_e64 v16, null, 0, v16, vcc_lo
	v_add_co_u32 v15, vcc_lo, v15, v31
	v_add_co_ci_u32_e32 v15, vcc_lo, v16, v32, vcc_lo
	v_add_co_ci_u32_e32 v16, vcc_lo, 0, v37, vcc_lo
	v_add_co_u32 v31, vcc_lo, v15, v36
	v_add_co_ci_u32_e64 v32, null, 0, v16, vcc_lo
	v_mul_lo_u32 v36, s67, v31
	v_mad_u64_u32 v[15:16], null, s66, v31, 0
	v_mul_lo_u32 v37, s66, v32
	v_sub_co_u32 v2, vcc_lo, v2, v15
	v_add3_u32 v16, v16, v37, v36
	v_sub_nc_u32_e32 v36, v33, v16
	v_sub_co_ci_u32_e64 v16, null, v33, v16, vcc_lo
	v_subrev_co_ci_u32_e64 v15, null, s67, v36, vcc_lo
	v_add_co_u32 v36, s0, v31, 2
	v_add_co_ci_u32_e64 v37, null, 0, v32, s0
	v_sub_co_u32 v38, s0, v2, s66
	v_subrev_co_ci_u32_e64 v15, null, 0, v15, s0
	v_cmp_le_u32_e32 vcc_lo, s66, v38
	v_cndmask_b32_e64 v33, 0, -1, vcc_lo
	v_cmp_le_u32_e32 vcc_lo, s67, v15
	v_cndmask_b32_e64 v38, 0, -1, vcc_lo
	;; [unrolled: 2-line block ×4, first 2 shown]
	v_cmp_eq_u32_e32 vcc_lo, s67, v15
	v_cndmask_b32_e32 v15, v38, v33, vcc_lo
	v_add_co_u32 v33, vcc_lo, v31, 1
	v_add_co_ci_u32_e64 v38, null, 0, v32, vcc_lo
	v_cmp_eq_u32_e32 vcc_lo, s67, v16
	v_xor_b32_e32 v16, s64, v23
	v_cndmask_b32_e32 v2, v39, v2, vcc_lo
	v_cmp_ne_u32_e32 vcc_lo, 0, v15
	v_cmp_ne_u32_e64 s0, 0, v2
	v_cndmask_b32_e32 v2, v33, v36, vcc_lo
	v_cndmask_b32_e32 v15, v38, v37, vcc_lo
	v_cndmask_b32_e64 v2, v31, v2, s0
	v_cndmask_b32_e64 v15, v32, v15, s0
	v_xor_b32_e32 v2, v2, v16
	v_xor_b32_e32 v31, v15, v16
	v_sub_co_u32 v15, vcc_lo, v2, v16
	v_sub_co_ci_u32_e64 v16, null, v31, v16, vcc_lo
                                        ; implicit-def: $vgpr31
.LBB11_21:                              ;   in Loop: Header=BB11_3 Depth=1
	s_andn2_saveexec_b32 s0, s80
	s_cbranch_execz .LBB11_23
; %bb.22:                               ;   in Loop: Header=BB11_3 Depth=1
	v_rcp_iflag_f32_e32 v2, v31
	s_sub_i32 s64, 0, s34
	v_mul_f32_e32 v2, 0x4f7ffffe, v2
	v_cvt_u32_f32_e32 v2, v2
	v_mul_lo_u32 v15, s64, v2
	v_mul_hi_u32 v15, v2, v15
	v_add_nc_u32_e32 v2, v2, v15
	v_mul_hi_u32 v2, v34, v2
	v_mul_lo_u32 v15, v2, s34
	v_add_nc_u32_e32 v16, 1, v2
	v_sub_nc_u32_e32 v15, v34, v15
	v_subrev_nc_u32_e32 v31, s34, v15
	v_cmp_le_u32_e32 vcc_lo, s34, v15
	v_cndmask_b32_e32 v15, v15, v31, vcc_lo
	v_cndmask_b32_e32 v2, v2, v16, vcc_lo
	v_cmp_le_u32_e32 vcc_lo, s34, v15
	v_add_nc_u32_e32 v16, 1, v2
	v_cndmask_b32_e32 v15, v2, v16, vcc_lo
	v_mov_b32_e32 v16, v1
.LBB11_23:                              ;   in Loop: Header=BB11_3 Depth=1
	s_or_b32 exec_lo, exec_lo, s0
	v_mul_lo_u32 v2, v16, s34
	v_mul_lo_u32 v33, v15, s35
	v_mad_u64_u32 v[31:32], null, v15, s34, 0
	v_mul_lo_u32 v36, v15, s13
	s_mov_b32 s0, exec_lo
	v_add3_u32 v2, v32, v33, v2
	v_mul_lo_u32 v33, v16, s12
	v_sub_co_u32 v16, vcc_lo, v13, v31
	v_sub_co_ci_u32_e64 v2, null, v14, v2, vcc_lo
	v_add_co_u32 v31, vcc_lo, v3, v16
	v_mad_u64_u32 v[15:16], null, v15, s12, 0
	v_add_co_ci_u32_e64 v2, null, v4, v2, vcc_lo
	v_mul_lo_u32 v37, v31, s15
	v_mad_u64_u32 v[31:32], null, v31, s14, 0
	v_mul_lo_u32 v2, v2, s14
	v_add3_u32 v16, v16, v36, v33
	v_lshlrev_b64 v[15:16], 1, v[15:16]
	v_add3_u32 v32, v32, v37, v2
	v_add_co_u32 v2, vcc_lo, s2, v15
	v_lshlrev_b64 v[31:32], 1, v[31:32]
	v_add_co_ci_u32_e64 v16, null, s3, v16, vcc_lo
	v_add_co_u32 v15, vcc_lo, v2, v31
	v_add_co_ci_u32_e64 v16, null, v16, v32, vcc_lo
	v_or_b32_e32 v2, s41, v20
	global_load_ushort v31, v[15:16], off
                                        ; implicit-def: $vgpr15_vgpr16
	v_cmpx_ne_u64_e32 0, v[1:2]
	s_xor_b32 s80, exec_lo, s0
	s_cbranch_execz .LBB11_25
; %bb.24:                               ;   in Loop: Header=BB11_3 Depth=1
	s_ashr_i32 s64, s41, 31
	v_add_co_u32 v16, vcc_lo, v18, v17
	s_add_u32 s66, s40, s64
	s_mov_b32 s65, s64
	s_addc_u32 s67, s41, s64
	v_add_co_ci_u32_e64 v32, null, v20, v17, vcc_lo
	s_xor_b64 s[66:67], s[66:67], s[64:65]
	v_cvt_f32_u32_e32 v2, s66
	v_cvt_f32_u32_e32 v15, s67
	s_sub_u32 s81, 0, s66
	s_subb_u32 s82, 0, s67
	v_xor_b32_e32 v38, v32, v17
	v_fmac_f32_e32 v2, 0x4f800000, v15
	v_rcp_f32_e32 v2, v2
	v_mul_f32_e32 v2, 0x5f7ffffc, v2
	v_mul_f32_e32 v15, 0x2f800000, v2
	v_trunc_f32_e32 v15, v15
	v_fmac_f32_e32 v2, 0xcf800000, v15
	v_cvt_u32_f32_e32 v15, v15
	v_cvt_u32_f32_e32 v2, v2
	v_readfirstlane_b32 s0, v15
	v_readfirstlane_b32 s65, v2
	s_mul_i32 s83, s81, s0
	v_xor_b32_e32 v2, v16, v17
	s_mul_hi_u32 s85, s81, s65
	s_mul_i32 s84, s82, s65
	s_add_i32 s83, s85, s83
	s_mul_i32 s86, s81, s65
	s_add_i32 s83, s83, s84
	s_mul_hi_u32 s85, s65, s86
	s_mul_i32 s88, s65, s83
	s_mul_hi_u32 s87, s0, s86
	s_mul_i32 s84, s0, s86
	s_mul_hi_u32 s86, s65, s83
	s_add_u32 s85, s85, s88
	s_addc_u32 s86, 0, s86
	s_mul_hi_u32 s89, s0, s83
	s_add_u32 s84, s85, s84
	s_mul_i32 s83, s0, s83
	s_addc_u32 s84, s86, s87
	s_addc_u32 s85, s89, 0
	s_add_u32 s83, s84, s83
	s_addc_u32 s84, 0, s85
	s_add_u32 s65, s65, s83
	s_cselect_b32 s83, -1, 0
	s_mul_hi_u32 s85, s81, s65
	s_cmp_lg_u32 s83, 0
	s_mul_i32 s83, s81, s65
	s_addc_u32 s0, s0, s84
	s_mul_i32 s82, s82, s65
	s_mul_i32 s81, s81, s0
	s_mul_hi_u32 s84, s65, s83
	s_add_i32 s81, s85, s81
	s_mul_hi_u32 s85, s0, s83
	s_add_i32 s81, s81, s82
	s_mul_i32 s82, s0, s83
	s_mul_i32 s87, s65, s81
	s_mul_hi_u32 s86, s65, s81
	s_add_u32 s84, s84, s87
	s_addc_u32 s86, 0, s86
	s_mul_hi_u32 s83, s0, s81
	s_add_u32 s82, s84, s82
	s_mul_i32 s81, s0, s81
	s_addc_u32 s82, s86, s85
	s_addc_u32 s83, s83, 0
	s_add_u32 s81, s82, s81
	s_addc_u32 s82, 0, s83
	s_add_u32 s65, s65, s81
	s_cselect_b32 s81, -1, 0
	v_mul_hi_u32 v39, v2, s65
	s_cmp_lg_u32 s81, 0
	v_mad_u64_u32 v[32:33], null, v38, s65, 0
	s_addc_u32 s0, s0, s82
	v_mad_u64_u32 v[15:16], null, v2, s0, 0
	v_mad_u64_u32 v[36:37], null, v38, s0, 0
	v_add_co_u32 v15, vcc_lo, v39, v15
	v_add_co_ci_u32_e64 v16, null, 0, v16, vcc_lo
	v_add_co_u32 v15, vcc_lo, v15, v32
	v_add_co_ci_u32_e32 v15, vcc_lo, v16, v33, vcc_lo
	v_add_co_ci_u32_e32 v16, vcc_lo, 0, v37, vcc_lo
	v_add_co_u32 v32, vcc_lo, v15, v36
	v_add_co_ci_u32_e64 v33, null, 0, v16, vcc_lo
	v_mul_lo_u32 v36, s67, v32
	v_mad_u64_u32 v[15:16], null, s66, v32, 0
	v_mul_lo_u32 v37, s66, v33
	v_sub_co_u32 v2, vcc_lo, v2, v15
	v_add3_u32 v16, v16, v37, v36
	v_sub_nc_u32_e32 v36, v38, v16
	v_sub_co_ci_u32_e64 v16, null, v38, v16, vcc_lo
	v_subrev_co_ci_u32_e64 v15, null, s67, v36, vcc_lo
	v_add_co_u32 v36, s0, v32, 2
	v_add_co_ci_u32_e64 v37, null, 0, v33, s0
	v_sub_co_u32 v39, s0, v2, s66
	v_subrev_co_ci_u32_e64 v15, null, 0, v15, s0
	v_cmp_le_u32_e32 vcc_lo, s66, v39
	v_cndmask_b32_e64 v38, 0, -1, vcc_lo
	v_cmp_le_u32_e32 vcc_lo, s67, v15
	v_cndmask_b32_e64 v39, 0, -1, vcc_lo
	;; [unrolled: 2-line block ×4, first 2 shown]
	v_cmp_eq_u32_e32 vcc_lo, s67, v15
	v_cndmask_b32_e32 v15, v39, v38, vcc_lo
	v_add_co_u32 v38, vcc_lo, v32, 1
	v_add_co_ci_u32_e64 v39, null, 0, v33, vcc_lo
	v_cmp_eq_u32_e32 vcc_lo, s67, v16
	v_xor_b32_e32 v16, s64, v17
	v_cndmask_b32_e32 v2, v40, v2, vcc_lo
	v_cmp_ne_u32_e32 vcc_lo, 0, v15
	v_cmp_ne_u32_e64 s0, 0, v2
	v_cndmask_b32_e32 v2, v38, v36, vcc_lo
	v_cndmask_b32_e32 v15, v39, v37, vcc_lo
	v_cndmask_b32_e64 v2, v32, v2, s0
	v_cndmask_b32_e64 v15, v33, v15, s0
	v_xor_b32_e32 v2, v2, v16
	v_xor_b32_e32 v32, v15, v16
	v_sub_co_u32 v15, vcc_lo, v2, v16
	v_sub_co_ci_u32_e64 v16, null, v32, v16, vcc_lo
.LBB11_25:                              ;   in Loop: Header=BB11_3 Depth=1
	s_or_saveexec_b32 s0, s80
	v_cvt_f32_u32_e32 v37, s40
	s_xor_b32 exec_lo, exec_lo, s0
	s_cbranch_execz .LBB11_27
; %bb.26:                               ;   in Loop: Header=BB11_3 Depth=1
	v_rcp_iflag_f32_e32 v2, v37
	s_sub_i32 s64, 0, s40
	v_mul_f32_e32 v2, 0x4f7ffffe, v2
	v_cvt_u32_f32_e32 v2, v2
	v_mul_lo_u32 v15, s64, v2
	v_mul_hi_u32 v15, v2, v15
	v_add_nc_u32_e32 v2, v2, v15
	v_mul_hi_u32 v2, v18, v2
	v_mul_lo_u32 v15, v2, s40
	v_add_nc_u32_e32 v16, 1, v2
	v_sub_nc_u32_e32 v15, v18, v15
	v_subrev_nc_u32_e32 v32, s40, v15
	v_cmp_le_u32_e32 vcc_lo, s40, v15
	v_cndmask_b32_e32 v15, v15, v32, vcc_lo
	v_cndmask_b32_e32 v2, v2, v16, vcc_lo
	v_cmp_le_u32_e32 vcc_lo, s40, v15
	v_add_nc_u32_e32 v16, 1, v2
	v_cndmask_b32_e32 v15, v2, v16, vcc_lo
	v_mov_b32_e32 v16, v1
.LBB11_27:                              ;   in Loop: Header=BB11_3 Depth=1
	s_or_b32 exec_lo, exec_lo, s0
	v_mul_lo_u32 v2, v16, s40
	v_mul_lo_u32 v36, v15, s41
	v_mad_u64_u32 v[32:33], null, v15, s40, 0
	v_mul_lo_u32 v38, v15, s17
	s_mov_b32 s0, exec_lo
	v_add3_u32 v2, v33, v36, v2
	v_mul_lo_u32 v36, v16, s16
	v_sub_co_u32 v16, vcc_lo, v5, v32
	v_sub_co_ci_u32_e64 v2, null, v6, v2, vcc_lo
	v_add_co_u32 v32, vcc_lo, v3, v16
	v_mad_u64_u32 v[15:16], null, v15, s16, 0
	v_add_co_ci_u32_e64 v2, null, v4, v2, vcc_lo
	v_mul_lo_u32 v39, v32, s19
	v_mad_u64_u32 v[32:33], null, v32, s18, 0
	v_mul_lo_u32 v2, v2, s18
	v_add3_u32 v16, v16, v38, v36
	v_lshlrev_b64 v[15:16], 1, v[15:16]
	v_add3_u32 v33, v33, v39, v2
	v_add_co_u32 v2, vcc_lo, s36, v15
	v_lshlrev_b64 v[32:33], 1, v[32:33]
	v_add_co_ci_u32_e64 v16, null, s37, v16, vcc_lo
	v_add_co_u32 v15, vcc_lo, v2, v32
	v_add_co_ci_u32_e64 v16, null, v16, v33, vcc_lo
	v_or_b32_e32 v2, s41, v24
	global_load_ushort v32, v[15:16], off
                                        ; implicit-def: $vgpr15_vgpr16
	v_cmpx_ne_u64_e32 0, v[1:2]
	s_xor_b32 s80, exec_lo, s0
	s_cbranch_execz .LBB11_29
; %bb.28:                               ;   in Loop: Header=BB11_3 Depth=1
	s_ashr_i32 s64, s41, 31
	v_add_co_u32 v16, vcc_lo, v22, v19
	s_add_u32 s66, s40, s64
	s_mov_b32 s65, s64
	s_addc_u32 s67, s41, s64
	v_add_co_ci_u32_e64 v33, null, v24, v19, vcc_lo
	s_xor_b64 s[66:67], s[66:67], s[64:65]
	v_cvt_f32_u32_e32 v2, s66
	v_cvt_f32_u32_e32 v15, s67
	s_sub_u32 s81, 0, s66
	s_subb_u32 s82, 0, s67
	v_xor_b32_e32 v33, v33, v19
	v_fmac_f32_e32 v2, 0x4f800000, v15
	v_rcp_f32_e32 v2, v2
	v_mul_f32_e32 v2, 0x5f7ffffc, v2
	v_mul_f32_e32 v15, 0x2f800000, v2
	v_trunc_f32_e32 v15, v15
	v_fmac_f32_e32 v2, 0xcf800000, v15
	v_cvt_u32_f32_e32 v15, v15
	v_cvt_u32_f32_e32 v2, v2
	v_readfirstlane_b32 s0, v15
	v_readfirstlane_b32 s65, v2
	s_mul_i32 s83, s81, s0
	v_xor_b32_e32 v2, v16, v19
	s_mul_hi_u32 s85, s81, s65
	s_mul_i32 s84, s82, s65
	s_add_i32 s83, s85, s83
	s_mul_i32 s86, s81, s65
	s_add_i32 s83, s83, s84
	s_mul_hi_u32 s85, s65, s86
	s_mul_i32 s88, s65, s83
	s_mul_hi_u32 s87, s0, s86
	s_mul_i32 s84, s0, s86
	s_mul_hi_u32 s86, s65, s83
	s_add_u32 s85, s85, s88
	s_addc_u32 s86, 0, s86
	s_mul_hi_u32 s89, s0, s83
	s_add_u32 s84, s85, s84
	s_mul_i32 s83, s0, s83
	s_addc_u32 s84, s86, s87
	s_addc_u32 s85, s89, 0
	s_add_u32 s83, s84, s83
	s_addc_u32 s84, 0, s85
	s_add_u32 s65, s65, s83
	s_cselect_b32 s83, -1, 0
	s_mul_hi_u32 s85, s81, s65
	s_cmp_lg_u32 s83, 0
	s_mul_i32 s83, s81, s65
	s_addc_u32 s0, s0, s84
	s_mul_i32 s82, s82, s65
	s_mul_i32 s81, s81, s0
	s_mul_hi_u32 s84, s65, s83
	s_add_i32 s81, s85, s81
	s_mul_hi_u32 s85, s0, s83
	s_add_i32 s81, s81, s82
	s_mul_i32 s82, s0, s83
	s_mul_i32 s87, s65, s81
	s_mul_hi_u32 s86, s65, s81
	s_add_u32 s84, s84, s87
	s_addc_u32 s86, 0, s86
	s_mul_hi_u32 s83, s0, s81
	s_add_u32 s82, s84, s82
	s_mul_i32 s81, s0, s81
	s_addc_u32 s82, s86, s85
	s_addc_u32 s83, s83, 0
	s_add_u32 s81, s82, s81
	s_addc_u32 s82, 0, s83
	s_add_u32 s65, s65, s81
	s_cselect_b32 s81, -1, 0
	v_mul_hi_u32 v36, v2, s65
	s_cmp_lg_u32 s81, 0
	v_mad_u64_u32 v[38:39], null, v33, s65, 0
	s_addc_u32 s0, s0, s82
	v_mad_u64_u32 v[15:16], null, v2, s0, 0
	v_mad_u64_u32 v[40:41], null, v33, s0, 0
	v_add_co_u32 v15, vcc_lo, v36, v15
	v_add_co_ci_u32_e64 v16, null, 0, v16, vcc_lo
	v_add_co_u32 v15, vcc_lo, v15, v38
	v_add_co_ci_u32_e32 v15, vcc_lo, v16, v39, vcc_lo
	v_add_co_ci_u32_e32 v16, vcc_lo, 0, v41, vcc_lo
	v_add_co_u32 v36, vcc_lo, v15, v40
	v_add_co_ci_u32_e64 v38, null, 0, v16, vcc_lo
	v_mul_lo_u32 v39, s67, v36
	v_mad_u64_u32 v[15:16], null, s66, v36, 0
	v_mul_lo_u32 v40, s66, v38
	v_sub_co_u32 v2, vcc_lo, v2, v15
	v_add3_u32 v16, v16, v40, v39
	v_sub_nc_u32_e32 v39, v33, v16
	v_sub_co_ci_u32_e64 v16, null, v33, v16, vcc_lo
	v_subrev_co_ci_u32_e64 v15, null, s67, v39, vcc_lo
	v_add_co_u32 v39, s0, v36, 2
	v_add_co_ci_u32_e64 v40, null, 0, v38, s0
	v_sub_co_u32 v41, s0, v2, s66
	v_subrev_co_ci_u32_e64 v15, null, 0, v15, s0
	v_cmp_le_u32_e32 vcc_lo, s66, v41
	v_cndmask_b32_e64 v33, 0, -1, vcc_lo
	v_cmp_le_u32_e32 vcc_lo, s67, v15
	v_cndmask_b32_e64 v41, 0, -1, vcc_lo
	v_cmp_le_u32_e32 vcc_lo, s66, v2
	v_cndmask_b32_e64 v2, 0, -1, vcc_lo
	v_cmp_le_u32_e32 vcc_lo, s67, v16
	v_cndmask_b32_e64 v42, 0, -1, vcc_lo
	v_cmp_eq_u32_e32 vcc_lo, s67, v15
	v_cndmask_b32_e32 v15, v41, v33, vcc_lo
	v_add_co_u32 v33, vcc_lo, v36, 1
	v_add_co_ci_u32_e64 v41, null, 0, v38, vcc_lo
	v_cmp_eq_u32_e32 vcc_lo, s67, v16
	v_xor_b32_e32 v16, s64, v19
	v_cndmask_b32_e32 v2, v42, v2, vcc_lo
	v_cmp_ne_u32_e32 vcc_lo, 0, v15
	v_cmp_ne_u32_e64 s0, 0, v2
	v_cndmask_b32_e32 v2, v33, v39, vcc_lo
	v_cndmask_b32_e32 v15, v41, v40, vcc_lo
	v_cndmask_b32_e64 v2, v36, v2, s0
	v_cndmask_b32_e64 v15, v38, v15, s0
	v_xor_b32_e32 v2, v2, v16
	v_xor_b32_e32 v33, v15, v16
	v_sub_co_u32 v15, vcc_lo, v2, v16
	v_sub_co_ci_u32_e64 v16, null, v33, v16, vcc_lo
.LBB11_29:                              ;   in Loop: Header=BB11_3 Depth=1
	s_andn2_saveexec_b32 s0, s80
	s_cbranch_execz .LBB11_31
; %bb.30:                               ;   in Loop: Header=BB11_3 Depth=1
	v_rcp_iflag_f32_e32 v2, v37
	s_sub_i32 s64, 0, s40
	v_mul_f32_e32 v2, 0x4f7ffffe, v2
	v_cvt_u32_f32_e32 v2, v2
	v_mul_lo_u32 v15, s64, v2
	v_mul_hi_u32 v15, v2, v15
	v_add_nc_u32_e32 v2, v2, v15
	v_mul_hi_u32 v2, v22, v2
	v_mul_lo_u32 v15, v2, s40
	v_add_nc_u32_e32 v16, 1, v2
	v_sub_nc_u32_e32 v15, v22, v15
	v_subrev_nc_u32_e32 v33, s40, v15
	v_cmp_le_u32_e32 vcc_lo, s40, v15
	v_cndmask_b32_e32 v15, v15, v33, vcc_lo
	v_cndmask_b32_e32 v2, v2, v16, vcc_lo
	v_cmp_le_u32_e32 vcc_lo, s40, v15
	v_add_nc_u32_e32 v16, 1, v2
	v_cndmask_b32_e32 v15, v2, v16, vcc_lo
	v_mov_b32_e32 v16, v1
.LBB11_31:                              ;   in Loop: Header=BB11_3 Depth=1
	s_or_b32 exec_lo, exec_lo, s0
	v_mul_lo_u32 v2, v16, s40
	v_mul_lo_u32 v33, v15, s41
	v_mad_u64_u32 v[38:39], null, v15, s40, 0
	v_mul_lo_u32 v36, v15, s17
	s_mov_b32 s0, exec_lo
	v_add3_u32 v2, v39, v33, v2
	v_mul_lo_u32 v33, v16, s16
	v_sub_co_u32 v16, vcc_lo, v7, v38
	v_sub_co_ci_u32_e64 v2, null, v8, v2, vcc_lo
	v_add_co_u32 v38, vcc_lo, v3, v16
	v_mad_u64_u32 v[15:16], null, v15, s16, 0
	v_add_co_ci_u32_e64 v2, null, v4, v2, vcc_lo
	v_mul_lo_u32 v40, v38, s19
	v_mad_u64_u32 v[38:39], null, v38, s18, 0
	v_mul_lo_u32 v2, v2, s18
	v_add3_u32 v16, v16, v36, v33
	v_lshlrev_b64 v[15:16], 1, v[15:16]
	v_add3_u32 v39, v39, v40, v2
	v_add_co_u32 v2, vcc_lo, s36, v15
	v_lshlrev_b64 v[38:39], 1, v[38:39]
	v_add_co_ci_u32_e64 v16, null, s37, v16, vcc_lo
	v_add_co_u32 v15, vcc_lo, v2, v38
	v_add_co_ci_u32_e64 v16, null, v16, v39, vcc_lo
	v_or_b32_e32 v2, s41, v26
	global_load_ushort v33, v[15:16], off
                                        ; implicit-def: $vgpr15_vgpr16
	v_cmpx_ne_u64_e32 0, v[1:2]
	s_xor_b32 s80, exec_lo, s0
	s_cbranch_execz .LBB11_33
; %bb.32:                               ;   in Loop: Header=BB11_3 Depth=1
	s_ashr_i32 s64, s41, 31
	v_add_co_u32 v16, vcc_lo, v25, v21
	s_add_u32 s66, s40, s64
	s_mov_b32 s65, s64
	s_addc_u32 s67, s41, s64
	v_add_co_ci_u32_e64 v36, null, v26, v21, vcc_lo
	s_xor_b64 s[66:67], s[66:67], s[64:65]
	v_cvt_f32_u32_e32 v2, s66
	v_cvt_f32_u32_e32 v15, s67
	s_sub_u32 s81, 0, s66
	s_subb_u32 s82, 0, s67
	v_xor_b32_e32 v36, v36, v21
	v_fmac_f32_e32 v2, 0x4f800000, v15
	v_rcp_f32_e32 v2, v2
	v_mul_f32_e32 v2, 0x5f7ffffc, v2
	v_mul_f32_e32 v15, 0x2f800000, v2
	v_trunc_f32_e32 v15, v15
	v_fmac_f32_e32 v2, 0xcf800000, v15
	v_cvt_u32_f32_e32 v15, v15
	v_cvt_u32_f32_e32 v2, v2
	v_readfirstlane_b32 s0, v15
	v_readfirstlane_b32 s65, v2
	s_mul_i32 s83, s81, s0
	v_xor_b32_e32 v2, v16, v21
	s_mul_hi_u32 s85, s81, s65
	s_mul_i32 s84, s82, s65
	s_add_i32 s83, s85, s83
	s_mul_i32 s86, s81, s65
	s_add_i32 s83, s83, s84
	s_mul_hi_u32 s85, s65, s86
	s_mul_i32 s88, s65, s83
	s_mul_hi_u32 s87, s0, s86
	s_mul_i32 s84, s0, s86
	s_mul_hi_u32 s86, s65, s83
	s_add_u32 s85, s85, s88
	s_addc_u32 s86, 0, s86
	s_mul_hi_u32 s89, s0, s83
	s_add_u32 s84, s85, s84
	s_mul_i32 s83, s0, s83
	s_addc_u32 s84, s86, s87
	s_addc_u32 s85, s89, 0
	s_add_u32 s83, s84, s83
	s_addc_u32 s84, 0, s85
	s_add_u32 s65, s65, s83
	s_cselect_b32 s83, -1, 0
	s_mul_hi_u32 s85, s81, s65
	s_cmp_lg_u32 s83, 0
	s_mul_i32 s83, s81, s65
	s_addc_u32 s0, s0, s84
	s_mul_i32 s82, s82, s65
	s_mul_i32 s81, s81, s0
	s_mul_hi_u32 s84, s65, s83
	s_add_i32 s81, s85, s81
	s_mul_hi_u32 s85, s0, s83
	s_add_i32 s81, s81, s82
	s_mul_i32 s82, s0, s83
	s_mul_i32 s87, s65, s81
	s_mul_hi_u32 s86, s65, s81
	s_add_u32 s84, s84, s87
	s_addc_u32 s86, 0, s86
	s_mul_hi_u32 s83, s0, s81
	s_add_u32 s82, s84, s82
	s_mul_i32 s81, s0, s81
	s_addc_u32 s82, s86, s85
	s_addc_u32 s83, s83, 0
	s_add_u32 s81, s82, s81
	s_addc_u32 s82, 0, s83
	s_add_u32 s65, s65, s81
	s_cselect_b32 s81, -1, 0
	v_mul_hi_u32 v42, v2, s65
	s_cmp_lg_u32 s81, 0
	v_mad_u64_u32 v[38:39], null, v36, s65, 0
	s_addc_u32 s0, s0, s82
	v_mad_u64_u32 v[15:16], null, v2, s0, 0
	v_mad_u64_u32 v[40:41], null, v36, s0, 0
	v_add_co_u32 v15, vcc_lo, v42, v15
	v_add_co_ci_u32_e64 v16, null, 0, v16, vcc_lo
	v_add_co_u32 v15, vcc_lo, v15, v38
	v_add_co_ci_u32_e32 v15, vcc_lo, v16, v39, vcc_lo
	v_add_co_ci_u32_e32 v16, vcc_lo, 0, v41, vcc_lo
	v_add_co_u32 v38, vcc_lo, v15, v40
	v_add_co_ci_u32_e64 v39, null, 0, v16, vcc_lo
	v_mul_lo_u32 v40, s67, v38
	v_mad_u64_u32 v[15:16], null, s66, v38, 0
	v_mul_lo_u32 v41, s66, v39
	v_sub_co_u32 v2, vcc_lo, v2, v15
	v_add3_u32 v16, v16, v41, v40
	v_sub_nc_u32_e32 v40, v36, v16
	v_sub_co_ci_u32_e64 v16, null, v36, v16, vcc_lo
	v_subrev_co_ci_u32_e64 v15, null, s67, v40, vcc_lo
	v_add_co_u32 v40, s0, v38, 2
	v_add_co_ci_u32_e64 v41, null, 0, v39, s0
	v_sub_co_u32 v42, s0, v2, s66
	v_subrev_co_ci_u32_e64 v15, null, 0, v15, s0
	v_cmp_le_u32_e32 vcc_lo, s66, v42
	v_cndmask_b32_e64 v36, 0, -1, vcc_lo
	v_cmp_le_u32_e32 vcc_lo, s67, v15
	v_cndmask_b32_e64 v42, 0, -1, vcc_lo
	;; [unrolled: 2-line block ×4, first 2 shown]
	v_cmp_eq_u32_e32 vcc_lo, s67, v15
	v_cndmask_b32_e32 v15, v42, v36, vcc_lo
	v_add_co_u32 v36, vcc_lo, v38, 1
	v_add_co_ci_u32_e64 v42, null, 0, v39, vcc_lo
	v_cmp_eq_u32_e32 vcc_lo, s67, v16
	v_xor_b32_e32 v16, s64, v21
	v_cndmask_b32_e32 v2, v43, v2, vcc_lo
	v_cmp_ne_u32_e32 vcc_lo, 0, v15
	v_cmp_ne_u32_e64 s0, 0, v2
	v_cndmask_b32_e32 v2, v36, v40, vcc_lo
	v_cndmask_b32_e32 v15, v42, v41, vcc_lo
	v_cndmask_b32_e64 v2, v38, v2, s0
	v_cndmask_b32_e64 v15, v39, v15, s0
	v_xor_b32_e32 v2, v2, v16
	v_xor_b32_e32 v36, v15, v16
	v_sub_co_u32 v15, vcc_lo, v2, v16
	v_sub_co_ci_u32_e64 v16, null, v36, v16, vcc_lo
.LBB11_33:                              ;   in Loop: Header=BB11_3 Depth=1
	s_andn2_saveexec_b32 s0, s80
	s_cbranch_execz .LBB11_35
; %bb.34:                               ;   in Loop: Header=BB11_3 Depth=1
	v_rcp_iflag_f32_e32 v2, v37
	s_sub_i32 s64, 0, s40
	v_mul_f32_e32 v2, 0x4f7ffffe, v2
	v_cvt_u32_f32_e32 v2, v2
	v_mul_lo_u32 v15, s64, v2
	v_mul_hi_u32 v15, v2, v15
	v_add_nc_u32_e32 v2, v2, v15
	v_mul_hi_u32 v2, v25, v2
	v_mul_lo_u32 v15, v2, s40
	v_add_nc_u32_e32 v16, 1, v2
	v_sub_nc_u32_e32 v15, v25, v15
	v_subrev_nc_u32_e32 v36, s40, v15
	v_cmp_le_u32_e32 vcc_lo, s40, v15
	v_cndmask_b32_e32 v15, v15, v36, vcc_lo
	v_cndmask_b32_e32 v2, v2, v16, vcc_lo
	v_cmp_le_u32_e32 vcc_lo, s40, v15
	v_add_nc_u32_e32 v16, 1, v2
	v_cndmask_b32_e32 v15, v2, v16, vcc_lo
	v_mov_b32_e32 v16, v1
.LBB11_35:                              ;   in Loop: Header=BB11_3 Depth=1
	s_or_b32 exec_lo, exec_lo, s0
	v_mul_lo_u32 v2, v16, s40
	v_mul_lo_u32 v36, v15, s41
	v_mad_u64_u32 v[38:39], null, v15, s40, 0
	v_mul_lo_u32 v40, v15, s17
	s_mov_b32 s0, exec_lo
	v_add3_u32 v2, v39, v36, v2
	v_mul_lo_u32 v36, v16, s16
	v_sub_co_u32 v16, vcc_lo, v11, v38
	v_sub_co_ci_u32_e64 v2, null, v12, v2, vcc_lo
	v_add_co_u32 v38, vcc_lo, v3, v16
	v_mad_u64_u32 v[15:16], null, v15, s16, 0
	v_add_co_ci_u32_e64 v2, null, v4, v2, vcc_lo
	v_mul_lo_u32 v41, v38, s19
	v_mad_u64_u32 v[38:39], null, v38, s18, 0
	v_mul_lo_u32 v2, v2, s18
	v_add3_u32 v16, v16, v40, v36
	v_lshlrev_b64 v[15:16], 1, v[15:16]
	v_add3_u32 v39, v39, v41, v2
	v_add_co_u32 v2, vcc_lo, s36, v15
	v_lshlrev_b64 v[38:39], 1, v[38:39]
	v_add_co_ci_u32_e64 v16, null, s37, v16, vcc_lo
	v_add_co_u32 v15, vcc_lo, v2, v38
	v_add_co_ci_u32_e64 v16, null, v16, v39, vcc_lo
	v_or_b32_e32 v2, s41, v35
	global_load_ushort v36, v[15:16], off
                                        ; implicit-def: $vgpr15_vgpr16
	v_cmpx_ne_u64_e32 0, v[1:2]
	s_xor_b32 s80, exec_lo, s0
	s_cbranch_execz .LBB11_37
; %bb.36:                               ;   in Loop: Header=BB11_3 Depth=1
	s_ashr_i32 s64, s41, 31
	v_add_co_u32 v16, vcc_lo, v34, v23
	s_add_u32 s66, s40, s64
	s_mov_b32 s65, s64
	s_addc_u32 s67, s41, s64
	v_add_co_ci_u32_e64 v37, null, v35, v23, vcc_lo
	s_xor_b64 s[66:67], s[66:67], s[64:65]
	v_cvt_f32_u32_e32 v2, s66
	v_cvt_f32_u32_e32 v15, s67
	s_sub_u32 s81, 0, s66
	s_subb_u32 s82, 0, s67
	v_xor_b32_e32 v41, v37, v23
	v_fmac_f32_e32 v2, 0x4f800000, v15
	v_rcp_f32_e32 v2, v2
	v_mul_f32_e32 v2, 0x5f7ffffc, v2
	v_mul_f32_e32 v15, 0x2f800000, v2
	v_trunc_f32_e32 v15, v15
	v_fmac_f32_e32 v2, 0xcf800000, v15
	v_cvt_u32_f32_e32 v15, v15
	v_cvt_u32_f32_e32 v2, v2
	v_readfirstlane_b32 s0, v15
	v_readfirstlane_b32 s65, v2
	s_mul_i32 s83, s81, s0
	v_xor_b32_e32 v2, v16, v23
	s_mul_hi_u32 s85, s81, s65
	s_mul_i32 s84, s82, s65
	s_add_i32 s83, s85, s83
	s_mul_i32 s86, s81, s65
	s_add_i32 s83, s83, s84
	s_mul_hi_u32 s85, s65, s86
	s_mul_i32 s88, s65, s83
	s_mul_hi_u32 s87, s0, s86
	s_mul_i32 s84, s0, s86
	s_mul_hi_u32 s86, s65, s83
	s_add_u32 s85, s85, s88
	s_addc_u32 s86, 0, s86
	s_mul_hi_u32 s89, s0, s83
	s_add_u32 s84, s85, s84
	s_mul_i32 s83, s0, s83
	s_addc_u32 s84, s86, s87
	s_addc_u32 s85, s89, 0
	s_add_u32 s83, s84, s83
	s_addc_u32 s84, 0, s85
	s_add_u32 s65, s65, s83
	s_cselect_b32 s83, -1, 0
	s_mul_hi_u32 s85, s81, s65
	s_cmp_lg_u32 s83, 0
	s_mul_i32 s83, s81, s65
	s_addc_u32 s0, s0, s84
	s_mul_i32 s82, s82, s65
	s_mul_i32 s81, s81, s0
	s_mul_hi_u32 s84, s65, s83
	s_add_i32 s81, s85, s81
	s_mul_hi_u32 s85, s0, s83
	s_add_i32 s81, s81, s82
	s_mul_i32 s82, s0, s83
	s_mul_i32 s87, s65, s81
	s_mul_hi_u32 s86, s65, s81
	s_add_u32 s84, s84, s87
	s_addc_u32 s86, 0, s86
	s_mul_hi_u32 s83, s0, s81
	s_add_u32 s82, s84, s82
	s_mul_i32 s81, s0, s81
	s_addc_u32 s82, s86, s85
	s_addc_u32 s83, s83, 0
	s_add_u32 s81, s82, s81
	s_addc_u32 s82, 0, s83
	s_add_u32 s65, s65, s81
	s_cselect_b32 s81, -1, 0
	v_mul_hi_u32 v42, v2, s65
	s_cmp_lg_u32 s81, 0
	v_mad_u64_u32 v[37:38], null, v41, s65, 0
	s_addc_u32 s0, s0, s82
	v_mad_u64_u32 v[15:16], null, v2, s0, 0
	v_mad_u64_u32 v[39:40], null, v41, s0, 0
	v_add_co_u32 v15, vcc_lo, v42, v15
	v_add_co_ci_u32_e64 v16, null, 0, v16, vcc_lo
	v_add_co_u32 v15, vcc_lo, v15, v37
	v_add_co_ci_u32_e32 v15, vcc_lo, v16, v38, vcc_lo
	v_add_co_ci_u32_e32 v16, vcc_lo, 0, v40, vcc_lo
	v_add_co_u32 v37, vcc_lo, v15, v39
	v_add_co_ci_u32_e64 v38, null, 0, v16, vcc_lo
	v_mul_lo_u32 v39, s67, v37
	v_mad_u64_u32 v[15:16], null, s66, v37, 0
	v_mul_lo_u32 v40, s66, v38
	v_sub_co_u32 v2, vcc_lo, v2, v15
	v_add3_u32 v16, v16, v40, v39
	v_sub_nc_u32_e32 v39, v41, v16
	v_sub_co_ci_u32_e64 v16, null, v41, v16, vcc_lo
	v_subrev_co_ci_u32_e64 v15, null, s67, v39, vcc_lo
	v_add_co_u32 v39, s0, v37, 2
	v_add_co_ci_u32_e64 v40, null, 0, v38, s0
	v_sub_co_u32 v42, s0, v2, s66
	v_subrev_co_ci_u32_e64 v15, null, 0, v15, s0
	v_cmp_le_u32_e32 vcc_lo, s66, v42
	v_cndmask_b32_e64 v41, 0, -1, vcc_lo
	v_cmp_le_u32_e32 vcc_lo, s67, v15
	v_cndmask_b32_e64 v42, 0, -1, vcc_lo
	;; [unrolled: 2-line block ×4, first 2 shown]
	v_cmp_eq_u32_e32 vcc_lo, s67, v15
	v_cndmask_b32_e32 v15, v42, v41, vcc_lo
	v_add_co_u32 v41, vcc_lo, v37, 1
	v_add_co_ci_u32_e64 v42, null, 0, v38, vcc_lo
	v_cmp_eq_u32_e32 vcc_lo, s67, v16
	v_xor_b32_e32 v16, s64, v23
	v_cndmask_b32_e32 v2, v43, v2, vcc_lo
	v_cmp_ne_u32_e32 vcc_lo, 0, v15
	v_cmp_ne_u32_e64 s0, 0, v2
	v_cndmask_b32_e32 v2, v41, v39, vcc_lo
	v_cndmask_b32_e32 v15, v42, v40, vcc_lo
	v_cndmask_b32_e64 v2, v37, v2, s0
	v_cndmask_b32_e64 v15, v38, v15, s0
	v_xor_b32_e32 v2, v2, v16
	v_xor_b32_e32 v37, v15, v16
	v_sub_co_u32 v15, vcc_lo, v2, v16
	v_sub_co_ci_u32_e64 v16, null, v37, v16, vcc_lo
                                        ; implicit-def: $vgpr37
.LBB11_37:                              ;   in Loop: Header=BB11_3 Depth=1
	s_andn2_saveexec_b32 s0, s80
	s_cbranch_execz .LBB11_39
; %bb.38:                               ;   in Loop: Header=BB11_3 Depth=1
	v_rcp_iflag_f32_e32 v2, v37
	s_sub_i32 s64, 0, s40
	v_mul_f32_e32 v2, 0x4f7ffffe, v2
	v_cvt_u32_f32_e32 v2, v2
	v_mul_lo_u32 v15, s64, v2
	v_mul_hi_u32 v15, v2, v15
	v_add_nc_u32_e32 v2, v2, v15
	v_mul_hi_u32 v2, v34, v2
	v_mul_lo_u32 v15, v2, s40
	v_add_nc_u32_e32 v16, 1, v2
	v_sub_nc_u32_e32 v15, v34, v15
	v_subrev_nc_u32_e32 v37, s40, v15
	v_cmp_le_u32_e32 vcc_lo, s40, v15
	v_cndmask_b32_e32 v15, v15, v37, vcc_lo
	v_cndmask_b32_e32 v2, v2, v16, vcc_lo
	v_cmp_le_u32_e32 vcc_lo, s40, v15
	v_add_nc_u32_e32 v16, 1, v2
	v_cndmask_b32_e32 v15, v2, v16, vcc_lo
	v_mov_b32_e32 v16, v1
.LBB11_39:                              ;   in Loop: Header=BB11_3 Depth=1
	s_or_b32 exec_lo, exec_lo, s0
	v_mul_lo_u32 v2, v16, s40
	v_mul_lo_u32 v39, v15, s41
	v_mad_u64_u32 v[37:38], null, v15, s40, 0
	v_mul_lo_u32 v40, v15, s17
	s_mov_b32 s0, exec_lo
	v_add3_u32 v2, v38, v39, v2
	v_mul_lo_u32 v39, v16, s16
	v_sub_co_u32 v16, vcc_lo, v13, v37
	v_sub_co_ci_u32_e64 v2, null, v14, v2, vcc_lo
	v_add_co_u32 v37, vcc_lo, v3, v16
	v_mad_u64_u32 v[15:16], null, v15, s16, 0
	v_add_co_ci_u32_e64 v2, null, v4, v2, vcc_lo
	v_mul_lo_u32 v41, v37, s19
	v_mad_u64_u32 v[37:38], null, v37, s18, 0
	v_mul_lo_u32 v2, v2, s18
	v_add3_u32 v16, v16, v40, v39
	v_lshlrev_b64 v[15:16], 1, v[15:16]
	v_add3_u32 v38, v38, v41, v2
	v_add_co_u32 v2, vcc_lo, s36, v15
	v_lshlrev_b64 v[37:38], 1, v[37:38]
	v_add_co_ci_u32_e64 v16, null, s37, v16, vcc_lo
	v_add_co_u32 v15, vcc_lo, v2, v37
	v_add_co_ci_u32_e64 v16, null, v16, v38, vcc_lo
	v_or_b32_e32 v2, s63, v20
	global_load_ushort v37, v[15:16], off
                                        ; implicit-def: $vgpr15_vgpr16
	v_cmpx_ne_u64_e32 0, v[1:2]
	s_xor_b32 s80, exec_lo, s0
	s_cbranch_execz .LBB11_41
; %bb.40:                               ;   in Loop: Header=BB11_3 Depth=1
	s_ashr_i32 s64, s63, 31
	v_add_co_u32 v16, vcc_lo, v18, v17
	s_add_u32 s66, s62, s64
	s_mov_b32 s65, s64
	s_addc_u32 s67, s63, s64
	v_add_co_ci_u32_e64 v18, null, v20, v17, vcc_lo
	s_xor_b64 s[66:67], s[66:67], s[64:65]
	v_cvt_f32_u32_e32 v2, s66
	v_cvt_f32_u32_e32 v15, s67
	s_sub_u32 s81, 0, s66
	s_subb_u32 s82, 0, s67
	v_xor_b32_e32 v18, v18, v17
	v_fmac_f32_e32 v2, 0x4f800000, v15
	v_rcp_f32_e32 v2, v2
	v_mul_f32_e32 v2, 0x5f7ffffc, v2
	v_mul_f32_e32 v15, 0x2f800000, v2
	v_trunc_f32_e32 v15, v15
	v_fmac_f32_e32 v2, 0xcf800000, v15
	v_cvt_u32_f32_e32 v15, v15
	v_cvt_u32_f32_e32 v2, v2
	v_readfirstlane_b32 s0, v15
	v_readfirstlane_b32 s65, v2
	s_mul_i32 s83, s81, s0
	v_xor_b32_e32 v2, v16, v17
	s_mul_hi_u32 s85, s81, s65
	s_mul_i32 s84, s82, s65
	s_add_i32 s83, s85, s83
	s_mul_i32 s86, s81, s65
	s_add_i32 s83, s83, s84
	s_mul_hi_u32 s85, s65, s86
	s_mul_i32 s88, s65, s83
	s_mul_hi_u32 s87, s0, s86
	s_mul_i32 s84, s0, s86
	s_mul_hi_u32 s86, s65, s83
	s_add_u32 s85, s85, s88
	s_addc_u32 s86, 0, s86
	s_mul_hi_u32 s89, s0, s83
	s_add_u32 s84, s85, s84
	s_mul_i32 s83, s0, s83
	s_addc_u32 s84, s86, s87
	s_addc_u32 s85, s89, 0
	s_add_u32 s83, s84, s83
	s_addc_u32 s84, 0, s85
	s_add_u32 s65, s65, s83
	s_cselect_b32 s83, -1, 0
	s_mul_hi_u32 s85, s81, s65
	s_cmp_lg_u32 s83, 0
	s_mul_i32 s83, s81, s65
	s_addc_u32 s0, s0, s84
	s_mul_i32 s82, s82, s65
	s_mul_i32 s81, s81, s0
	s_mul_hi_u32 s84, s65, s83
	s_add_i32 s81, s85, s81
	s_mul_hi_u32 s85, s0, s83
	s_add_i32 s81, s81, s82
	s_mul_i32 s82, s0, s83
	s_mul_i32 s87, s65, s81
	s_mul_hi_u32 s86, s65, s81
	s_add_u32 s84, s84, s87
	s_addc_u32 s86, 0, s86
	s_mul_hi_u32 s83, s0, s81
	s_add_u32 s82, s84, s82
	s_mul_i32 s81, s0, s81
	s_addc_u32 s82, s86, s85
	s_addc_u32 s83, s83, 0
	s_add_u32 s81, s82, s81
	s_addc_u32 s82, 0, s83
	s_add_u32 s65, s65, s81
	s_cselect_b32 s81, -1, 0
	v_mul_hi_u32 v20, v2, s65
	s_cmp_lg_u32 s81, 0
	v_mad_u64_u32 v[38:39], null, v18, s65, 0
	s_addc_u32 s0, s0, s82
	v_mad_u64_u32 v[15:16], null, v2, s0, 0
	v_mad_u64_u32 v[40:41], null, v18, s0, 0
	v_add_co_u32 v15, vcc_lo, v20, v15
	v_add_co_ci_u32_e64 v16, null, 0, v16, vcc_lo
	v_add_co_u32 v15, vcc_lo, v15, v38
	v_add_co_ci_u32_e32 v15, vcc_lo, v16, v39, vcc_lo
	v_add_co_ci_u32_e32 v16, vcc_lo, 0, v41, vcc_lo
	v_add_co_u32 v20, vcc_lo, v15, v40
	v_add_co_ci_u32_e64 v38, null, 0, v16, vcc_lo
	v_mul_lo_u32 v39, s67, v20
	v_mad_u64_u32 v[15:16], null, s66, v20, 0
	v_mul_lo_u32 v40, s66, v38
	v_sub_co_u32 v2, vcc_lo, v2, v15
	v_add3_u32 v16, v16, v40, v39
	v_sub_nc_u32_e32 v39, v18, v16
	v_sub_co_ci_u32_e64 v16, null, v18, v16, vcc_lo
	v_subrev_co_ci_u32_e64 v15, null, s67, v39, vcc_lo
	v_add_co_u32 v39, s0, v20, 2
	v_add_co_ci_u32_e64 v40, null, 0, v38, s0
	v_sub_co_u32 v41, s0, v2, s66
	v_subrev_co_ci_u32_e64 v15, null, 0, v15, s0
	v_cmp_le_u32_e32 vcc_lo, s66, v41
	v_cndmask_b32_e64 v18, 0, -1, vcc_lo
	v_cmp_le_u32_e32 vcc_lo, s67, v15
	v_cndmask_b32_e64 v41, 0, -1, vcc_lo
	;; [unrolled: 2-line block ×4, first 2 shown]
	v_cmp_eq_u32_e32 vcc_lo, s67, v15
	v_cndmask_b32_e32 v15, v41, v18, vcc_lo
	v_add_co_u32 v18, vcc_lo, v20, 1
	v_add_co_ci_u32_e64 v41, null, 0, v38, vcc_lo
	v_cmp_eq_u32_e32 vcc_lo, s67, v16
	v_xor_b32_e32 v16, s64, v17
	v_cndmask_b32_e32 v2, v42, v2, vcc_lo
	v_cmp_ne_u32_e32 vcc_lo, 0, v15
	v_cmp_ne_u32_e64 s0, 0, v2
	v_cndmask_b32_e32 v2, v18, v39, vcc_lo
	v_cndmask_b32_e32 v15, v41, v40, vcc_lo
                                        ; implicit-def: $vgpr18
	v_cndmask_b32_e64 v2, v20, v2, s0
	v_cndmask_b32_e64 v15, v38, v15, s0
	v_xor_b32_e32 v2, v2, v16
	v_xor_b32_e32 v17, v15, v16
	v_sub_co_u32 v15, vcc_lo, v2, v16
	v_sub_co_ci_u32_e64 v16, null, v17, v16, vcc_lo
.LBB11_41:                              ;   in Loop: Header=BB11_3 Depth=1
	s_or_saveexec_b32 s0, s80
	v_cvt_f32_u32_e32 v38, s62
	s_xor_b32 exec_lo, exec_lo, s0
	s_cbranch_execz .LBB11_43
; %bb.42:                               ;   in Loop: Header=BB11_3 Depth=1
	v_rcp_iflag_f32_e32 v2, v38
	s_sub_i32 s64, 0, s62
	v_mul_f32_e32 v2, 0x4f7ffffe, v2
	v_cvt_u32_f32_e32 v2, v2
	v_mul_lo_u32 v15, s64, v2
	v_mul_hi_u32 v15, v2, v15
	v_add_nc_u32_e32 v2, v2, v15
	v_mul_hi_u32 v2, v18, v2
	v_mul_lo_u32 v15, v2, s62
	v_add_nc_u32_e32 v16, 1, v2
	v_sub_nc_u32_e32 v15, v18, v15
	v_subrev_nc_u32_e32 v17, s62, v15
	v_cmp_le_u32_e32 vcc_lo, s62, v15
	v_cndmask_b32_e32 v15, v15, v17, vcc_lo
	v_cndmask_b32_e32 v2, v2, v16, vcc_lo
	v_cmp_le_u32_e32 vcc_lo, s62, v15
	v_add_nc_u32_e32 v16, 1, v2
	v_cndmask_b32_e32 v15, v2, v16, vcc_lo
	v_mov_b32_e32 v16, v1
.LBB11_43:                              ;   in Loop: Header=BB11_3 Depth=1
	s_or_b32 exec_lo, exec_lo, s0
	v_or_b32_e32 v2, s63, v24
                                        ; implicit-def: $vgpr17_vgpr18
	s_mov_b32 s0, exec_lo
	v_cmpx_ne_u64_e32 0, v[1:2]
	s_xor_b32 s80, exec_lo, s0
	s_cbranch_execz .LBB11_45
; %bb.44:                               ;   in Loop: Header=BB11_3 Depth=1
	s_ashr_i32 s64, s63, 31
	v_add_co_u32 v18, vcc_lo, v22, v19
	s_add_u32 s66, s62, s64
	s_mov_b32 s65, s64
	s_addc_u32 s67, s63, s64
	v_add_co_ci_u32_e64 v20, null, v24, v19, vcc_lo
	s_xor_b64 s[66:67], s[66:67], s[64:65]
	v_cvt_f32_u32_e32 v2, s66
	v_cvt_f32_u32_e32 v17, s67
	s_sub_u32 s81, 0, s66
	s_subb_u32 s82, 0, s67
	v_xor_b32_e32 v20, v20, v19
	v_fmac_f32_e32 v2, 0x4f800000, v17
	v_rcp_f32_e32 v2, v2
	v_mul_f32_e32 v2, 0x5f7ffffc, v2
	v_mul_f32_e32 v17, 0x2f800000, v2
	v_trunc_f32_e32 v17, v17
	v_fmac_f32_e32 v2, 0xcf800000, v17
	v_cvt_u32_f32_e32 v17, v17
	v_cvt_u32_f32_e32 v2, v2
	v_readfirstlane_b32 s0, v17
	v_readfirstlane_b32 s65, v2
	s_mul_i32 s83, s81, s0
	v_xor_b32_e32 v2, v18, v19
	s_mul_hi_u32 s85, s81, s65
	s_mul_i32 s84, s82, s65
	s_add_i32 s83, s85, s83
	s_mul_i32 s86, s81, s65
	s_add_i32 s83, s83, s84
	s_mul_hi_u32 s85, s65, s86
	s_mul_i32 s88, s65, s83
	s_mul_hi_u32 s87, s0, s86
	s_mul_i32 s84, s0, s86
	s_mul_hi_u32 s86, s65, s83
	s_add_u32 s85, s85, s88
	s_addc_u32 s86, 0, s86
	s_mul_hi_u32 s89, s0, s83
	s_add_u32 s84, s85, s84
	s_mul_i32 s83, s0, s83
	s_addc_u32 s84, s86, s87
	s_addc_u32 s85, s89, 0
	s_add_u32 s83, s84, s83
	s_addc_u32 s84, 0, s85
	s_add_u32 s65, s65, s83
	s_cselect_b32 s83, -1, 0
	s_mul_hi_u32 s85, s81, s65
	s_cmp_lg_u32 s83, 0
	s_mul_i32 s83, s81, s65
	s_addc_u32 s0, s0, s84
	s_mul_i32 s82, s82, s65
	s_mul_i32 s81, s81, s0
	s_mul_hi_u32 s84, s65, s83
	s_add_i32 s81, s85, s81
	s_mul_hi_u32 s85, s0, s83
	s_add_i32 s81, s81, s82
	s_mul_i32 s82, s0, s83
	s_mul_i32 s87, s65, s81
	s_mul_hi_u32 s86, s65, s81
	s_add_u32 s84, s84, s87
	s_addc_u32 s86, 0, s86
	s_mul_hi_u32 s83, s0, s81
	s_add_u32 s82, s84, s82
	s_mul_i32 s81, s0, s81
	s_addc_u32 s82, s86, s85
	s_addc_u32 s83, s83, 0
	s_add_u32 s81, s82, s81
	s_addc_u32 s82, 0, s83
	s_add_u32 s65, s65, s81
	s_cselect_b32 s81, -1, 0
	v_mul_hi_u32 v22, v2, s65
	s_cmp_lg_u32 s81, 0
	v_mad_u64_u32 v[39:40], null, v20, s65, 0
	s_addc_u32 s0, s0, s82
	v_mad_u64_u32 v[17:18], null, v2, s0, 0
	v_mad_u64_u32 v[41:42], null, v20, s0, 0
	v_add_co_u32 v17, vcc_lo, v22, v17
	v_add_co_ci_u32_e64 v18, null, 0, v18, vcc_lo
	v_add_co_u32 v17, vcc_lo, v17, v39
	v_add_co_ci_u32_e32 v17, vcc_lo, v18, v40, vcc_lo
	v_add_co_ci_u32_e32 v18, vcc_lo, 0, v42, vcc_lo
	v_add_co_u32 v22, vcc_lo, v17, v41
	v_add_co_ci_u32_e64 v24, null, 0, v18, vcc_lo
	v_mul_lo_u32 v39, s67, v22
	v_mad_u64_u32 v[17:18], null, s66, v22, 0
	v_mul_lo_u32 v40, s66, v24
	v_sub_co_u32 v2, vcc_lo, v2, v17
	v_add3_u32 v18, v18, v40, v39
	v_sub_nc_u32_e32 v39, v20, v18
	v_sub_co_ci_u32_e64 v18, null, v20, v18, vcc_lo
	v_subrev_co_ci_u32_e64 v17, null, s67, v39, vcc_lo
	v_add_co_u32 v39, s0, v22, 2
	v_add_co_ci_u32_e64 v40, null, 0, v24, s0
	v_sub_co_u32 v41, s0, v2, s66
	v_subrev_co_ci_u32_e64 v17, null, 0, v17, s0
	v_cmp_le_u32_e32 vcc_lo, s66, v41
	v_cndmask_b32_e64 v20, 0, -1, vcc_lo
	v_cmp_le_u32_e32 vcc_lo, s67, v17
	v_cndmask_b32_e64 v41, 0, -1, vcc_lo
	;; [unrolled: 2-line block ×4, first 2 shown]
	v_cmp_eq_u32_e32 vcc_lo, s67, v17
	v_cndmask_b32_e32 v17, v41, v20, vcc_lo
	v_add_co_u32 v20, vcc_lo, v22, 1
	v_add_co_ci_u32_e64 v41, null, 0, v24, vcc_lo
	v_cmp_eq_u32_e32 vcc_lo, s67, v18
	v_xor_b32_e32 v18, s64, v19
	v_cndmask_b32_e32 v2, v42, v2, vcc_lo
	v_cmp_ne_u32_e32 vcc_lo, 0, v17
	v_cmp_ne_u32_e64 s0, 0, v2
	v_cndmask_b32_e32 v2, v20, v39, vcc_lo
	v_cndmask_b32_e32 v17, v41, v40, vcc_lo
	v_cndmask_b32_e64 v2, v22, v2, s0
	v_cndmask_b32_e64 v17, v24, v17, s0
                                        ; implicit-def: $vgpr22
	v_xor_b32_e32 v2, v2, v18
	v_xor_b32_e32 v19, v17, v18
	v_sub_co_u32 v17, vcc_lo, v2, v18
	v_sub_co_ci_u32_e64 v18, null, v19, v18, vcc_lo
.LBB11_45:                              ;   in Loop: Header=BB11_3 Depth=1
	s_andn2_saveexec_b32 s0, s80
	s_cbranch_execz .LBB11_47
; %bb.46:                               ;   in Loop: Header=BB11_3 Depth=1
	v_rcp_iflag_f32_e32 v2, v38
	s_sub_i32 s64, 0, s62
	v_mul_f32_e32 v2, 0x4f7ffffe, v2
	v_cvt_u32_f32_e32 v2, v2
	v_mul_lo_u32 v17, s64, v2
	v_mul_hi_u32 v17, v2, v17
	v_add_nc_u32_e32 v2, v2, v17
	v_mul_hi_u32 v2, v22, v2
	v_mul_lo_u32 v17, v2, s62
	v_add_nc_u32_e32 v18, 1, v2
	v_sub_nc_u32_e32 v17, v22, v17
	v_subrev_nc_u32_e32 v19, s62, v17
	v_cmp_le_u32_e32 vcc_lo, s62, v17
	v_cndmask_b32_e32 v17, v17, v19, vcc_lo
	v_cndmask_b32_e32 v2, v2, v18, vcc_lo
	v_cmp_le_u32_e32 vcc_lo, s62, v17
	v_add_nc_u32_e32 v18, 1, v2
	v_cndmask_b32_e32 v17, v2, v18, vcc_lo
	v_mov_b32_e32 v18, v1
.LBB11_47:                              ;   in Loop: Header=BB11_3 Depth=1
	s_or_b32 exec_lo, exec_lo, s0
	v_or_b32_e32 v2, s63, v26
                                        ; implicit-def: $vgpr19_vgpr20
	s_mov_b32 s0, exec_lo
	v_cmpx_ne_u64_e32 0, v[1:2]
	s_xor_b32 s80, exec_lo, s0
	s_cbranch_execz .LBB11_49
; %bb.48:                               ;   in Loop: Header=BB11_3 Depth=1
	s_ashr_i32 s64, s63, 31
	v_add_co_u32 v20, vcc_lo, v25, v21
	s_add_u32 s66, s62, s64
	s_mov_b32 s65, s64
	s_addc_u32 s67, s63, s64
	v_add_co_ci_u32_e64 v22, null, v26, v21, vcc_lo
	s_xor_b64 s[66:67], s[66:67], s[64:65]
	v_cvt_f32_u32_e32 v2, s66
	v_cvt_f32_u32_e32 v19, s67
	s_sub_u32 s81, 0, s66
	s_subb_u32 s82, 0, s67
	v_xor_b32_e32 v22, v22, v21
	v_fmac_f32_e32 v2, 0x4f800000, v19
	v_rcp_f32_e32 v2, v2
	v_mul_f32_e32 v2, 0x5f7ffffc, v2
	v_mul_f32_e32 v19, 0x2f800000, v2
	v_trunc_f32_e32 v19, v19
	v_fmac_f32_e32 v2, 0xcf800000, v19
	v_cvt_u32_f32_e32 v19, v19
	v_cvt_u32_f32_e32 v2, v2
	v_readfirstlane_b32 s0, v19
	v_readfirstlane_b32 s65, v2
	s_mul_i32 s83, s81, s0
	v_xor_b32_e32 v2, v20, v21
	s_mul_hi_u32 s85, s81, s65
	s_mul_i32 s84, s82, s65
	s_add_i32 s83, s85, s83
	s_mul_i32 s86, s81, s65
	s_add_i32 s83, s83, s84
	s_mul_hi_u32 s85, s65, s86
	s_mul_i32 s88, s65, s83
	s_mul_hi_u32 s87, s0, s86
	s_mul_i32 s84, s0, s86
	s_mul_hi_u32 s86, s65, s83
	s_add_u32 s85, s85, s88
	s_addc_u32 s86, 0, s86
	s_mul_hi_u32 s89, s0, s83
	s_add_u32 s84, s85, s84
	s_mul_i32 s83, s0, s83
	s_addc_u32 s84, s86, s87
	s_addc_u32 s85, s89, 0
	s_add_u32 s83, s84, s83
	s_addc_u32 s84, 0, s85
	s_add_u32 s65, s65, s83
	s_cselect_b32 s83, -1, 0
	s_mul_hi_u32 s85, s81, s65
	s_cmp_lg_u32 s83, 0
	s_mul_i32 s83, s81, s65
	s_addc_u32 s0, s0, s84
	s_mul_i32 s82, s82, s65
	s_mul_i32 s81, s81, s0
	s_mul_hi_u32 s84, s65, s83
	s_add_i32 s81, s85, s81
	s_mul_hi_u32 s85, s0, s83
	s_add_i32 s81, s81, s82
	s_mul_i32 s82, s0, s83
	s_mul_i32 s87, s65, s81
	s_mul_hi_u32 s86, s65, s81
	s_add_u32 s84, s84, s87
	s_addc_u32 s86, 0, s86
	s_mul_hi_u32 s83, s0, s81
	s_add_u32 s82, s84, s82
	s_mul_i32 s81, s0, s81
	s_addc_u32 s82, s86, s85
	s_addc_u32 s83, s83, 0
	s_add_u32 s81, s82, s81
	s_addc_u32 s82, 0, s83
	s_add_u32 s65, s65, s81
	s_cselect_b32 s81, -1, 0
	v_mul_hi_u32 v26, v2, s65
	s_cmp_lg_u32 s81, 0
	v_mad_u64_u32 v[24:25], null, v22, s65, 0
	s_addc_u32 s0, s0, s82
	v_mad_u64_u32 v[19:20], null, v2, s0, 0
	v_mad_u64_u32 v[39:40], null, v22, s0, 0
	v_add_co_u32 v19, vcc_lo, v26, v19
	v_add_co_ci_u32_e64 v20, null, 0, v20, vcc_lo
	v_add_co_u32 v19, vcc_lo, v19, v24
	v_add_co_ci_u32_e32 v19, vcc_lo, v20, v25, vcc_lo
	v_add_co_ci_u32_e32 v20, vcc_lo, 0, v40, vcc_lo
	v_add_co_u32 v24, vcc_lo, v19, v39
	v_add_co_ci_u32_e64 v25, null, 0, v20, vcc_lo
	v_mul_lo_u32 v26, s67, v24
	v_mad_u64_u32 v[19:20], null, s66, v24, 0
	v_mul_lo_u32 v39, s66, v25
	v_sub_co_u32 v2, vcc_lo, v2, v19
	v_add3_u32 v20, v20, v39, v26
	v_sub_nc_u32_e32 v26, v22, v20
	v_sub_co_ci_u32_e64 v20, null, v22, v20, vcc_lo
	v_subrev_co_ci_u32_e64 v19, null, s67, v26, vcc_lo
	v_add_co_u32 v26, s0, v24, 2
	v_add_co_ci_u32_e64 v39, null, 0, v25, s0
	v_sub_co_u32 v40, s0, v2, s66
	v_subrev_co_ci_u32_e64 v19, null, 0, v19, s0
	v_cmp_le_u32_e32 vcc_lo, s66, v40
	v_cndmask_b32_e64 v22, 0, -1, vcc_lo
	v_cmp_le_u32_e32 vcc_lo, s67, v19
	v_cndmask_b32_e64 v40, 0, -1, vcc_lo
	;; [unrolled: 2-line block ×4, first 2 shown]
	v_cmp_eq_u32_e32 vcc_lo, s67, v19
	v_cndmask_b32_e32 v19, v40, v22, vcc_lo
	v_add_co_u32 v22, vcc_lo, v24, 1
	v_add_co_ci_u32_e64 v40, null, 0, v25, vcc_lo
	v_cmp_eq_u32_e32 vcc_lo, s67, v20
	v_xor_b32_e32 v20, s64, v21
	v_cndmask_b32_e32 v2, v41, v2, vcc_lo
	v_cmp_ne_u32_e32 vcc_lo, 0, v19
	v_cmp_ne_u32_e64 s0, 0, v2
	v_cndmask_b32_e32 v2, v22, v26, vcc_lo
	v_cndmask_b32_e32 v19, v40, v39, vcc_lo
	v_cndmask_b32_e64 v2, v24, v2, s0
	v_cndmask_b32_e64 v19, v25, v19, s0
                                        ; implicit-def: $vgpr25
	v_xor_b32_e32 v2, v2, v20
	v_xor_b32_e32 v21, v19, v20
	v_sub_co_u32 v19, vcc_lo, v2, v20
	v_sub_co_ci_u32_e64 v20, null, v21, v20, vcc_lo
.LBB11_49:                              ;   in Loop: Header=BB11_3 Depth=1
	s_andn2_saveexec_b32 s0, s80
	s_cbranch_execz .LBB11_51
; %bb.50:                               ;   in Loop: Header=BB11_3 Depth=1
	v_rcp_iflag_f32_e32 v2, v38
	s_sub_i32 s64, 0, s62
	v_mul_f32_e32 v2, 0x4f7ffffe, v2
	v_cvt_u32_f32_e32 v2, v2
	v_mul_lo_u32 v19, s64, v2
	v_mul_hi_u32 v19, v2, v19
	v_add_nc_u32_e32 v2, v2, v19
	v_mul_hi_u32 v2, v25, v2
	v_mul_lo_u32 v19, v2, s62
	v_add_nc_u32_e32 v20, 1, v2
	v_sub_nc_u32_e32 v19, v25, v19
	v_subrev_nc_u32_e32 v21, s62, v19
	v_cmp_le_u32_e32 vcc_lo, s62, v19
	v_cndmask_b32_e32 v19, v19, v21, vcc_lo
	v_cndmask_b32_e32 v2, v2, v20, vcc_lo
	v_cmp_le_u32_e32 vcc_lo, s62, v19
	v_add_nc_u32_e32 v20, 1, v2
	v_cndmask_b32_e32 v19, v2, v20, vcc_lo
	v_mov_b32_e32 v20, v1
.LBB11_51:                              ;   in Loop: Header=BB11_3 Depth=1
	s_or_b32 exec_lo, exec_lo, s0
	v_or_b32_e32 v2, s63, v35
                                        ; implicit-def: $vgpr21_vgpr22
	s_mov_b32 s0, exec_lo
	v_cmpx_ne_u64_e32 0, v[1:2]
	s_xor_b32 s80, exec_lo, s0
	s_cbranch_execz .LBB11_53
; %bb.52:                               ;   in Loop: Header=BB11_3 Depth=1
	s_ashr_i32 s64, s63, 31
	v_add_co_u32 v22, vcc_lo, v34, v23
	s_add_u32 s66, s62, s64
	s_mov_b32 s65, s64
	s_addc_u32 s67, s63, s64
	v_add_co_ci_u32_e64 v24, null, v35, v23, vcc_lo
	s_xor_b64 s[66:67], s[66:67], s[64:65]
	v_cvt_f32_u32_e32 v2, s66
	v_cvt_f32_u32_e32 v21, s67
	s_sub_u32 s81, 0, s66
	s_subb_u32 s82, 0, s67
	v_xor_b32_e32 v26, v24, v23
	v_fmac_f32_e32 v2, 0x4f800000, v21
	v_rcp_f32_e32 v2, v2
	v_mul_f32_e32 v2, 0x5f7ffffc, v2
	v_mul_f32_e32 v21, 0x2f800000, v2
	v_trunc_f32_e32 v21, v21
	v_fmac_f32_e32 v2, 0xcf800000, v21
	v_cvt_u32_f32_e32 v21, v21
	v_cvt_u32_f32_e32 v2, v2
	v_readfirstlane_b32 s0, v21
	v_readfirstlane_b32 s65, v2
	s_mul_i32 s83, s81, s0
	v_xor_b32_e32 v2, v22, v23
	s_mul_hi_u32 s85, s81, s65
	s_mul_i32 s84, s82, s65
	s_add_i32 s83, s85, s83
	s_mul_i32 s86, s81, s65
	s_add_i32 s83, s83, s84
	s_mul_hi_u32 s85, s65, s86
	s_mul_i32 s88, s65, s83
	s_mul_hi_u32 s87, s0, s86
	s_mul_i32 s84, s0, s86
	s_mul_hi_u32 s86, s65, s83
	s_add_u32 s85, s85, s88
	s_addc_u32 s86, 0, s86
	s_mul_hi_u32 s89, s0, s83
	s_add_u32 s84, s85, s84
	s_mul_i32 s83, s0, s83
	s_addc_u32 s84, s86, s87
	s_addc_u32 s85, s89, 0
	s_add_u32 s83, s84, s83
	s_addc_u32 s84, 0, s85
	s_add_u32 s65, s65, s83
	s_cselect_b32 s83, -1, 0
	s_mul_hi_u32 s85, s81, s65
	s_cmp_lg_u32 s83, 0
	s_mul_i32 s83, s81, s65
	s_addc_u32 s0, s0, s84
	s_mul_i32 s82, s82, s65
	s_mul_i32 s81, s81, s0
	s_mul_hi_u32 s84, s65, s83
	s_add_i32 s81, s85, s81
	s_mul_hi_u32 s85, s0, s83
	s_add_i32 s81, s81, s82
	s_mul_i32 s82, s0, s83
	s_mul_i32 s87, s65, s81
	s_mul_hi_u32 s86, s65, s81
	s_add_u32 s84, s84, s87
	s_addc_u32 s86, 0, s86
	s_mul_hi_u32 s83, s0, s81
	s_add_u32 s82, s84, s82
	s_mul_i32 s81, s0, s81
	s_addc_u32 s82, s86, s85
	s_addc_u32 s83, s83, 0
	s_add_u32 s81, s82, s81
	s_addc_u32 s82, 0, s83
	s_add_u32 s65, s65, s81
	s_cselect_b32 s81, -1, 0
	v_mul_hi_u32 v38, v2, s65
	s_cmp_lg_u32 s81, 0
	v_mad_u64_u32 v[24:25], null, v26, s65, 0
	s_addc_u32 s0, s0, s82
	v_mad_u64_u32 v[21:22], null, v2, s0, 0
	v_mad_u64_u32 v[34:35], null, v26, s0, 0
	v_add_co_u32 v21, vcc_lo, v38, v21
	v_add_co_ci_u32_e64 v22, null, 0, v22, vcc_lo
	v_add_co_u32 v21, vcc_lo, v21, v24
	v_add_co_ci_u32_e32 v21, vcc_lo, v22, v25, vcc_lo
	v_add_co_ci_u32_e32 v22, vcc_lo, 0, v35, vcc_lo
	v_add_co_u32 v24, vcc_lo, v21, v34
	v_add_co_ci_u32_e64 v25, null, 0, v22, vcc_lo
	v_mul_lo_u32 v34, s67, v24
	v_mad_u64_u32 v[21:22], null, s66, v24, 0
	v_mul_lo_u32 v35, s66, v25
	v_sub_co_u32 v2, vcc_lo, v2, v21
	v_add3_u32 v22, v22, v35, v34
	v_sub_nc_u32_e32 v34, v26, v22
	v_sub_co_ci_u32_e64 v22, null, v26, v22, vcc_lo
	v_subrev_co_ci_u32_e64 v21, null, s67, v34, vcc_lo
	v_add_co_u32 v34, s0, v24, 2
	v_add_co_ci_u32_e64 v35, null, 0, v25, s0
	v_sub_co_u32 v38, s0, v2, s66
	v_subrev_co_ci_u32_e64 v21, null, 0, v21, s0
	v_cmp_le_u32_e32 vcc_lo, s66, v38
	v_cndmask_b32_e64 v26, 0, -1, vcc_lo
	v_cmp_le_u32_e32 vcc_lo, s67, v21
	v_cndmask_b32_e64 v38, 0, -1, vcc_lo
	;; [unrolled: 2-line block ×4, first 2 shown]
	v_cmp_eq_u32_e32 vcc_lo, s67, v21
	v_cndmask_b32_e32 v21, v38, v26, vcc_lo
	v_add_co_u32 v26, vcc_lo, v24, 1
	v_add_co_ci_u32_e64 v38, null, 0, v25, vcc_lo
	v_cmp_eq_u32_e32 vcc_lo, s67, v22
	v_xor_b32_e32 v22, s64, v23
	v_cndmask_b32_e32 v2, v39, v2, vcc_lo
	v_cmp_ne_u32_e32 vcc_lo, 0, v21
	v_cmp_ne_u32_e64 s0, 0, v2
	v_cndmask_b32_e32 v2, v26, v34, vcc_lo
	v_cndmask_b32_e32 v21, v38, v35, vcc_lo
                                        ; implicit-def: $vgpr38
                                        ; implicit-def: $vgpr34
	v_cndmask_b32_e64 v2, v24, v2, s0
	v_cndmask_b32_e64 v21, v25, v21, s0
	v_xor_b32_e32 v2, v2, v22
	v_xor_b32_e32 v23, v21, v22
	v_sub_co_u32 v21, vcc_lo, v2, v22
	v_sub_co_ci_u32_e64 v22, null, v23, v22, vcc_lo
.LBB11_53:                              ;   in Loop: Header=BB11_3 Depth=1
	s_andn2_saveexec_b32 s0, s80
	s_cbranch_execz .LBB11_55
; %bb.54:                               ;   in Loop: Header=BB11_3 Depth=1
	v_rcp_iflag_f32_e32 v2, v38
	s_sub_i32 s64, 0, s62
	v_mul_f32_e32 v2, 0x4f7ffffe, v2
	v_cvt_u32_f32_e32 v2, v2
	v_mul_lo_u32 v21, s64, v2
	v_mul_hi_u32 v21, v2, v21
	v_add_nc_u32_e32 v2, v2, v21
	v_mul_hi_u32 v2, v34, v2
	v_mul_lo_u32 v21, v2, s62
	v_add_nc_u32_e32 v22, 1, v2
	v_sub_nc_u32_e32 v21, v34, v21
	v_subrev_nc_u32_e32 v23, s62, v21
	v_cmp_le_u32_e32 vcc_lo, s62, v21
	v_cndmask_b32_e32 v21, v21, v23, vcc_lo
	v_cndmask_b32_e32 v2, v2, v22, vcc_lo
	v_cmp_le_u32_e32 vcc_lo, s62, v21
	v_add_nc_u32_e32 v22, 1, v2
	v_cndmask_b32_e32 v21, v2, v22, vcc_lo
	v_mov_b32_e32 v22, v1
.LBB11_55:                              ;   in Loop: Header=BB11_3 Depth=1
	s_or_b32 exec_lo, exec_lo, s0
	v_or_b32_e32 v2, s51, v4
                                        ; implicit-def: $vgpr23_vgpr24
	s_mov_b32 s0, exec_lo
	v_cmpx_ne_u64_e32 0, v[1:2]
	s_xor_b32 s80, exec_lo, s0
	s_cbranch_execz .LBB11_57
; %bb.56:                               ;   in Loop: Header=BB11_3 Depth=1
	s_ashr_i32 s64, s51, 31
	v_add_co_u32 v24, vcc_lo, v3, v27
	s_add_u32 s66, s50, s64
	s_mov_b32 s65, s64
	s_addc_u32 s67, s51, s64
	v_add_co_ci_u32_e64 v25, null, v4, v27, vcc_lo
	s_xor_b64 s[66:67], s[66:67], s[64:65]
	v_cvt_f32_u32_e32 v2, s66
	v_cvt_f32_u32_e32 v23, s67
	s_sub_u32 s81, 0, s66
	s_subb_u32 s82, 0, s67
	v_xor_b32_e32 v38, v25, v27
	v_fmac_f32_e32 v2, 0x4f800000, v23
	v_rcp_f32_e32 v2, v2
	v_mul_f32_e32 v2, 0x5f7ffffc, v2
	v_mul_f32_e32 v23, 0x2f800000, v2
	v_trunc_f32_e32 v23, v23
	v_fmac_f32_e32 v2, 0xcf800000, v23
	v_cvt_u32_f32_e32 v23, v23
	v_cvt_u32_f32_e32 v2, v2
	v_readfirstlane_b32 s0, v23
	v_readfirstlane_b32 s65, v2
	s_mul_i32 s83, s81, s0
	v_xor_b32_e32 v2, v24, v27
	s_mul_hi_u32 s85, s81, s65
	s_mul_i32 s84, s82, s65
	s_add_i32 s83, s85, s83
	s_mul_i32 s86, s81, s65
	s_add_i32 s83, s83, s84
	s_mul_hi_u32 s85, s65, s86
	s_mul_i32 s88, s65, s83
	s_mul_hi_u32 s87, s0, s86
	s_mul_i32 s84, s0, s86
	s_mul_hi_u32 s86, s65, s83
	s_add_u32 s85, s85, s88
	s_addc_u32 s86, 0, s86
	s_mul_hi_u32 s89, s0, s83
	s_add_u32 s84, s85, s84
	s_mul_i32 s83, s0, s83
	s_addc_u32 s84, s86, s87
	s_addc_u32 s85, s89, 0
	s_add_u32 s83, s84, s83
	s_addc_u32 s84, 0, s85
	s_add_u32 s65, s65, s83
	s_cselect_b32 s83, -1, 0
	s_mul_hi_u32 s85, s81, s65
	s_cmp_lg_u32 s83, 0
	s_mul_i32 s83, s81, s65
	s_addc_u32 s0, s0, s84
	s_mul_i32 s82, s82, s65
	s_mul_i32 s81, s81, s0
	s_mul_hi_u32 s84, s65, s83
	s_add_i32 s81, s85, s81
	s_mul_hi_u32 s85, s0, s83
	s_add_i32 s81, s81, s82
	s_mul_i32 s82, s0, s83
	s_mul_i32 s87, s65, s81
	s_mul_hi_u32 s86, s65, s81
	s_add_u32 s84, s84, s87
	s_addc_u32 s86, 0, s86
	s_mul_hi_u32 s83, s0, s81
	s_add_u32 s82, s84, s82
	s_mul_i32 s81, s0, s81
	s_addc_u32 s82, s86, s85
	s_addc_u32 s83, s83, 0
	s_add_u32 s81, s82, s81
	s_addc_u32 s82, 0, s83
	s_add_u32 s65, s65, s81
	s_cselect_b32 s81, -1, 0
	v_mul_hi_u32 v39, v2, s65
	s_cmp_lg_u32 s81, 0
	v_mad_u64_u32 v[25:26], null, v38, s65, 0
	s_addc_u32 s0, s0, s82
	v_mad_u64_u32 v[23:24], null, v2, s0, 0
	v_mad_u64_u32 v[34:35], null, v38, s0, 0
	v_add_co_u32 v23, vcc_lo, v39, v23
	v_add_co_ci_u32_e64 v24, null, 0, v24, vcc_lo
	v_add_co_u32 v23, vcc_lo, v23, v25
	v_add_co_ci_u32_e32 v23, vcc_lo, v24, v26, vcc_lo
	v_add_co_ci_u32_e32 v24, vcc_lo, 0, v35, vcc_lo
	v_add_co_u32 v25, vcc_lo, v23, v34
	v_add_co_ci_u32_e64 v26, null, 0, v24, vcc_lo
	v_mul_lo_u32 v34, s67, v25
	v_mad_u64_u32 v[23:24], null, s66, v25, 0
	v_mul_lo_u32 v35, s66, v26
	v_sub_co_u32 v2, vcc_lo, v2, v23
	v_add3_u32 v24, v24, v35, v34
	v_sub_nc_u32_e32 v34, v38, v24
	v_sub_co_ci_u32_e64 v24, null, v38, v24, vcc_lo
	v_subrev_co_ci_u32_e64 v23, null, s67, v34, vcc_lo
	v_add_co_u32 v34, s0, v25, 2
	v_add_co_ci_u32_e64 v35, null, 0, v26, s0
	v_sub_co_u32 v39, s0, v2, s66
	v_subrev_co_ci_u32_e64 v23, null, 0, v23, s0
	v_cmp_le_u32_e32 vcc_lo, s66, v39
	v_cndmask_b32_e64 v38, 0, -1, vcc_lo
	v_cmp_le_u32_e32 vcc_lo, s67, v23
	v_cndmask_b32_e64 v39, 0, -1, vcc_lo
	;; [unrolled: 2-line block ×4, first 2 shown]
	v_cmp_eq_u32_e32 vcc_lo, s67, v23
	v_cndmask_b32_e32 v23, v39, v38, vcc_lo
	v_add_co_u32 v38, vcc_lo, v25, 1
	v_add_co_ci_u32_e64 v39, null, 0, v26, vcc_lo
	v_cmp_eq_u32_e32 vcc_lo, s67, v24
	v_xor_b32_e32 v24, s64, v27
	v_cndmask_b32_e32 v2, v40, v2, vcc_lo
	v_cmp_ne_u32_e32 vcc_lo, 0, v23
	v_cmp_ne_u32_e64 s0, 0, v2
	v_cndmask_b32_e32 v2, v38, v34, vcc_lo
	v_cndmask_b32_e32 v23, v39, v35, vcc_lo
	v_cndmask_b32_e64 v2, v25, v2, s0
	v_cndmask_b32_e64 v23, v26, v23, s0
	v_xor_b32_e32 v2, v2, v24
	v_xor_b32_e32 v25, v23, v24
	v_sub_co_u32 v23, vcc_lo, v2, v24
	v_sub_co_ci_u32_e64 v24, null, v25, v24, vcc_lo
.LBB11_57:                              ;   in Loop: Header=BB11_3 Depth=1
	s_andn2_saveexec_b32 s0, s80
	s_cbranch_execz .LBB11_59
; %bb.58:                               ;   in Loop: Header=BB11_3 Depth=1
	v_cvt_f32_u32_e32 v2, s50
	s_sub_i32 s64, 0, s50
	v_rcp_iflag_f32_e32 v2, v2
	v_mul_f32_e32 v2, 0x4f7ffffe, v2
	v_cvt_u32_f32_e32 v2, v2
	v_mul_lo_u32 v23, s64, v2
	v_mul_hi_u32 v23, v2, v23
	v_add_nc_u32_e32 v2, v2, v23
	v_mul_hi_u32 v2, v3, v2
	v_mul_lo_u32 v23, v2, s50
	v_add_nc_u32_e32 v24, 1, v2
	v_sub_nc_u32_e32 v23, v3, v23
	v_subrev_nc_u32_e32 v25, s50, v23
	v_cmp_le_u32_e32 vcc_lo, s50, v23
	v_cndmask_b32_e32 v23, v23, v25, vcc_lo
	v_cndmask_b32_e32 v2, v2, v24, vcc_lo
	v_cmp_le_u32_e32 vcc_lo, s50, v23
	v_add_nc_u32_e32 v24, 1, v2
	v_cndmask_b32_e32 v23, v2, v24, vcc_lo
	v_mov_b32_e32 v24, v1
.LBB11_59:                              ;   in Loop: Header=BB11_3 Depth=1
	s_or_b32 exec_lo, exec_lo, s0
	v_mad_u64_u32 v[25:26], null, s73, v23, v[3:4]
	v_mul_lo_u32 v2, s73, v24
	v_mul_lo_u32 v34, s74, v23
	;; [unrolled: 1-line block ×4, first 2 shown]
	v_mad_u64_u32 v[23:24], null, v23, s20, 0
	s_mov_b32 s0, exec_lo
	v_add3_u32 v2, v34, v26, v2
	v_mul_lo_u32 v34, v25, s23
	v_mad_u64_u32 v[25:26], null, v25, s22, 0
	v_add3_u32 v24, v24, v38, v35
	v_mul_lo_u32 v2, v2, s22
	v_lshlrev_b64 v[23:24], 1, v[23:24]
	v_add3_u32 v26, v26, v34, v2
	v_add_co_u32 v2, vcc_lo, s48, v23
	v_add_co_ci_u32_e64 v24, null, s49, v24, vcc_lo
	v_lshlrev_b64 v[25:26], 1, v[25:26]
	v_add_co_u32 v23, vcc_lo, v2, v25
	v_add_co_ci_u32_e64 v24, null, v24, v26, vcc_lo
	v_or_b32_e32 v2, s55, v4
	global_load_ushort v34, v[23:24], off
                                        ; implicit-def: $vgpr23_vgpr24
	v_cmpx_ne_u64_e32 0, v[1:2]
	s_xor_b32 s80, exec_lo, s0
	s_cbranch_execz .LBB11_61
; %bb.60:                               ;   in Loop: Header=BB11_3 Depth=1
	s_ashr_i32 s64, s55, 31
	v_add_co_u32 v24, vcc_lo, v3, v27
	s_add_u32 s66, s54, s64
	s_mov_b32 s65, s64
	s_addc_u32 s67, s55, s64
	v_add_co_ci_u32_e64 v25, null, v4, v27, vcc_lo
	s_xor_b64 s[66:67], s[66:67], s[64:65]
	v_cvt_f32_u32_e32 v2, s66
	v_cvt_f32_u32_e32 v23, s67
	s_sub_u32 s81, 0, s66
	s_subb_u32 s82, 0, s67
	v_xor_b32_e32 v35, v25, v27
	v_fmac_f32_e32 v2, 0x4f800000, v23
	v_rcp_f32_e32 v2, v2
	v_mul_f32_e32 v2, 0x5f7ffffc, v2
	v_mul_f32_e32 v23, 0x2f800000, v2
	v_trunc_f32_e32 v23, v23
	v_fmac_f32_e32 v2, 0xcf800000, v23
	v_cvt_u32_f32_e32 v23, v23
	v_cvt_u32_f32_e32 v2, v2
	v_readfirstlane_b32 s0, v23
	v_readfirstlane_b32 s65, v2
	s_mul_i32 s83, s81, s0
	v_xor_b32_e32 v2, v24, v27
	s_mul_hi_u32 s85, s81, s65
	s_mul_i32 s84, s82, s65
	s_add_i32 s83, s85, s83
	s_mul_i32 s86, s81, s65
	s_add_i32 s83, s83, s84
	s_mul_hi_u32 s85, s65, s86
	s_mul_i32 s88, s65, s83
	s_mul_hi_u32 s87, s0, s86
	s_mul_i32 s84, s0, s86
	s_mul_hi_u32 s86, s65, s83
	s_add_u32 s85, s85, s88
	s_addc_u32 s86, 0, s86
	s_mul_hi_u32 s89, s0, s83
	s_add_u32 s84, s85, s84
	s_mul_i32 s83, s0, s83
	s_addc_u32 s84, s86, s87
	s_addc_u32 s85, s89, 0
	s_add_u32 s83, s84, s83
	s_addc_u32 s84, 0, s85
	s_add_u32 s65, s65, s83
	s_cselect_b32 s83, -1, 0
	s_mul_hi_u32 s85, s81, s65
	s_cmp_lg_u32 s83, 0
	s_mul_i32 s83, s81, s65
	s_addc_u32 s0, s0, s84
	s_mul_i32 s82, s82, s65
	s_mul_i32 s81, s81, s0
	s_mul_hi_u32 s84, s65, s83
	s_add_i32 s81, s85, s81
	s_mul_hi_u32 s85, s0, s83
	s_add_i32 s81, s81, s82
	s_mul_i32 s82, s0, s83
	s_mul_i32 s87, s65, s81
	s_mul_hi_u32 s86, s65, s81
	s_add_u32 s84, s84, s87
	s_addc_u32 s86, 0, s86
	s_mul_hi_u32 s83, s0, s81
	s_add_u32 s82, s84, s82
	s_mul_i32 s81, s0, s81
	s_addc_u32 s82, s86, s85
	s_addc_u32 s83, s83, 0
	s_add_u32 s81, s82, s81
	s_addc_u32 s82, 0, s83
	s_add_u32 s65, s65, s81
	s_cselect_b32 s81, -1, 0
	v_mul_hi_u32 v40, v2, s65
	s_cmp_lg_u32 s81, 0
	v_mad_u64_u32 v[25:26], null, v35, s65, 0
	s_addc_u32 s0, s0, s82
	v_mad_u64_u32 v[23:24], null, v2, s0, 0
	v_mad_u64_u32 v[38:39], null, v35, s0, 0
	v_add_co_u32 v23, vcc_lo, v40, v23
	v_add_co_ci_u32_e64 v24, null, 0, v24, vcc_lo
	v_add_co_u32 v23, vcc_lo, v23, v25
	v_add_co_ci_u32_e32 v23, vcc_lo, v24, v26, vcc_lo
	v_add_co_ci_u32_e32 v24, vcc_lo, 0, v39, vcc_lo
	v_add_co_u32 v25, vcc_lo, v23, v38
	v_add_co_ci_u32_e64 v26, null, 0, v24, vcc_lo
	v_mul_lo_u32 v38, s67, v25
	v_mad_u64_u32 v[23:24], null, s66, v25, 0
	v_mul_lo_u32 v39, s66, v26
	v_sub_co_u32 v2, vcc_lo, v2, v23
	v_add3_u32 v24, v24, v39, v38
	v_sub_nc_u32_e32 v38, v35, v24
	v_sub_co_ci_u32_e64 v24, null, v35, v24, vcc_lo
	v_subrev_co_ci_u32_e64 v23, null, s67, v38, vcc_lo
	v_add_co_u32 v38, s0, v25, 2
	v_add_co_ci_u32_e64 v39, null, 0, v26, s0
	v_sub_co_u32 v40, s0, v2, s66
	v_subrev_co_ci_u32_e64 v23, null, 0, v23, s0
	v_cmp_le_u32_e32 vcc_lo, s66, v40
	v_cndmask_b32_e64 v35, 0, -1, vcc_lo
	v_cmp_le_u32_e32 vcc_lo, s67, v23
	v_cndmask_b32_e64 v40, 0, -1, vcc_lo
	v_cmp_le_u32_e32 vcc_lo, s66, v2
	v_cndmask_b32_e64 v2, 0, -1, vcc_lo
	v_cmp_le_u32_e32 vcc_lo, s67, v24
	v_cndmask_b32_e64 v41, 0, -1, vcc_lo
	v_cmp_eq_u32_e32 vcc_lo, s67, v23
	v_cndmask_b32_e32 v23, v40, v35, vcc_lo
	v_add_co_u32 v35, vcc_lo, v25, 1
	v_add_co_ci_u32_e64 v40, null, 0, v26, vcc_lo
	v_cmp_eq_u32_e32 vcc_lo, s67, v24
	v_xor_b32_e32 v24, s64, v27
	v_cndmask_b32_e32 v2, v41, v2, vcc_lo
	v_cmp_ne_u32_e32 vcc_lo, 0, v23
	v_cmp_ne_u32_e64 s0, 0, v2
	v_cndmask_b32_e32 v2, v35, v38, vcc_lo
	v_cndmask_b32_e32 v23, v40, v39, vcc_lo
	v_cndmask_b32_e64 v2, v25, v2, s0
	v_cndmask_b32_e64 v23, v26, v23, s0
	v_xor_b32_e32 v2, v2, v24
	v_xor_b32_e32 v25, v23, v24
	v_sub_co_u32 v23, vcc_lo, v2, v24
	v_sub_co_ci_u32_e64 v24, null, v25, v24, vcc_lo
.LBB11_61:                              ;   in Loop: Header=BB11_3 Depth=1
	s_andn2_saveexec_b32 s0, s80
	s_cbranch_execz .LBB11_63
; %bb.62:                               ;   in Loop: Header=BB11_3 Depth=1
	v_cvt_f32_u32_e32 v2, s54
	s_sub_i32 s64, 0, s54
	v_rcp_iflag_f32_e32 v2, v2
	v_mul_f32_e32 v2, 0x4f7ffffe, v2
	v_cvt_u32_f32_e32 v2, v2
	v_mul_lo_u32 v23, s64, v2
	v_mul_hi_u32 v23, v2, v23
	v_add_nc_u32_e32 v2, v2, v23
	v_mul_hi_u32 v2, v3, v2
	v_mul_lo_u32 v23, v2, s54
	v_add_nc_u32_e32 v24, 1, v2
	v_sub_nc_u32_e32 v23, v3, v23
	v_subrev_nc_u32_e32 v25, s54, v23
	v_cmp_le_u32_e32 vcc_lo, s54, v23
	v_cndmask_b32_e32 v23, v23, v25, vcc_lo
	v_cndmask_b32_e32 v2, v2, v24, vcc_lo
	v_cmp_le_u32_e32 vcc_lo, s54, v23
	v_add_nc_u32_e32 v24, 1, v2
	v_cndmask_b32_e32 v23, v2, v24, vcc_lo
	v_mov_b32_e32 v24, v1
.LBB11_63:                              ;   in Loop: Header=BB11_3 Depth=1
	s_or_b32 exec_lo, exec_lo, s0
	v_or_b32_e32 v2, s59, v4
                                        ; implicit-def: $vgpr25_vgpr26
	s_mov_b32 s0, exec_lo
	v_cmpx_ne_u64_e32 0, v[1:2]
	s_xor_b32 s80, exec_lo, s0
	s_cbranch_execnz .LBB11_67
; %bb.64:                               ;   in Loop: Header=BB11_3 Depth=1
	s_andn2_saveexec_b32 s0, s80
	s_cbranch_execnz .LBB11_68
.LBB11_65:                              ;   in Loop: Header=BB11_3 Depth=1
	s_or_b32 exec_lo, exec_lo, s0
	s_andn2_b32 vcc_lo, exec_lo, s1
	s_cbranch_vccnz .LBB11_69
.LBB11_66:                              ;   in Loop: Header=BB11_3 Depth=1
	v_mad_u64_u32 v[38:39], null, s71, v9, v[3:4]
	v_mul_lo_u32 v2, s71, v10
	v_mul_lo_u32 v27, s72, v9
	v_sub_co_u32 v35, vcc_lo, 1, v9
	v_sub_co_ci_u32_e64 v40, null, 0, v10, vcc_lo
	v_mad_u64_u32 v[41:42], null, v38, s42, 0
	v_mul_lo_u32 v43, s9, v35
	v_add3_u32 v2, v27, v39, v2
	v_mul_lo_u32 v27, s8, v40
	v_mad_u64_u32 v[39:40], null, s8, v35, v[3:4]
	v_mul_lo_u32 v35, v38, s43
	v_mul_lo_u32 v47, v2, s42
	;; [unrolled: 1-line block ×4, first 2 shown]
	v_add3_u32 v27, v43, v40, v27
	v_sub_co_u32 v40, vcc_lo, 2, v9
	v_sub_co_ci_u32_e64 v45, null, 0, v10, vcc_lo
	v_mul_lo_u32 v48, v27, s42
	v_mul_lo_u32 v51, s9, v40
	;; [unrolled: 1-line block ×4, first 2 shown]
	v_mad_u64_u32 v[45:46], null, s8, v40, v[3:4]
	v_mad_u64_u32 v[43:44], null, v39, s42, 0
	v_add3_u32 v42, v42, v35, v47
	v_mul_lo_u32 v27, v27, s46
	v_add3_u32 v35, v51, v46, v50
	v_sub_co_u32 v46, vcc_lo, 3, v9
	v_add3_u32 v44, v44, v49, v48
	v_sub_co_ci_u32_e64 v47, null, 0, v10, vcc_lo
	v_lshlrev_b64 v[9:10], 1, v[41:42]
	v_mul_lo_u32 v49, s9, v46
	v_lshlrev_b64 v[40:41], 1, v[43:44]
	v_mul_lo_u32 v48, s8, v47
	v_mad_u64_u32 v[42:43], null, s8, v46, v[3:4]
	v_mul_lo_u32 v44, v35, s42
	v_mul_lo_u32 v50, v45, s43
	v_mad_u64_u32 v[46:47], null, v45, s42, 0
	v_add_co_u32 v9, vcc_lo, s38, v9
	v_add3_u32 v51, v49, v43, v48
	v_add_co_ci_u32_e64 v10, null, s39, v10, vcc_lo
	v_add_co_u32 v40, vcc_lo, s38, v40
	v_add3_u32 v47, v47, v50, v44
	v_mul_lo_u32 v50, v51, s42
	v_mul_lo_u32 v52, v42, s43
	v_mad_u64_u32 v[43:44], null, v42, s42, 0
	v_mad_u64_u32 v[48:49], null, v38, s46, 0
	v_add_co_ci_u32_e64 v41, null, s39, v41, vcc_lo
	s_clause 0x1
	global_load_ushort v54, v[9:10], off
	global_load_ushort v55, v[40:41], off
	v_lshlrev_b64 v[9:10], 1, v[46:47]
	v_mul_lo_u32 v46, v39, s47
	v_mad_u64_u32 v[38:39], null, v39, s46, 0
	v_add3_u32 v44, v44, v52, v50
	v_add3_u32 v49, v49, v53, v2
	v_mul_lo_u32 v2, v35, s46
	v_mul_lo_u32 v35, v51, s46
	v_add_co_u32 v9, vcc_lo, s38, v9
	v_lshlrev_b64 v[40:41], 1, v[43:44]
	v_lshlrev_b64 v[43:44], 1, v[48:49]
	v_add3_u32 v39, v39, v46, v27
	v_mul_lo_u32 v27, v45, s47
	v_mad_u64_u32 v[45:46], null, v45, s46, 0
	v_mul_lo_u32 v49, v42, s47
	v_mad_u64_u32 v[47:48], null, v42, s46, 0
	v_add_co_ci_u32_e64 v10, null, s39, v10, vcc_lo
	v_add_co_u32 v43, vcc_lo, s44, v43
	v_add_co_ci_u32_e64 v44, null, s45, v44, vcc_lo
	v_add3_u32 v46, v46, v27, v2
	v_add3_u32 v48, v48, v49, v35
	v_lshlrev_b64 v[38:39], 1, v[38:39]
	global_load_ushort v2, v[43:44], off
	v_add_co_u32 v40, vcc_lo, s38, v40
	v_lshlrev_b64 v[42:43], 1, v[45:46]
	v_lshlrev_b64 v[44:45], 1, v[47:48]
	v_add_co_ci_u32_e64 v41, null, s39, v41, vcc_lo
	v_add_co_u32 v38, vcc_lo, s44, v38
	v_add_co_ci_u32_e64 v39, null, s45, v39, vcc_lo
	v_add_co_u32 v42, vcc_lo, s44, v42
	;; [unrolled: 2-line block ×3, first 2 shown]
	v_add_co_ci_u32_e64 v45, null, s45, v45, vcc_lo
	global_load_ushort v27, v[38:39], off
	global_load_ushort v35, v[9:10], off
	;; [unrolled: 1-line block ×5, first 2 shown]
	s_waitcnt vmcnt(7)
	v_cvt_f32_f16_e32 v40, v54
	s_waitcnt vmcnt(6)
	v_cvt_f32_f16_e32 v39, v55
	;; [unrolled: 2-line block ×8, first 2 shown]
	s_branch .LBB11_70
.LBB11_67:                              ;   in Loop: Header=BB11_3 Depth=1
	s_ashr_i32 s64, s59, 31
	v_add_co_u32 v26, vcc_lo, v3, v27
	s_add_u32 s66, s58, s64
	s_mov_b32 s65, s64
	s_addc_u32 s67, s59, s64
	v_add_co_ci_u32_e64 v35, null, v4, v27, vcc_lo
	s_xor_b64 s[66:67], s[66:67], s[64:65]
	v_cvt_f32_u32_e32 v2, s66
	v_cvt_f32_u32_e32 v25, s67
	s_sub_u32 s81, 0, s66
	s_subb_u32 s82, 0, s67
	v_xor_b32_e32 v35, v35, v27
	v_fmac_f32_e32 v2, 0x4f800000, v25
	v_rcp_f32_e32 v2, v2
	v_mul_f32_e32 v2, 0x5f7ffffc, v2
	v_mul_f32_e32 v25, 0x2f800000, v2
	v_trunc_f32_e32 v25, v25
	v_fmac_f32_e32 v2, 0xcf800000, v25
	v_cvt_u32_f32_e32 v25, v25
	v_cvt_u32_f32_e32 v2, v2
	v_readfirstlane_b32 s0, v25
	v_readfirstlane_b32 s65, v2
	s_mul_i32 s83, s81, s0
	v_xor_b32_e32 v2, v26, v27
	s_mul_hi_u32 s85, s81, s65
	s_mul_i32 s84, s82, s65
	s_add_i32 s83, s85, s83
	s_mul_i32 s86, s81, s65
	s_add_i32 s83, s83, s84
	s_mul_hi_u32 s85, s65, s86
	s_mul_i32 s88, s65, s83
	s_mul_hi_u32 s87, s0, s86
	s_mul_i32 s84, s0, s86
	s_mul_hi_u32 s86, s65, s83
	s_add_u32 s85, s85, s88
	s_addc_u32 s86, 0, s86
	s_mul_hi_u32 s89, s0, s83
	s_add_u32 s84, s85, s84
	s_mul_i32 s83, s0, s83
	s_addc_u32 s84, s86, s87
	s_addc_u32 s85, s89, 0
	s_add_u32 s83, s84, s83
	s_addc_u32 s84, 0, s85
	s_add_u32 s65, s65, s83
	s_cselect_b32 s83, -1, 0
	s_mul_hi_u32 s85, s81, s65
	s_cmp_lg_u32 s83, 0
	s_mul_i32 s83, s81, s65
	s_addc_u32 s0, s0, s84
	s_mul_i32 s82, s82, s65
	s_mul_i32 s81, s81, s0
	s_mul_hi_u32 s84, s65, s83
	s_add_i32 s81, s85, s81
	s_mul_hi_u32 s85, s0, s83
	s_add_i32 s81, s81, s82
	s_mul_i32 s82, s0, s83
	s_mul_i32 s87, s65, s81
	s_mul_hi_u32 s86, s65, s81
	s_add_u32 s84, s84, s87
	s_addc_u32 s86, 0, s86
	s_mul_hi_u32 s83, s0, s81
	s_add_u32 s82, s84, s82
	s_mul_i32 s81, s0, s81
	s_addc_u32 s82, s86, s85
	s_addc_u32 s83, s83, 0
	s_add_u32 s81, s82, s81
	s_addc_u32 s82, 0, s83
	s_add_u32 s65, s65, s81
	s_cselect_b32 s81, -1, 0
	v_mul_hi_u32 v42, v2, s65
	s_cmp_lg_u32 s81, 0
	v_mad_u64_u32 v[38:39], null, v35, s65, 0
	s_addc_u32 s0, s0, s82
	v_mad_u64_u32 v[25:26], null, v2, s0, 0
	v_mad_u64_u32 v[40:41], null, v35, s0, 0
	v_add_co_u32 v25, vcc_lo, v42, v25
	v_add_co_ci_u32_e64 v26, null, 0, v26, vcc_lo
	v_add_co_u32 v25, vcc_lo, v25, v38
	v_add_co_ci_u32_e32 v25, vcc_lo, v26, v39, vcc_lo
	v_add_co_ci_u32_e32 v26, vcc_lo, 0, v41, vcc_lo
	v_add_co_u32 v38, vcc_lo, v25, v40
	v_add_co_ci_u32_e64 v39, null, 0, v26, vcc_lo
	v_mul_lo_u32 v40, s67, v38
	v_mad_u64_u32 v[25:26], null, s66, v38, 0
	v_mul_lo_u32 v41, s66, v39
	v_sub_co_u32 v2, vcc_lo, v2, v25
	v_add3_u32 v26, v26, v41, v40
	v_sub_nc_u32_e32 v40, v35, v26
	v_sub_co_ci_u32_e64 v26, null, v35, v26, vcc_lo
	v_subrev_co_ci_u32_e64 v25, null, s67, v40, vcc_lo
	v_add_co_u32 v40, s0, v38, 2
	v_add_co_ci_u32_e64 v41, null, 0, v39, s0
	v_sub_co_u32 v42, s0, v2, s66
	v_subrev_co_ci_u32_e64 v25, null, 0, v25, s0
	v_cmp_le_u32_e32 vcc_lo, s66, v42
	v_cndmask_b32_e64 v35, 0, -1, vcc_lo
	v_cmp_le_u32_e32 vcc_lo, s67, v25
	v_cndmask_b32_e64 v42, 0, -1, vcc_lo
	;; [unrolled: 2-line block ×4, first 2 shown]
	v_cmp_eq_u32_e32 vcc_lo, s67, v25
	v_cndmask_b32_e32 v25, v42, v35, vcc_lo
	v_add_co_u32 v35, vcc_lo, v38, 1
	v_add_co_ci_u32_e64 v42, null, 0, v39, vcc_lo
	v_cmp_eq_u32_e32 vcc_lo, s67, v26
	v_xor_b32_e32 v26, s64, v27
	v_cndmask_b32_e32 v2, v43, v2, vcc_lo
	v_cmp_ne_u32_e32 vcc_lo, 0, v25
	v_cmp_ne_u32_e64 s0, 0, v2
	v_cndmask_b32_e32 v2, v35, v40, vcc_lo
	v_cndmask_b32_e32 v25, v42, v41, vcc_lo
	v_cndmask_b32_e64 v2, v38, v2, s0
	v_cndmask_b32_e64 v25, v39, v25, s0
	v_xor_b32_e32 v2, v2, v26
	v_xor_b32_e32 v27, v25, v26
	v_sub_co_u32 v25, vcc_lo, v2, v26
	v_sub_co_ci_u32_e64 v26, null, v27, v26, vcc_lo
	s_andn2_saveexec_b32 s0, s80
	s_cbranch_execz .LBB11_65
.LBB11_68:                              ;   in Loop: Header=BB11_3 Depth=1
	v_cvt_f32_u32_e32 v2, s58
	s_sub_i32 s64, 0, s58
	v_rcp_iflag_f32_e32 v2, v2
	v_mul_f32_e32 v2, 0x4f7ffffe, v2
	v_cvt_u32_f32_e32 v2, v2
	v_mul_lo_u32 v25, s64, v2
	v_mul_hi_u32 v25, v2, v25
	v_add_nc_u32_e32 v2, v2, v25
	v_mul_hi_u32 v2, v3, v2
	v_mul_lo_u32 v25, v2, s58
	v_add_nc_u32_e32 v26, 1, v2
	v_sub_nc_u32_e32 v25, v3, v25
	v_subrev_nc_u32_e32 v27, s58, v25
	v_cmp_le_u32_e32 vcc_lo, s58, v25
	v_cndmask_b32_e32 v25, v25, v27, vcc_lo
	v_cndmask_b32_e32 v2, v2, v26, vcc_lo
	v_cmp_le_u32_e32 vcc_lo, s58, v25
	v_add_nc_u32_e32 v26, 1, v2
	v_cndmask_b32_e32 v25, v2, v26, vcc_lo
	v_mov_b32_e32 v26, v1
	s_or_b32 exec_lo, exec_lo, s0
	s_andn2_b32 vcc_lo, exec_lo, s1
	s_cbranch_vccz .LBB11_66
.LBB11_69:                              ;   in Loop: Header=BB11_3 Depth=1
	v_mov_b32_e32 v35, 0
	v_mov_b32_e32 v2, 0
	;; [unrolled: 1-line block ×8, first 2 shown]
.LBB11_70:                              ;   in Loop: Header=BB11_3 Depth=1
	s_waitcnt vmcnt(6)
	v_cvt_f32_f16_e32 v30, v30
	s_waitcnt vmcnt(2)
	v_cvt_f32_f16_e32 v36, v36
	v_add_f32_e32 v30, v30, v36
	v_add_f32_e32 v27, v30, v27
	;; [unrolled: 1-line block ×3, first 2 shown]
                                        ; implicit-def: $vgpr27
	v_cmp_ngt_f32_e64 s0, 0x3f200000, |v2|
	s_and_saveexec_b32 s64, s0
	s_xor_b32 s0, exec_lo, s64
	s_cbranch_execz .LBB11_72
; %bb.71:                               ;   in Loop: Header=BB11_3 Depth=1
	v_add_f32_e64 v27, |v2|, |v2|
	v_mul_f32_e32 v30, 0x3fb8aa3b, v27
	v_cmp_ngt_f32_e32 vcc_lo, 0xc2ce8ed0, v27
	v_rndne_f32_e32 v36, v30
	v_fma_f32 v41, 0x3fb8aa3b, v27, -v30
	v_sub_f32_e32 v30, v30, v36
	v_fmac_f32_e32 v41, 0x32a5705f, v27
	v_cvt_i32_f32_e32 v36, v36
	v_add_f32_e32 v30, v30, v41
	v_exp_f32_e32 v30, v30
	v_ldexp_f32 v30, v30, v36
	v_cndmask_b32_e32 v30, 0, v30, vcc_lo
	v_cmp_nlt_f32_e32 vcc_lo, 0x42b17218, v27
	v_cndmask_b32_e32 v27, 0x7f800000, v30, vcc_lo
	v_add_f32_e32 v27, 1.0, v27
	v_rcp_f32_e32 v27, v27
	v_fma_f32 v27, v27, -2.0, 1.0
.LBB11_72:                              ;   in Loop: Header=BB11_3 Depth=1
	s_andn2_saveexec_b32 s0, s0
	s_cbranch_execz .LBB11_74
; %bb.73:                               ;   in Loop: Header=BB11_3 Depth=1
	v_mul_f32_e32 v27, v2, v2
	v_fmaak_f32 v30, s79, v27, 0x3ca908c9
	v_fmaak_f32 v30, v27, v30, 0xbd5c1c4e
	;; [unrolled: 1-line block ×4, first 2 shown]
	v_mul_f32_e64 v30, |v2|, v30
	v_fma_f32 v27, v27, v30, |v2|
.LBB11_74:                              ;   in Loop: Header=BB11_3 Depth=1
	s_or_b32 exec_lo, exec_lo, s0
	v_cvt_f32_f16_e32 v28, v28
	v_cvt_f32_f16_e32 v30, v32
	;; [unrolled: 1-line block ×4, first 2 shown]
	v_bfi_b32 v2, 0x7fffffff, v27, v2
	v_add_f32_e32 v28, v28, v30
	v_add_f32_e32 v29, v29, v32
	;; [unrolled: 1-line block ×6, first 2 shown]
	v_mul_f32_e32 v28, 0xbfb8aa3b, v10
	v_cmp_nlt_f32_e32 vcc_lo, 0x42ce8ed0, v10
	v_mul_f32_e32 v29, 0xbfb8aa3b, v9
	v_fma_f32 v30, 0xbfb8aa3b, v10, -v28
	v_rndne_f32_e32 v32, v28
	v_fma_f32 v33, 0xbfb8aa3b, v9, -v29
	v_rndne_f32_e32 v36, v29
	v_fmac_f32_e32 v30, 0xb2a5705f, v10
	v_sub_f32_e32 v28, v28, v32
	v_fmac_f32_e32 v33, 0xb2a5705f, v9
	v_sub_f32_e32 v29, v29, v36
	v_add_f32_e32 v28, v28, v30
	v_cvt_i32_f32_e32 v30, v32
	v_add_f32_e32 v29, v29, v33
	v_cvt_i32_f32_e32 v32, v36
	v_exp_f32_e32 v28, v28
	v_exp_f32_e32 v29, v29
	v_ldexp_f32 v28, v28, v30
	v_ldexp_f32 v29, v29, v32
	v_cndmask_b32_e32 v28, 0, v28, vcc_lo
	v_cmp_nlt_f32_e32 vcc_lo, 0x42ce8ed0, v9
	v_cndmask_b32_e32 v29, 0, v29, vcc_lo
	v_cmp_ngt_f32_e32 vcc_lo, 0xc2b17218, v10
	v_cndmask_b32_e32 v10, 0x7f800000, v28, vcc_lo
	v_cmp_ngt_f32_e32 vcc_lo, 0xc2b17218, v9
	v_add_f32_e32 v10, 1.0, v10
	v_cndmask_b32_e32 v9, 0x7f800000, v29, vcc_lo
	v_div_scale_f32 v39, vcc_lo, 1.0, v10, 1.0
	v_add_f32_e32 v28, 1.0, v9
	v_div_scale_f32 v9, null, v10, v10, 1.0
	v_div_scale_f32 v29, null, v28, v28, 1.0
	v_rcp_f32_e32 v30, v9
	v_rcp_f32_e32 v32, v29
	v_fma_f32 v33, -v9, v30, 1.0
	v_fma_f32 v36, -v29, v32, 1.0
	v_fmac_f32_e32 v30, v33, v30
	v_div_scale_f32 v33, s0, 1.0, v28, 1.0
	v_fmac_f32_e32 v32, v36, v32
	v_mul_f32_e32 v36, v39, v30
	v_mul_f32_e32 v40, v33, v32
	v_fma_f32 v41, -v9, v36, v39
	v_fma_f32 v42, -v29, v40, v33
	v_fmac_f32_e32 v36, v41, v30
	v_fmac_f32_e32 v40, v42, v32
	v_fma_f32 v9, -v9, v36, v39
	v_fma_f32 v29, -v29, v40, v33
	v_div_fmas_f32 v9, v9, v30, v36
	s_mov_b32 vcc_lo, s0
	v_div_fmas_f32 v29, v29, v32, v40
	v_div_fixup_f32 v9, v9, v10, 1.0
	v_div_fixup_f32 v10, v29, v28, 1.0
                                        ; implicit-def: $vgpr28
	v_mul_f32_e32 v27, v9, v2
	s_waitcnt vmcnt(0)
	v_fma_mix_f32 v27, v10, v34, v27 op_sel_hi:[0,1,0]
	v_cmp_ngt_f32_e64 s0, 0x3f200000, |v27|
	s_and_saveexec_b32 s64, s0
	s_xor_b32 s0, exec_lo, s64
	s_cbranch_execz .LBB11_76
; %bb.75:                               ;   in Loop: Header=BB11_3 Depth=1
	v_add_f32_e64 v28, |v27|, |v27|
	v_mul_f32_e32 v29, 0x3fb8aa3b, v28
	v_cmp_ngt_f32_e32 vcc_lo, 0xc2ce8ed0, v28
	v_rndne_f32_e32 v30, v29
	v_fma_f32 v32, 0x3fb8aa3b, v28, -v29
	v_sub_f32_e32 v29, v29, v30
	v_fmac_f32_e32 v32, 0x32a5705f, v28
	v_cvt_i32_f32_e32 v30, v30
	v_add_f32_e32 v29, v29, v32
	v_exp_f32_e32 v29, v29
	v_ldexp_f32 v29, v29, v30
	v_cndmask_b32_e32 v29, 0, v29, vcc_lo
	v_cmp_nlt_f32_e32 vcc_lo, 0x42b17218, v28
	v_cndmask_b32_e32 v28, 0x7f800000, v29, vcc_lo
	v_add_f32_e32 v28, 1.0, v28
	v_rcp_f32_e32 v28, v28
	v_fma_f32 v28, v28, -2.0, 1.0
.LBB11_76:                              ;   in Loop: Header=BB11_3 Depth=1
	s_andn2_saveexec_b32 s0, s0
	s_cbranch_execz .LBB11_2
; %bb.77:                               ;   in Loop: Header=BB11_3 Depth=1
	v_mul_f32_e32 v28, v27, v27
	v_fmaak_f32 v29, s79, v28, 0x3ca908c9
	v_fmaak_f32 v29, v28, v29, 0xbd5c1c4e
	;; [unrolled: 1-line block ×4, first 2 shown]
	v_mul_f32_e64 v29, |v27|, v29
	v_fma_f32 v28, v28, v29, |v27|
	s_branch .LBB11_2
.LBB11_78:
	s_endpgm
	.section	.rodata,"a",@progbits
	.p2align	6, 0x0
	.amdhsa_kernel _ZN2at6native12_GLOBAL__N_16kernel17lstm_cell_forwardIN3c104HalfEflLi2EEEvNS_4cuda6detail10TensorInfoIT_T1_EESB_SB_SB_SB_SB_SB_SB_SA_SA_
		.amdhsa_group_segment_fixed_size 0
		.amdhsa_private_segment_fixed_size 0
		.amdhsa_kernarg_size 3600
		.amdhsa_user_sgpr_count 6
		.amdhsa_user_sgpr_private_segment_buffer 1
		.amdhsa_user_sgpr_dispatch_ptr 0
		.amdhsa_user_sgpr_queue_ptr 0
		.amdhsa_user_sgpr_kernarg_segment_ptr 1
		.amdhsa_user_sgpr_dispatch_id 0
		.amdhsa_user_sgpr_flat_scratch_init 0
		.amdhsa_user_sgpr_private_segment_size 0
		.amdhsa_wavefront_size32 1
		.amdhsa_uses_dynamic_stack 0
		.amdhsa_system_sgpr_private_segment_wavefront_offset 0
		.amdhsa_system_sgpr_workgroup_id_x 1
		.amdhsa_system_sgpr_workgroup_id_y 0
		.amdhsa_system_sgpr_workgroup_id_z 0
		.amdhsa_system_sgpr_workgroup_info 0
		.amdhsa_system_vgpr_workitem_id 0
		.amdhsa_next_free_vgpr 56
		.amdhsa_next_free_sgpr 90
		.amdhsa_reserve_vcc 1
		.amdhsa_reserve_flat_scratch 0
		.amdhsa_float_round_mode_32 0
		.amdhsa_float_round_mode_16_64 0
		.amdhsa_float_denorm_mode_32 3
		.amdhsa_float_denorm_mode_16_64 3
		.amdhsa_dx10_clamp 1
		.amdhsa_ieee_mode 1
		.amdhsa_fp16_overflow 0
		.amdhsa_workgroup_processor_mode 1
		.amdhsa_memory_ordered 1
		.amdhsa_forward_progress 1
		.amdhsa_shared_vgpr_count 0
		.amdhsa_exception_fp_ieee_invalid_op 0
		.amdhsa_exception_fp_denorm_src 0
		.amdhsa_exception_fp_ieee_div_zero 0
		.amdhsa_exception_fp_ieee_overflow 0
		.amdhsa_exception_fp_ieee_underflow 0
		.amdhsa_exception_fp_ieee_inexact 0
		.amdhsa_exception_int_div_zero 0
	.end_amdhsa_kernel
	.section	.text._ZN2at6native12_GLOBAL__N_16kernel17lstm_cell_forwardIN3c104HalfEflLi2EEEvNS_4cuda6detail10TensorInfoIT_T1_EESB_SB_SB_SB_SB_SB_SB_SA_SA_,"axG",@progbits,_ZN2at6native12_GLOBAL__N_16kernel17lstm_cell_forwardIN3c104HalfEflLi2EEEvNS_4cuda6detail10TensorInfoIT_T1_EESB_SB_SB_SB_SB_SB_SB_SA_SA_,comdat
.Lfunc_end11:
	.size	_ZN2at6native12_GLOBAL__N_16kernel17lstm_cell_forwardIN3c104HalfEflLi2EEEvNS_4cuda6detail10TensorInfoIT_T1_EESB_SB_SB_SB_SB_SB_SB_SA_SA_, .Lfunc_end11-_ZN2at6native12_GLOBAL__N_16kernel17lstm_cell_forwardIN3c104HalfEflLi2EEEvNS_4cuda6detail10TensorInfoIT_T1_EESB_SB_SB_SB_SB_SB_SB_SA_SA_
                                        ; -- End function
	.set _ZN2at6native12_GLOBAL__N_16kernel17lstm_cell_forwardIN3c104HalfEflLi2EEEvNS_4cuda6detail10TensorInfoIT_T1_EESB_SB_SB_SB_SB_SB_SB_SA_SA_.num_vgpr, 56
	.set _ZN2at6native12_GLOBAL__N_16kernel17lstm_cell_forwardIN3c104HalfEflLi2EEEvNS_4cuda6detail10TensorInfoIT_T1_EESB_SB_SB_SB_SB_SB_SB_SA_SA_.num_agpr, 0
	.set _ZN2at6native12_GLOBAL__N_16kernel17lstm_cell_forwardIN3c104HalfEflLi2EEEvNS_4cuda6detail10TensorInfoIT_T1_EESB_SB_SB_SB_SB_SB_SB_SA_SA_.numbered_sgpr, 90
	.set _ZN2at6native12_GLOBAL__N_16kernel17lstm_cell_forwardIN3c104HalfEflLi2EEEvNS_4cuda6detail10TensorInfoIT_T1_EESB_SB_SB_SB_SB_SB_SB_SA_SA_.num_named_barrier, 0
	.set _ZN2at6native12_GLOBAL__N_16kernel17lstm_cell_forwardIN3c104HalfEflLi2EEEvNS_4cuda6detail10TensorInfoIT_T1_EESB_SB_SB_SB_SB_SB_SB_SA_SA_.private_seg_size, 0
	.set _ZN2at6native12_GLOBAL__N_16kernel17lstm_cell_forwardIN3c104HalfEflLi2EEEvNS_4cuda6detail10TensorInfoIT_T1_EESB_SB_SB_SB_SB_SB_SB_SA_SA_.uses_vcc, 1
	.set _ZN2at6native12_GLOBAL__N_16kernel17lstm_cell_forwardIN3c104HalfEflLi2EEEvNS_4cuda6detail10TensorInfoIT_T1_EESB_SB_SB_SB_SB_SB_SB_SA_SA_.uses_flat_scratch, 0
	.set _ZN2at6native12_GLOBAL__N_16kernel17lstm_cell_forwardIN3c104HalfEflLi2EEEvNS_4cuda6detail10TensorInfoIT_T1_EESB_SB_SB_SB_SB_SB_SB_SA_SA_.has_dyn_sized_stack, 0
	.set _ZN2at6native12_GLOBAL__N_16kernel17lstm_cell_forwardIN3c104HalfEflLi2EEEvNS_4cuda6detail10TensorInfoIT_T1_EESB_SB_SB_SB_SB_SB_SB_SA_SA_.has_recursion, 0
	.set _ZN2at6native12_GLOBAL__N_16kernel17lstm_cell_forwardIN3c104HalfEflLi2EEEvNS_4cuda6detail10TensorInfoIT_T1_EESB_SB_SB_SB_SB_SB_SB_SA_SA_.has_indirect_call, 0
	.section	.AMDGPU.csdata,"",@progbits
; Kernel info:
; codeLenInByte = 17244
; TotalNumSgprs: 92
; NumVgprs: 56
; ScratchSize: 0
; MemoryBound: 0
; FloatMode: 240
; IeeeMode: 1
; LDSByteSize: 0 bytes/workgroup (compile time only)
; SGPRBlocks: 0
; VGPRBlocks: 6
; NumSGPRsForWavesPerEU: 92
; NumVGPRsForWavesPerEU: 56
; Occupancy: 16
; WaveLimiterHint : 1
; COMPUTE_PGM_RSRC2:SCRATCH_EN: 0
; COMPUTE_PGM_RSRC2:USER_SGPR: 6
; COMPUTE_PGM_RSRC2:TRAP_HANDLER: 0
; COMPUTE_PGM_RSRC2:TGID_X_EN: 1
; COMPUTE_PGM_RSRC2:TGID_Y_EN: 0
; COMPUTE_PGM_RSRC2:TGID_Z_EN: 0
; COMPUTE_PGM_RSRC2:TIDIG_COMP_CNT: 0
	.section	.text._ZN2at6native12_GLOBAL__N_16kernel17lstm_cell_forwardIN3c108BFloat16EfiLi1EEEvNS_4cuda6detail10TensorInfoIT_T1_EESB_SB_SB_SB_SB_SB_SB_SA_SA_,"axG",@progbits,_ZN2at6native12_GLOBAL__N_16kernel17lstm_cell_forwardIN3c108BFloat16EfiLi1EEEvNS_4cuda6detail10TensorInfoIT_T1_EESB_SB_SB_SB_SB_SB_SB_SA_SA_,comdat
	.globl	_ZN2at6native12_GLOBAL__N_16kernel17lstm_cell_forwardIN3c108BFloat16EfiLi1EEEvNS_4cuda6detail10TensorInfoIT_T1_EESB_SB_SB_SB_SB_SB_SB_SA_SA_ ; -- Begin function _ZN2at6native12_GLOBAL__N_16kernel17lstm_cell_forwardIN3c108BFloat16EfiLi1EEEvNS_4cuda6detail10TensorInfoIT_T1_EESB_SB_SB_SB_SB_SB_SB_SA_SA_
	.p2align	8
	.type	_ZN2at6native12_GLOBAL__N_16kernel17lstm_cell_forwardIN3c108BFloat16EfiLi1EEEvNS_4cuda6detail10TensorInfoIT_T1_EESB_SB_SB_SB_SB_SB_SB_SA_SA_,@function
_ZN2at6native12_GLOBAL__N_16kernel17lstm_cell_forwardIN3c108BFloat16EfiLi1EEEvNS_4cuda6detail10TensorInfoIT_T1_EESB_SB_SB_SB_SB_SB_SB_SA_SA_: ; @_ZN2at6native12_GLOBAL__N_16kernel17lstm_cell_forwardIN3c108BFloat16EfiLi1EEEvNS_4cuda6detail10TensorInfoIT_T1_EESB_SB_SB_SB_SB_SB_SB_SA_SA_
; %bb.0:
	s_clause 0x1
	s_load_dword s2, s[4:5], 0x6d4
	s_load_dwordx2 s[8:9], s[4:5], 0x6c0
	s_add_u32 s0, s4, 0x6c8
	s_addc_u32 s1, s5, 0
	s_mov_b32 s3, exec_lo
	s_waitcnt lgkmcnt(0)
	s_and_b32 s2, s2, 0xffff
	v_mad_u64_u32 v[0:1], null, s6, s2, v[0:1]
	v_cmpx_gt_i32_e64 s9, v0
	s_cbranch_execz .LBB12_13
; %bb.1:
	s_clause 0x4
	s_load_dwordx2 s[6:7], s[4:5], 0x1b0
	s_load_dword s24, s[4:5], 0x21c
	s_load_dwordx2 s[10:11], s[4:5], 0x288
	s_load_dword s25, s[4:5], 0x2f4
	s_load_dword s3, s[4:5], 0x57c
	;; [unrolled: 1-line block ×3, first 2 shown]
	s_clause 0x7
	s_load_dword s0, s[4:5], 0x3cc
	s_load_dword s1, s[4:5], 0x4a4
	s_load_dwordx2 s[12:13], s[4:5], 0x360
	s_load_dwordx2 s[14:15], s[4:5], 0x438
	;; [unrolled: 1-line block ×3, first 2 shown]
	s_load_dword s28, s[4:5], 0x6c
	s_load_dwordx2 s[18:19], s[4:5], 0xd8
	s_load_dword s29, s[4:5], 0x144
	v_mov_b32_e32 v13, 0x7fc0
	s_mov_b32 s31, 0
	s_mul_i32 s33, s8, 3
	s_mov_b32 s40, 0xbbbac73d
	s_waitcnt lgkmcnt(0)
	s_cmp_lg_u64 s[6:7], 0
	s_cselect_b32 s26, -1, 0
	s_abs_i32 s27, s8
	v_mul_lo_u32 v3, v0, s1
	v_cvt_f32_u32_e32 v1, s27
	s_sub_i32 s20, 0, s27
	v_mul_lo_u32 v5, v0, s3
	s_mul_i32 s34, s34, s2
	s_ashr_i32 s35, s8, 31
	v_rcp_iflag_f32_e32 v1, v1
	s_sub_i32 s36, 0, s8
	s_mul_i32 s37, s34, s0
	s_mul_i32 s38, s34, s1
	;; [unrolled: 1-line block ×3, first 2 shown]
	v_mul_f32_e32 v1, 0x4f7ffffe, v1
	v_cvt_u32_f32_e32 v2, v1
	v_mul_lo_u32 v1, s20, v2
	s_clause 0x2
	s_load_dwordx2 s[20:21], s[4:5], 0x510
	s_load_dwordx2 s[22:23], s[4:5], 0x5e8
	s_load_dword s30, s[4:5], 0x654
	v_mul_hi_u32 v4, v2, v1
	v_mul_lo_u32 v1, v0, s0
	v_add_nc_u32_e32 v12, v2, v4
	s_branch .LBB12_3
.LBB12_2:                               ;   in Loop: Header=BB12_3 Depth=1
	s_or_b32 exec_lo, exec_lo, s0
	v_lshlrev_b32_e32 v4, 16, v4
	v_lshlrev_b32_e32 v7, 16, v7
	s_waitcnt lgkmcnt(0)
	v_mul_lo_u32 v19, v6, s30
	v_ashrrev_i32_e32 v6, 31, v5
	v_bfi_b32 v26, 0x7fffffff, v18, v9
	v_bfe_u32 v18, v17, 16, 1
	v_add_f32_e32 v4, v4, v7
	v_cmp_o_f32_e64 s2, v17, v17
	v_lshlrev_b64 v[23:24], 1, v[5:6]
	v_cmp_o_f32_e64 s1, v11, v11
	v_add3_u32 v30, v17, v18, 0x7fff
	v_add_f32_e32 v4, v4, v16
	v_cmp_o_f32_e64 s0, v9, v9
	v_bfe_u32 v20, v14, 16, 1
	v_cmp_o_f32_e64 s3, v14, v14
	v_add_nc_u32_e32 v0, s34, v0
	v_add_f32_e32 v4, v15, v4
	v_add_nc_u32_e32 v1, s37, v1
	v_add3_u32 v31, v14, v20, 0x7fff
	v_ashrrev_i32_e32 v20, 31, v19
	v_cmp_le_i32_e64 s4, s9, v0
	v_mul_f32_e32 v7, 0xbfb8aa3b, v4
	v_cmp_nlt_f32_e32 vcc_lo, 0x42ce8ed0, v4
	v_add_nc_u32_e32 v5, s39, v5
	s_or_b32 s31, s4, s31
	v_fma_f32 v15, 0xbfb8aa3b, v4, -v7
	v_rndne_f32_e32 v16, v7
	v_fmac_f32_e32 v15, 0xb2a5705f, v4
	v_sub_f32_e32 v7, v7, v16
	v_add_f32_e32 v7, v7, v15
	v_cvt_i32_f32_e32 v15, v16
	v_bfe_u32 v16, v11, 16, 1
	v_exp_f32_e32 v7, v7
	v_ldexp_f32 v7, v7, v15
	v_mul_lo_u32 v15, v8, s30
	v_bfe_u32 v8, v9, 16, 1
	v_cndmask_b32_e32 v7, 0, v7, vcc_lo
	v_cmp_ngt_f32_e32 vcc_lo, 0xc2b17218, v4
	v_add3_u32 v28, v9, v8, 0x7fff
	v_cndmask_b32_e32 v4, 0x7f800000, v7, vcc_lo
	v_mul_lo_u32 v7, v10, s30
	v_mul_lo_u32 v10, v2, s30
	v_add_f32_e32 v2, 1.0, v4
	v_ashrrev_i32_e32 v4, 31, v3
	v_ashrrev_i32_e32 v8, 31, v7
	v_div_scale_f32 v25, null, v2, v2, 1.0
	v_lshlrev_b64 v[21:22], 1, v[3:4]
	v_div_scale_f32 v29, vcc_lo, 1.0, v2, 1.0
	v_rcp_f32_e32 v27, v25
	v_add_nc_u32_e32 v3, s38, v3
	v_add_co_u32 v17, s5, s14, v21
	v_add_co_ci_u32_e64 v18, null, s15, v22, s5
	v_add_co_u32 v21, s5, s20, v23
	v_add_co_ci_u32_e64 v22, null, s21, v24, s5
	v_fma_f32 v4, -v25, v27, 1.0
	v_fmac_f32_e32 v27, v4, v27
	v_add3_u32 v4, v11, v16, 0x7fff
	v_ashrrev_i32_e32 v11, 31, v10
	v_ashrrev_i32_e32 v16, 31, v15
	v_mul_f32_e32 v32, v29, v27
	v_fma_f32 v6, -v25, v32, v29
	v_fmac_f32_e32 v32, v6, v27
	v_lshlrev_b64 v[6:7], 1, v[7:8]
	v_lshlrev_b64 v[8:9], 1, v[10:11]
	;; [unrolled: 1-line block ×4, first 2 shown]
	v_fma_f32 v23, -v25, v32, v29
	v_div_fmas_f32 v16, v23, v27, v32
	v_add_co_u32 v6, vcc_lo, s22, v6
	v_add_co_ci_u32_e64 v7, null, s23, v7, vcc_lo
	v_div_fixup_f32 v2, v16, v2, 1.0
	v_add_co_u32 v8, vcc_lo, s22, v8
	v_add_co_ci_u32_e64 v9, null, s23, v9, vcc_lo
	v_mul_f32_e32 v16, v2, v26
	v_add_co_u32 v10, vcc_lo, s22, v10
	v_add_co_ci_u32_e64 v11, null, s23, v11, vcc_lo
	v_bfe_u32 v20, v16, 16, 1
	v_cmp_o_f32_e32 vcc_lo, v16, v16
	v_bfe_u32 v19, v2, 16, 1
	v_add_co_u32 v14, s5, s22, v14
	v_add3_u32 v16, v16, v20, 0x7fff
	v_add_co_ci_u32_e64 v15, null, s23, v15, s5
	v_cmp_o_f32_e64 s5, v2, v2
	v_add3_u32 v2, v2, v19, 0x7fff
	v_cndmask_b32_sdwa v16, v13, v16, vcc_lo dst_sel:DWORD dst_unused:UNUSED_PAD src0_sel:DWORD src1_sel:WORD_1
	s_mov_b32 vcc_lo, s0
	v_cndmask_b32_sdwa v19, v13, v28, vcc_lo dst_sel:DWORD dst_unused:UNUSED_PAD src0_sel:DWORD src1_sel:WORD_1
	s_mov_b32 vcc_lo, s1
	global_store_short v[17:18], v16, off
	v_cndmask_b32_sdwa v4, v13, v4, vcc_lo dst_sel:DWORD dst_unused:UNUSED_PAD src0_sel:DWORD src1_sel:WORD_1
	s_mov_b32 vcc_lo, s2
	global_store_short v[21:22], v19, off
	;; [unrolled: 3-line block ×4, first 2 shown]
	v_cndmask_b32_sdwa v2, v13, v2, vcc_lo dst_sel:DWORD dst_unused:UNUSED_PAD src0_sel:DWORD src1_sel:WORD_1
	global_store_short v[10:11], v17, off
	global_store_short v[14:15], v2, off
	s_andn2_b32 exec_lo, exec_lo, s31
	s_cbranch_execz .LBB12_13
.LBB12_3:                               ; =>This Inner Loop Header: Depth=1
	v_sub_nc_u32_e32 v2, 0, v0
	v_max_i32_e32 v2, v0, v2
	v_mul_hi_u32 v4, v2, v12
	v_mul_lo_u32 v6, v4, s27
	v_sub_nc_u32_e32 v2, v2, v6
	v_add_nc_u32_e32 v6, 1, v4
	v_subrev_nc_u32_e32 v7, s27, v2
	v_cmp_le_u32_e32 vcc_lo, s27, v2
	v_cndmask_b32_e32 v4, v4, v6, vcc_lo
	v_cndmask_b32_e32 v2, v2, v7, vcc_lo
	v_ashrrev_i32_e32 v6, 31, v0
	v_add_nc_u32_e32 v7, 1, v4
	v_cmp_le_u32_e32 vcc_lo, s27, v2
	v_xor_b32_e32 v19, s35, v6
	v_cndmask_b32_e32 v2, v4, v7, vcc_lo
	v_mul_i32_i24_e32 v4, 3, v19
	v_xor_b32_e32 v20, v2, v19
	v_ashrrev_i32_e32 v2, 31, v1
	v_lshl_add_u32 v6, v20, 1, v20
	v_sub_nc_u32_e32 v23, v20, v19
	v_lshlrev_b64 v[14:15], 1, v[1:2]
	v_sub_nc_u32_e32 v4, v6, v4
	v_mad_u64_u32 v[10:11], null, s33, v23, v[0:1]
	v_add_co_u32 v24, vcc_lo, s12, v14
	v_mul_lo_u32 v2, s8, v4
	v_add_nc_u32_e32 v6, 2, v4
	v_add_nc_u32_e32 v4, 3, v4
	v_add_co_ci_u32_e64 v25, null, s13, v15, vcc_lo
	v_mul_lo_u32 v16, v10, s28
	v_mul_lo_u32 v21, v10, s29
	v_mad_u64_u32 v[8:9], null, s8, v6, v[0:1]
	v_add3_u32 v2, v2, s8, v0
	v_mad_u64_u32 v[6:7], null, s8, v4, v[0:1]
	v_ashrrev_i32_e32 v17, 31, v16
	v_mul_lo_u32 v14, v2, s28
	v_ashrrev_i32_e32 v22, 31, v21
	v_mul_lo_u32 v26, v8, s28
	v_mul_lo_u32 v30, v2, s29
	;; [unrolled: 1-line block ×3, first 2 shown]
	v_lshlrev_b64 v[16:17], 1, v[16:17]
	v_lshlrev_b64 v[21:22], 1, v[21:22]
	v_mul_lo_u32 v32, v8, s29
	v_ashrrev_i32_e32 v15, 31, v14
	v_mul_lo_u32 v34, v6, s29
	v_ashrrev_i32_e32 v27, 31, v26
	v_add_co_u32 v16, vcc_lo, s16, v16
	v_ashrrev_i32_e32 v29, 31, v28
	v_add_co_ci_u32_e64 v17, null, s17, v17, vcc_lo
	v_add_co_u32 v36, vcc_lo, s18, v21
	v_lshlrev_b64 v[14:15], 1, v[14:15]
	v_ashrrev_i32_e32 v31, 31, v30
	v_add_co_ci_u32_e64 v37, null, s19, v22, vcc_lo
	v_lshlrev_b64 v[21:22], 1, v[26:27]
	v_ashrrev_i32_e32 v33, 31, v32
	v_lshlrev_b64 v[26:27], 1, v[28:29]
	v_ashrrev_i32_e32 v35, 31, v34
	v_lshlrev_b64 v[28:29], 1, v[30:31]
	v_add_co_u32 v14, vcc_lo, s16, v14
	v_lshlrev_b64 v[30:31], 1, v[32:33]
	v_add_co_ci_u32_e64 v15, null, s17, v15, vcc_lo
	v_add_co_u32 v21, vcc_lo, s16, v21
	v_lshlrev_b64 v[32:33], 1, v[34:35]
	v_add_co_ci_u32_e64 v22, null, s17, v22, vcc_lo
	v_add_co_u32 v26, vcc_lo, s16, v26
	v_add_co_ci_u32_e64 v27, null, s17, v27, vcc_lo
	v_add_co_u32 v28, vcc_lo, s18, v28
	;; [unrolled: 2-line block ×4, first 2 shown]
	v_add_co_ci_u32_e64 v33, null, s19, v33, vcc_lo
	s_clause 0x3
	global_load_ushort v17, v[16:17], off
	global_load_ushort v11, v[14:15], off
	;; [unrolled: 1-line block ×4, first 2 shown]
	s_clause 0x3
	global_load_ushort v18, v[36:37], off
	global_load_ushort v14, v[28:29], off
	;; [unrolled: 1-line block ×5, first 2 shown]
	v_mov_b32_e32 v28, 0
	v_mov_b32_e32 v15, 0
	;; [unrolled: 1-line block ×8, first 2 shown]
	s_andn2_b32 vcc_lo, exec_lo, s26
	s_cbranch_vccnz .LBB12_5
; %bb.4:                                ;   in Loop: Header=BB12_3 Depth=1
	v_sub_nc_u32_e32 v19, v19, v20
	v_mad_u64_u32 v[15:16], null, s36, v23, v[0:1]
	v_mul_lo_u32 v16, s8, v19
	v_add_nc_u32_e32 v20, 2, v19
	v_add_nc_u32_e32 v25, 3, v19
	v_mul_lo_u32 v19, v15, s24
	v_mul_lo_u32 v15, v15, s25
	v_mad_u64_u32 v[23:24], null, s8, v20, v[0:1]
	v_add3_u32 v28, v16, s8, v0
	v_mad_u64_u32 v[24:25], null, s8, v25, v[0:1]
	v_ashrrev_i32_e32 v20, 31, v19
	v_mul_lo_u32 v25, v28, s24
	v_mul_lo_u32 v27, v23, s24
	;; [unrolled: 1-line block ×5, first 2 shown]
	v_lshlrev_b64 v[19:20], 1, v[19:20]
	v_mul_lo_u32 v33, v24, s25
	v_ashrrev_i32_e32 v16, 31, v15
	v_ashrrev_i32_e32 v26, 31, v25
	;; [unrolled: 1-line block ×4, first 2 shown]
	v_add_co_u32 v19, vcc_lo, s6, v19
	v_ashrrev_i32_e32 v30, 31, v29
	v_lshlrev_b64 v[25:26], 1, v[25:26]
	v_lshlrev_b64 v[27:28], 1, v[27:28]
	v_ashrrev_i32_e32 v24, 31, v23
	v_add_co_ci_u32_e64 v20, null, s7, v20, vcc_lo
	v_lshlrev_b64 v[29:30], 1, v[29:30]
	v_add_co_u32 v25, vcc_lo, s6, v25
	v_lshlrev_b64 v[15:16], 1, v[15:16]
	v_ashrrev_i32_e32 v34, 31, v33
	v_add_co_ci_u32_e64 v26, null, s7, v26, vcc_lo
	v_add_co_u32 v27, vcc_lo, s6, v27
	v_lshlrev_b64 v[31:32], 1, v[31:32]
	v_add_co_ci_u32_e64 v28, null, s7, v28, vcc_lo
	v_add_co_u32 v29, vcc_lo, s6, v29
	v_lshlrev_b64 v[23:24], 1, v[23:24]
	;; [unrolled: 3-line block ×3, first 2 shown]
	v_add_co_ci_u32_e64 v16, null, s11, v16, vcc_lo
	v_add_co_u32 v31, vcc_lo, s10, v31
	v_add_co_ci_u32_e64 v32, null, s11, v32, vcc_lo
	v_add_co_u32 v23, vcc_lo, s10, v23
	;; [unrolled: 2-line block ×3, first 2 shown]
	v_add_co_ci_u32_e64 v34, null, s11, v34, vcc_lo
	global_load_ushort v19, v[19:20], off
	global_load_ushort v15, v[15:16], off
	;; [unrolled: 1-line block ×4, first 2 shown]
	s_clause 0x1
	global_load_ushort v28, v[27:28], off
	global_load_ushort v30, v[29:30], off
	s_clause 0x1
	global_load_ushort v23, v[23:24], off
	global_load_ushort v31, v[33:34], off
	s_waitcnt vmcnt(7)
	v_lshlrev_b32_e32 v27, 16, v19
	s_waitcnt vmcnt(6)
	v_lshlrev_b32_e32 v25, 16, v15
	;; [unrolled: 2-line block ×8, first 2 shown]
.LBB12_5:                               ;   in Loop: Header=BB12_3 Depth=1
	s_waitcnt vmcnt(6)
	v_lshlrev_b32_e32 v19, 16, v21
	s_waitcnt vmcnt(2)
	v_lshlrev_b32_e32 v20, 16, v22
	v_add_f32_e32 v19, v19, v20
                                        ; implicit-def: $vgpr20
	v_add_f32_e32 v19, v19, v29
	v_add_f32_e32 v19, v28, v19
	v_cmp_ngt_f32_e64 s0, 0x3f200000, |v19|
	s_and_saveexec_b32 s1, s0
	s_xor_b32 s0, exec_lo, s1
	s_cbranch_execz .LBB12_7
; %bb.6:                                ;   in Loop: Header=BB12_3 Depth=1
	v_add_f32_e64 v20, |v19|, |v19|
	v_mul_f32_e32 v21, 0x3fb8aa3b, v20
	v_cmp_ngt_f32_e32 vcc_lo, 0xc2ce8ed0, v20
	v_rndne_f32_e32 v22, v21
	v_fma_f32 v23, 0x3fb8aa3b, v20, -v21
	v_sub_f32_e32 v21, v21, v22
	v_fmac_f32_e32 v23, 0x32a5705f, v20
	v_cvt_i32_f32_e32 v22, v22
	v_add_f32_e32 v21, v21, v23
	v_exp_f32_e32 v21, v21
	v_ldexp_f32 v21, v21, v22
	v_cndmask_b32_e32 v21, 0, v21, vcc_lo
	v_cmp_nlt_f32_e32 vcc_lo, 0x42b17218, v20
	v_cndmask_b32_e32 v20, 0x7f800000, v21, vcc_lo
	v_add_f32_e32 v20, 1.0, v20
	v_rcp_f32_e32 v20, v20
	v_fma_f32 v20, v20, -2.0, 1.0
.LBB12_7:                               ;   in Loop: Header=BB12_3 Depth=1
	s_andn2_saveexec_b32 s0, s0
	s_cbranch_execz .LBB12_9
; %bb.8:                                ;   in Loop: Header=BB12_3 Depth=1
	v_mul_f32_e32 v20, v19, v19
	v_fmaak_f32 v21, s40, v20, 0x3ca908c9
	v_fmaak_f32 v21, v20, v21, 0xbd5c1c4e
	;; [unrolled: 1-line block ×4, first 2 shown]
	v_mul_f32_e64 v21, |v19|, v21
	v_fma_f32 v20, v20, v21, |v19|
.LBB12_9:                               ;   in Loop: Header=BB12_3 Depth=1
	s_or_b32 exec_lo, exec_lo, s0
	v_lshlrev_b32_e32 v17, 16, v17
	v_lshlrev_b32_e32 v18, 16, v18
	;; [unrolled: 1-line block ×4, first 2 shown]
	v_add_f32_e32 v17, v17, v18
	v_add_f32_e32 v11, v11, v14
	;; [unrolled: 1-line block ×6, first 2 shown]
	v_mul_f32_e32 v17, 0xbfb8aa3b, v14
	v_cmp_nlt_f32_e32 vcc_lo, 0x42ce8ed0, v14
	v_mul_f32_e32 v18, 0xbfb8aa3b, v11
	v_fma_f32 v21, 0xbfb8aa3b, v14, -v17
	v_rndne_f32_e32 v22, v17
	v_fma_f32 v23, 0xbfb8aa3b, v11, -v18
	v_rndne_f32_e32 v24, v18
	v_fmac_f32_e32 v21, 0xb2a5705f, v14
	v_sub_f32_e32 v17, v17, v22
	v_fmac_f32_e32 v23, 0xb2a5705f, v11
	v_sub_f32_e32 v18, v18, v24
	v_add_f32_e32 v17, v17, v21
	v_cvt_i32_f32_e32 v21, v22
	v_add_f32_e32 v18, v18, v23
	v_cvt_i32_f32_e32 v22, v24
	v_exp_f32_e32 v17, v17
	v_exp_f32_e32 v18, v18
	v_ldexp_f32 v17, v17, v21
	v_ldexp_f32 v18, v18, v22
	v_cndmask_b32_e32 v17, 0, v17, vcc_lo
	v_cmp_nlt_f32_e32 vcc_lo, 0x42ce8ed0, v11
	v_cndmask_b32_e32 v18, 0, v18, vcc_lo
	v_cmp_ngt_f32_e32 vcc_lo, 0xc2b17218, v14
	v_cndmask_b32_e32 v14, 0x7f800000, v17, vcc_lo
	v_cmp_ngt_f32_e32 vcc_lo, 0xc2b17218, v11
	v_add_f32_e32 v14, 1.0, v14
	v_cndmask_b32_e32 v11, 0x7f800000, v18, vcc_lo
	v_div_scale_f32 v25, vcc_lo, 1.0, v14, 1.0
	v_add_f32_e32 v17, 1.0, v11
	v_div_scale_f32 v11, null, v14, v14, 1.0
	v_div_scale_f32 v18, null, v17, v17, 1.0
	v_rcp_f32_e32 v21, v11
	v_rcp_f32_e32 v22, v18
	v_fma_f32 v23, -v11, v21, 1.0
	v_fma_f32 v24, -v18, v22, 1.0
	v_fmac_f32_e32 v21, v23, v21
	v_div_scale_f32 v23, s0, 1.0, v17, 1.0
	v_fmac_f32_e32 v22, v24, v22
	v_mul_f32_e32 v24, v25, v21
	v_mul_f32_e32 v26, v23, v22
	v_fma_f32 v27, -v11, v24, v25
	v_fma_f32 v28, -v18, v26, v23
	v_fmac_f32_e32 v24, v27, v21
	v_fmac_f32_e32 v26, v28, v22
	v_fma_f32 v11, -v11, v24, v25
	v_fma_f32 v18, -v18, v26, v23
	v_div_fmas_f32 v11, v11, v21, v24
	s_mov_b32 vcc_lo, s0
	v_div_fmas_f32 v18, v18, v22, v26
	v_div_fixup_f32 v11, v11, v14, 1.0
	v_bfi_b32 v14, 0x7fffffff, v20, v19
	v_div_fixup_f32 v17, v18, v17, 1.0
	s_waitcnt vmcnt(0)
	v_lshlrev_b32_e32 v18, 16, v9
	v_mul_f32_e32 v9, v11, v14
	v_fmac_f32_e32 v9, v17, v18
                                        ; implicit-def: $vgpr18
	v_cmp_ngt_f32_e64 s0, 0x3f200000, |v9|
	s_and_saveexec_b32 s1, s0
	s_xor_b32 s0, exec_lo, s1
	s_cbranch_execz .LBB12_11
; %bb.10:                               ;   in Loop: Header=BB12_3 Depth=1
	v_add_f32_e64 v18, |v9|, |v9|
	v_mul_f32_e32 v19, 0x3fb8aa3b, v18
	v_cmp_ngt_f32_e32 vcc_lo, 0xc2ce8ed0, v18
	v_rndne_f32_e32 v20, v19
	v_fma_f32 v21, 0x3fb8aa3b, v18, -v19
	v_sub_f32_e32 v19, v19, v20
	v_fmac_f32_e32 v21, 0x32a5705f, v18
	v_cvt_i32_f32_e32 v20, v20
	v_add_f32_e32 v19, v19, v21
	v_exp_f32_e32 v19, v19
	v_ldexp_f32 v19, v19, v20
	v_cndmask_b32_e32 v19, 0, v19, vcc_lo
	v_cmp_nlt_f32_e32 vcc_lo, 0x42b17218, v18
	v_cndmask_b32_e32 v18, 0x7f800000, v19, vcc_lo
	v_add_f32_e32 v18, 1.0, v18
	v_rcp_f32_e32 v18, v18
	v_fma_f32 v18, v18, -2.0, 1.0
.LBB12_11:                              ;   in Loop: Header=BB12_3 Depth=1
	s_andn2_saveexec_b32 s0, s0
	s_cbranch_execz .LBB12_2
; %bb.12:                               ;   in Loop: Header=BB12_3 Depth=1
	v_mul_f32_e32 v18, v9, v9
	v_fmaak_f32 v19, s40, v18, 0x3ca908c9
	v_fmaak_f32 v19, v18, v19, 0xbd5c1c4e
	;; [unrolled: 1-line block ×4, first 2 shown]
	v_mul_f32_e64 v19, |v9|, v19
	v_fma_f32 v18, v18, v19, |v9|
	s_branch .LBB12_2
.LBB12_13:
	s_endpgm
	.section	.rodata,"a",@progbits
	.p2align	6, 0x0
	.amdhsa_kernel _ZN2at6native12_GLOBAL__N_16kernel17lstm_cell_forwardIN3c108BFloat16EfiLi1EEEvNS_4cuda6detail10TensorInfoIT_T1_EESB_SB_SB_SB_SB_SB_SB_SA_SA_
		.amdhsa_group_segment_fixed_size 0
		.amdhsa_private_segment_fixed_size 0
		.amdhsa_kernarg_size 1992
		.amdhsa_user_sgpr_count 6
		.amdhsa_user_sgpr_private_segment_buffer 1
		.amdhsa_user_sgpr_dispatch_ptr 0
		.amdhsa_user_sgpr_queue_ptr 0
		.amdhsa_user_sgpr_kernarg_segment_ptr 1
		.amdhsa_user_sgpr_dispatch_id 0
		.amdhsa_user_sgpr_flat_scratch_init 0
		.amdhsa_user_sgpr_private_segment_size 0
		.amdhsa_wavefront_size32 1
		.amdhsa_uses_dynamic_stack 0
		.amdhsa_system_sgpr_private_segment_wavefront_offset 0
		.amdhsa_system_sgpr_workgroup_id_x 1
		.amdhsa_system_sgpr_workgroup_id_y 0
		.amdhsa_system_sgpr_workgroup_id_z 0
		.amdhsa_system_sgpr_workgroup_info 0
		.amdhsa_system_vgpr_workitem_id 0
		.amdhsa_next_free_vgpr 38
		.amdhsa_next_free_sgpr 41
		.amdhsa_reserve_vcc 1
		.amdhsa_reserve_flat_scratch 0
		.amdhsa_float_round_mode_32 0
		.amdhsa_float_round_mode_16_64 0
		.amdhsa_float_denorm_mode_32 3
		.amdhsa_float_denorm_mode_16_64 3
		.amdhsa_dx10_clamp 1
		.amdhsa_ieee_mode 1
		.amdhsa_fp16_overflow 0
		.amdhsa_workgroup_processor_mode 1
		.amdhsa_memory_ordered 1
		.amdhsa_forward_progress 1
		.amdhsa_shared_vgpr_count 0
		.amdhsa_exception_fp_ieee_invalid_op 0
		.amdhsa_exception_fp_denorm_src 0
		.amdhsa_exception_fp_ieee_div_zero 0
		.amdhsa_exception_fp_ieee_overflow 0
		.amdhsa_exception_fp_ieee_underflow 0
		.amdhsa_exception_fp_ieee_inexact 0
		.amdhsa_exception_int_div_zero 0
	.end_amdhsa_kernel
	.section	.text._ZN2at6native12_GLOBAL__N_16kernel17lstm_cell_forwardIN3c108BFloat16EfiLi1EEEvNS_4cuda6detail10TensorInfoIT_T1_EESB_SB_SB_SB_SB_SB_SB_SA_SA_,"axG",@progbits,_ZN2at6native12_GLOBAL__N_16kernel17lstm_cell_forwardIN3c108BFloat16EfiLi1EEEvNS_4cuda6detail10TensorInfoIT_T1_EESB_SB_SB_SB_SB_SB_SB_SA_SA_,comdat
.Lfunc_end12:
	.size	_ZN2at6native12_GLOBAL__N_16kernel17lstm_cell_forwardIN3c108BFloat16EfiLi1EEEvNS_4cuda6detail10TensorInfoIT_T1_EESB_SB_SB_SB_SB_SB_SB_SA_SA_, .Lfunc_end12-_ZN2at6native12_GLOBAL__N_16kernel17lstm_cell_forwardIN3c108BFloat16EfiLi1EEEvNS_4cuda6detail10TensorInfoIT_T1_EESB_SB_SB_SB_SB_SB_SB_SA_SA_
                                        ; -- End function
	.set _ZN2at6native12_GLOBAL__N_16kernel17lstm_cell_forwardIN3c108BFloat16EfiLi1EEEvNS_4cuda6detail10TensorInfoIT_T1_EESB_SB_SB_SB_SB_SB_SB_SA_SA_.num_vgpr, 38
	.set _ZN2at6native12_GLOBAL__N_16kernel17lstm_cell_forwardIN3c108BFloat16EfiLi1EEEvNS_4cuda6detail10TensorInfoIT_T1_EESB_SB_SB_SB_SB_SB_SB_SA_SA_.num_agpr, 0
	.set _ZN2at6native12_GLOBAL__N_16kernel17lstm_cell_forwardIN3c108BFloat16EfiLi1EEEvNS_4cuda6detail10TensorInfoIT_T1_EESB_SB_SB_SB_SB_SB_SB_SA_SA_.numbered_sgpr, 41
	.set _ZN2at6native12_GLOBAL__N_16kernel17lstm_cell_forwardIN3c108BFloat16EfiLi1EEEvNS_4cuda6detail10TensorInfoIT_T1_EESB_SB_SB_SB_SB_SB_SB_SA_SA_.num_named_barrier, 0
	.set _ZN2at6native12_GLOBAL__N_16kernel17lstm_cell_forwardIN3c108BFloat16EfiLi1EEEvNS_4cuda6detail10TensorInfoIT_T1_EESB_SB_SB_SB_SB_SB_SB_SA_SA_.private_seg_size, 0
	.set _ZN2at6native12_GLOBAL__N_16kernel17lstm_cell_forwardIN3c108BFloat16EfiLi1EEEvNS_4cuda6detail10TensorInfoIT_T1_EESB_SB_SB_SB_SB_SB_SB_SA_SA_.uses_vcc, 1
	.set _ZN2at6native12_GLOBAL__N_16kernel17lstm_cell_forwardIN3c108BFloat16EfiLi1EEEvNS_4cuda6detail10TensorInfoIT_T1_EESB_SB_SB_SB_SB_SB_SB_SA_SA_.uses_flat_scratch, 0
	.set _ZN2at6native12_GLOBAL__N_16kernel17lstm_cell_forwardIN3c108BFloat16EfiLi1EEEvNS_4cuda6detail10TensorInfoIT_T1_EESB_SB_SB_SB_SB_SB_SB_SA_SA_.has_dyn_sized_stack, 0
	.set _ZN2at6native12_GLOBAL__N_16kernel17lstm_cell_forwardIN3c108BFloat16EfiLi1EEEvNS_4cuda6detail10TensorInfoIT_T1_EESB_SB_SB_SB_SB_SB_SB_SA_SA_.has_recursion, 0
	.set _ZN2at6native12_GLOBAL__N_16kernel17lstm_cell_forwardIN3c108BFloat16EfiLi1EEEvNS_4cuda6detail10TensorInfoIT_T1_EESB_SB_SB_SB_SB_SB_SB_SA_SA_.has_indirect_call, 0
	.section	.AMDGPU.csdata,"",@progbits
; Kernel info:
; codeLenInByte = 2940
; TotalNumSgprs: 43
; NumVgprs: 38
; ScratchSize: 0
; MemoryBound: 0
; FloatMode: 240
; IeeeMode: 1
; LDSByteSize: 0 bytes/workgroup (compile time only)
; SGPRBlocks: 0
; VGPRBlocks: 4
; NumSGPRsForWavesPerEU: 43
; NumVGPRsForWavesPerEU: 38
; Occupancy: 16
; WaveLimiterHint : 1
; COMPUTE_PGM_RSRC2:SCRATCH_EN: 0
; COMPUTE_PGM_RSRC2:USER_SGPR: 6
; COMPUTE_PGM_RSRC2:TRAP_HANDLER: 0
; COMPUTE_PGM_RSRC2:TGID_X_EN: 1
; COMPUTE_PGM_RSRC2:TGID_Y_EN: 0
; COMPUTE_PGM_RSRC2:TGID_Z_EN: 0
; COMPUTE_PGM_RSRC2:TIDIG_COMP_CNT: 0
	.section	.text._ZN2at6native12_GLOBAL__N_16kernel17lstm_cell_forwardIN3c108BFloat16EfiLi2EEEvNS_4cuda6detail10TensorInfoIT_T1_EESB_SB_SB_SB_SB_SB_SB_SA_SA_,"axG",@progbits,_ZN2at6native12_GLOBAL__N_16kernel17lstm_cell_forwardIN3c108BFloat16EfiLi2EEEvNS_4cuda6detail10TensorInfoIT_T1_EESB_SB_SB_SB_SB_SB_SB_SA_SA_,comdat
	.globl	_ZN2at6native12_GLOBAL__N_16kernel17lstm_cell_forwardIN3c108BFloat16EfiLi2EEEvNS_4cuda6detail10TensorInfoIT_T1_EESB_SB_SB_SB_SB_SB_SB_SA_SA_ ; -- Begin function _ZN2at6native12_GLOBAL__N_16kernel17lstm_cell_forwardIN3c108BFloat16EfiLi2EEEvNS_4cuda6detail10TensorInfoIT_T1_EESB_SB_SB_SB_SB_SB_SB_SA_SA_
	.p2align	8
	.type	_ZN2at6native12_GLOBAL__N_16kernel17lstm_cell_forwardIN3c108BFloat16EfiLi2EEEvNS_4cuda6detail10TensorInfoIT_T1_EESB_SB_SB_SB_SB_SB_SB_SA_SA_,@function
_ZN2at6native12_GLOBAL__N_16kernel17lstm_cell_forwardIN3c108BFloat16EfiLi2EEEvNS_4cuda6detail10TensorInfoIT_T1_EESB_SB_SB_SB_SB_SB_SB_SA_SA_: ; @_ZN2at6native12_GLOBAL__N_16kernel17lstm_cell_forwardIN3c108BFloat16EfiLi2EEEvNS_4cuda6detail10TensorInfoIT_T1_EESB_SB_SB_SB_SB_SB_SB_SA_SA_
; %bb.0:
	s_clause 0x1
	s_load_dword s2, s[4:5], 0x6d4
	s_load_dwordx2 s[8:9], s[4:5], 0x6c0
	s_add_u32 s0, s4, 0x6c8
	s_addc_u32 s1, s5, 0
	s_mov_b32 s3, exec_lo
	s_waitcnt lgkmcnt(0)
	s_and_b32 s2, s2, 0xffff
	v_mad_u64_u32 v[0:1], null, s6, s2, v[0:1]
	v_cmpx_gt_i32_e64 s9, v0
	s_cbranch_execz .LBB13_13
; %bb.1:
	s_clause 0x7
	s_load_dwordx2 s[6:7], s[4:5], 0x1b0
	s_load_dwordx2 s[10:11], s[4:5], 0x0
	s_load_dword s33, s[4:5], 0xc
	s_load_dwordx2 s[12:13], s[4:5], 0x6c
	s_load_dwordx2 s[14:15], s[4:5], 0xd8
	s_load_dword s38, s[4:5], 0xe4
	s_load_dwordx2 s[16:17], s[4:5], 0x144
	s_load_dword s39, s[4:5], 0x21c
	s_load_dword s45, s[0:1], 0x0
	s_clause 0xd
	s_load_dwordx2 s[18:19], s[4:5], 0x288
	s_load_dword s40, s[4:5], 0x2f4
	s_load_dwordx2 s[20:21], s[4:5], 0x360
	s_load_dword s0, s[4:5], 0x36c
	s_load_dword s1, s[4:5], 0x444
	;; [unrolled: 1-line block ×4, first 2 shown]
	s_load_dwordx2 s[22:23], s[4:5], 0x3cc
	s_load_dwordx2 s[24:25], s[4:5], 0x438
	;; [unrolled: 1-line block ×7, first 2 shown]
	s_mov_b32 s5, 0
	s_mul_i32 s58, s8, 3
	s_waitcnt lgkmcnt(0)
	s_cmp_lg_u64 s[6:7], 0
	s_mov_b32 s63, 0xbbbac73d
	s_cselect_b32 s42, -1, 0
	s_abs_i32 s43, s8
	s_abs_i32 s44, s33
	v_cvt_f32_u32_e32 v1, s43
	v_cvt_f32_u32_e32 v2, s44
	s_abs_i32 s47, s38
	s_mul_i32 s45, s45, s2
	v_cvt_f32_u32_e32 v3, s47
	v_rcp_iflag_f32_e32 v1, v1
	v_rcp_iflag_f32_e32 v2, v2
	s_sub_i32 s2, 0, s43
	s_abs_i32 s49, s0
	s_abs_i32 s48, s41
	v_rcp_iflag_f32_e32 v3, v3
	s_abs_i32 s50, s1
	s_abs_i32 s51, s3
	v_cvt_f32_u32_e32 v4, s48
	v_cvt_f32_u32_e32 v5, s49
	v_mul_f32_e32 v1, 0x4f7ffffe, v1
	v_cvt_f32_u32_e32 v6, s50
	v_cvt_f32_u32_e32 v8, s51
	v_mul_f32_e32 v2, 0x4f7ffffe, v2
	v_rcp_iflag_f32_e32 v4, v4
	v_cvt_u32_f32_e32 v1, v1
	v_rcp_iflag_f32_e32 v5, v5
	v_rcp_iflag_f32_e32 v6, v6
	;; [unrolled: 1-line block ×3, first 2 shown]
	v_cvt_u32_f32_e32 v2, v2
	v_mul_lo_u32 v7, s2, v1
	v_mul_f32_e32 v3, 0x4f7ffffe, v3
	s_sub_i32 s2, 0, s44
	s_sub_i32 s4, 0, s48
	v_mul_lo_u32 v9, s2, v2
	v_mul_f32_e32 v4, 0x4f7ffffe, v4
	v_cvt_u32_f32_e32 v10, v3
	s_sub_i32 s2, 0, s47
	v_mul_hi_u32 v7, v1, v7
	v_mul_f32_e32 v8, 0x4f7ffffe, v8
	v_cvt_u32_f32_e32 v11, v4
	s_ashr_i32 s46, s8, 31
	v_mul_hi_u32 v4, v2, v9
	s_ashr_i32 s52, s33, 31
	v_cvt_u32_f32_e32 v12, v8
	s_ashr_i32 s53, s38, 31
	v_add_nc_u32_e32 v3, v1, v7
	v_mul_f32_e32 v1, 0x4f7ffffe, v5
	v_mul_f32_e32 v5, 0x4f7ffffe, v6
	v_mul_lo_u32 v6, s2, v10
	s_sub_i32 s2, 0, s49
	v_mul_lo_u32 v7, s4, v11
	v_cvt_u32_f32_e32 v1, v1
	v_cvt_u32_f32_e32 v9, v5
	s_sub_i32 s4, 0, s50
	v_add_nc_u32_e32 v4, v2, v4
	s_ashr_i32 s54, s41, 31
	v_mul_lo_u32 v5, s2, v1
	s_sub_i32 s2, 0, s51
	v_mul_lo_u32 v8, s4, v9
	v_mul_hi_u32 v6, v10, v6
	v_mul_lo_u32 v13, s2, v12
	v_mul_hi_u32 v7, v11, v7
	s_ashr_i32 s55, s0, 31
	s_ashr_i32 s56, s1, 31
	v_mul_hi_u32 v2, v1, v5
	s_ashr_i32 s57, s3, 31
	v_mul_hi_u32 v8, v9, v8
	v_add_nc_u32_e32 v5, v10, v6
	v_mul_hi_u32 v10, v12, v13
	v_add_nc_u32_e32 v6, v11, v7
	s_sub_i32 s59, 0, s8
	s_sub_i32 s60, 0, s0
	v_add_nc_u32_e32 v7, v1, v2
	s_sub_i32 s61, 0, s1
	v_add_nc_u32_e32 v8, v9, v8
	;; [unrolled: 2-line block ×3, first 2 shown]
	v_mov_b32_e32 v10, 0x7fc0
	s_branch .LBB13_3
.LBB13_2:                               ;   in Loop: Header=BB13_3 Depth=1
	s_or_b32 exec_lo, exec_lo, s0
	v_lshlrev_b32_e32 v26, 16, v26
	v_lshlrev_b32_e32 v28, 16, v28
	v_mul_hi_u32 v32, v16, v6
	v_mul_hi_u32 v33, v18, v6
	v_xor_b32_e32 v22, s54, v22
	v_mul_hi_u32 v34, v13, v8
	v_add_f32_e32 v26, v26, v28
	v_mul_hi_u32 v28, v15, v6
	v_xor_b32_e32 v20, s54, v20
	v_mul_hi_u32 v35, v13, v9
	v_mul_lo_u32 v39, v32, s48
	v_add_f32_e32 v26, v26, v31
	v_mul_hi_u32 v31, v17, v6
	v_add_nc_u32_e32 v40, 1, v32
	v_mul_lo_u32 v45, v33, s48
	v_mul_lo_u32 v36, v28, s48
	v_add_f32_e32 v26, v29, v26
	v_add_nc_u32_e32 v38, 1, v28
	v_sub_nc_u32_e32 v16, v16, v39
	v_add_nc_u32_e32 v46, 1, v33
	v_mul_lo_u32 v41, v31, s48
	v_mul_f32_e32 v37, 0xbfb8aa3b, v26
	v_cmp_nlt_f32_e64 s2, 0x42ce8ed0, v26
	v_sub_nc_u32_e32 v15, v15, v36
	v_cmp_ngt_f32_e64 s3, 0xc2b17218, v26
	v_cmp_le_u32_e64 s0, s48, v16
	v_fma_f32 v42, 0xbfb8aa3b, v26, -v37
	v_rndne_f32_e32 v43, v37
	v_cmp_le_u32_e32 vcc_lo, s48, v15
	v_subrev_nc_u32_e32 v39, s48, v15
	v_cndmask_b32_e64 v32, v32, v40, s0
	v_fmac_f32_e32 v42, 0xb2a5705f, v26
	v_sub_f32_e32 v37, v37, v43
	v_cndmask_b32_e32 v28, v28, v38, vcc_lo
	v_cvt_i32_f32_e32 v38, v43
	v_subrev_nc_u32_e32 v40, s48, v16
	v_cndmask_b32_e32 v15, v15, v39, vcc_lo
	v_add_f32_e32 v37, v37, v42
	v_add_nc_u32_e32 v39, 1, v28
	v_sub_nc_u32_e32 v17, v17, v41
	v_cndmask_b32_e64 v16, v16, v40, s0
	v_cmp_le_u32_e32 vcc_lo, s48, v15
	v_exp_f32_e32 v36, v37
	v_add_nc_u32_e32 v43, 1, v32
	v_add_nc_u32_e32 v44, 1, v31
	v_sub_nc_u32_e32 v18, v18, v45
	v_cndmask_b32_e32 v15, v28, v39, vcc_lo
	v_cmp_le_u32_e32 vcc_lo, s48, v16
	v_cmp_le_u32_e64 s1, s48, v17
	v_mul_lo_u32 v47, v34, s50
	v_subrev_nc_u32_e32 v41, s48, v18
	v_xor_b32_e32 v15, v15, v22
	v_ldexp_f32 v36, v36, v38
	v_subrev_nc_u32_e32 v38, s48, v17
	v_cndmask_b32_e32 v16, v32, v43, vcc_lo
	v_cndmask_b32_e64 v31, v31, v44, s1
	v_sub_nc_u32_e32 v15, v15, v22
	v_cndmask_b32_e64 v36, 0, v36, s2
	v_cmp_le_u32_e64 s2, s48, v18
	v_cndmask_b32_e64 v17, v17, v38, s1
	v_xor_b32_e32 v16, v16, v20
	v_add_nc_u32_e32 v32, 1, v31
	v_cndmask_b32_e64 v26, 0x7f800000, v36, s3
	v_cndmask_b32_e64 v33, v33, v46, s2
	;; [unrolled: 1-line block ×3, first 2 shown]
	v_cmp_le_u32_e64 s0, s48, v17
	v_sub_nc_u32_e32 v20, v16, v20
	v_add_f32_e32 v26, 1.0, v26
	v_mul_lo_u32 v22, v15, s41
	v_sub_nc_u32_e32 v37, v13, v47
	v_mul_lo_u32 v49, v35, s51
	v_add_nc_u32_e32 v38, 1, v33
	v_div_scale_f32 v40, null, v26, v26, 1.0
	v_div_scale_f32 v16, vcc_lo, 1.0, v26, 1.0
	v_cndmask_b32_e64 v17, v31, v32, s0
	v_rcp_f32_e32 v28, v40
	v_cmp_le_u32_e64 s0, s48, v18
	v_mul_lo_u32 v31, v20, s41
	v_add_nc_u32_e32 v48, 1, v34
	v_cmp_le_u32_e64 s3, s50, v37
	v_subrev_nc_u32_e32 v36, s50, v37
	v_xor_b32_e32 v21, s54, v21
	v_xor_b32_e32 v19, s54, v19
	v_cndmask_b32_e64 v18, v33, v38, s0
	v_sub_nc_u32_e32 v12, v12, v22
	v_fma_f32 v39, -v40, v28, 1.0
	v_sub_nc_u32_e32 v13, v13, v49
	v_cndmask_b32_e64 v34, v34, v48, s3
	v_cndmask_b32_e64 v36, v37, v36, s3
	v_xor_b32_e32 v17, v17, v21
	v_fmac_f32_e32 v28, v39, v28
	v_xor_b32_e32 v18, v18, v19
	v_sub_nc_u32_e32 v1, v1, v31
	v_add_nc_u32_e32 v12, v0, v12
	v_add_nc_u32_e32 v50, 1, v35
	v_mul_f32_e32 v32, v16, v28
	v_cmp_le_u32_e64 s4, s51, v13
	v_subrev_nc_u32_e32 v42, s51, v13
	v_add_nc_u32_e32 v37, 1, v34
	v_cmp_le_u32_e64 s0, s50, v36
	v_fma_f32 v22, -v40, v32, v16
	v_sub_nc_u32_e32 v17, v17, v21
	v_sub_nc_u32_e32 v21, v18, v19
	v_add_nc_u32_e32 v18, v0, v1
	v_mul_lo_u32 v1, v12, s37
	v_fmac_f32_e32 v32, v22, v28
	v_xor_b32_e32 v29, s56, v11
	v_cndmask_b32_e64 v33, v34, v37, s0
	v_cndmask_b32_e64 v22, v35, v50, s4
	;; [unrolled: 1-line block ×3, first 2 shown]
	v_fma_f32 v12, -v40, v32, v16
	v_mul_lo_u32 v31, v17, s41
	v_xor_b32_e32 v19, v33, v29
	v_mad_u64_u32 v[15:16], null, v15, s36, v[1:2]
	v_div_fmas_f32 v28, v12, v28, v32
	v_add_nc_u32_e32 v1, 1, v22
	v_cmp_le_u32_e32 vcc_lo, s51, v13
	v_sub_nc_u32_e32 v19, v19, v29
	v_mul_lo_u32 v12, v18, s37
	v_mul_lo_u32 v18, v21, s41
	v_xor_b32_e32 v11, s57, v11
	v_cndmask_b32_e32 v1, v22, v1, vcc_lo
	v_sub_nc_u32_e32 v22, v14, v31
	v_div_fixup_f32 v26, v28, v26, 1.0
	v_ashrrev_i32_e32 v16, 31, v15
	v_mad_u64_u32 v[13:14], null, s61, v19, v[0:1]
	v_xor_b32_e32 v14, v1, v11
	v_sub_nc_u32_e32 v18, v2, v18
	v_add_nc_u32_e32 v22, v0, v22
	v_sub_nc_u32_e32 v28, v14, v11
	v_mad_u64_u32 v[1:2], null, v20, s36, v[12:13]
	v_mul_lo_u32 v11, v22, s37
	v_mul_lo_u32 v12, v13, s27
	v_add_nc_u32_e32 v18, v0, v18
	v_bfi_b32 v22, 0x7fffffff, v30, v27
	v_mad_u64_u32 v[13:14], null, s62, v28, v[0:1]
	v_lshlrev_b64 v[14:15], 1, v[15:16]
	v_mad_u64_u32 v[16:17], null, v17, s36, v[11:12]
	v_mul_lo_u32 v11, v18, s37
	v_ashrrev_i32_e32 v2, 31, v1
	v_add_nc_u32_e32 v0, s45, v0
	v_mad_u64_u32 v[18:19], null, v19, s26, v[12:13]
	v_mul_lo_u32 v12, v13, s31
	v_add_co_u32 v13, vcc_lo, s34, v14
	v_ashrrev_i32_e32 v17, 31, v16
	v_lshlrev_b64 v[1:2], 1, v[1:2]
	v_add_co_ci_u32_e64 v14, null, s35, v15, vcc_lo
	v_ashrrev_i32_e32 v19, 31, v18
	v_mad_u64_u32 v[20:21], null, v21, s36, v[11:12]
	v_mad_u64_u32 v[11:12], null, v28, s30, v[12:13]
	v_lshlrev_b64 v[15:16], 1, v[16:17]
	v_lshlrev_b64 v[17:18], 1, v[18:19]
	v_add_co_u32 v1, vcc_lo, s34, v1
	v_ashrrev_i32_e32 v21, 31, v20
	v_add_co_ci_u32_e64 v2, null, s35, v2, vcc_lo
	v_ashrrev_i32_e32 v12, 31, v11
	v_add_co_u32 v15, vcc_lo, s34, v15
	v_lshlrev_b64 v[19:20], 1, v[20:21]
	v_mul_f32_e32 v21, v26, v22
	v_lshlrev_b64 v[11:12], 1, v[11:12]
	v_bfe_u32 v28, v27, 16, 1
	v_add_co_ci_u32_e64 v16, null, s35, v16, vcc_lo
	v_bfe_u32 v22, v21, 16, 1
	v_add_co_u32 v17, vcc_lo, s24, v17
	v_add_co_u32 v11, s0, s28, v11
	v_add_co_ci_u32_e64 v18, null, s25, v18, vcc_lo
	v_cmp_o_f32_e32 vcc_lo, v21, v21
	v_add_co_ci_u32_e64 v12, null, s29, v12, s0
	v_add3_u32 v21, v21, v22, 0x7fff
	v_cmp_o_f32_e64 s0, v27, v27
	v_add3_u32 v22, v27, v28, 0x7fff
	v_bfe_u32 v27, v25, 16, 1
	v_cmp_le_i32_e64 s1, s9, v0
	v_cndmask_b32_sdwa v21, v10, v21, vcc_lo dst_sel:DWORD dst_unused:UNUSED_PAD src0_sel:DWORD src1_sel:WORD_1
	s_mov_b32 vcc_lo, s0
	v_cmp_o_f32_e64 s0, v24, v24
	v_cndmask_b32_sdwa v22, v10, v22, vcc_lo dst_sel:DWORD dst_unused:UNUSED_PAD src0_sel:DWORD src1_sel:WORD_1
	v_add_co_u32 v19, vcc_lo, s34, v19
	global_store_short v[17:18], v21, off
	v_add_co_ci_u32_e64 v20, null, s35, v20, vcc_lo
	global_store_short v[11:12], v22, off
	v_bfe_u32 v12, v24, 16, 1
	v_cmp_o_f32_e32 vcc_lo, v25, v25
	v_add3_u32 v11, v25, v27, 0x7fff
	v_bfe_u32 v17, v23, 16, 1
	v_bfe_u32 v18, v26, 16, 1
	v_add3_u32 v12, v24, v12, 0x7fff
	s_or_b32 s5, s1, s5
	v_cndmask_b32_sdwa v11, v10, v11, vcc_lo dst_sel:DWORD dst_unused:UNUSED_PAD src0_sel:DWORD src1_sel:WORD_1
	s_mov_b32 vcc_lo, s0
	v_add3_u32 v17, v23, v17, 0x7fff
	v_cndmask_b32_sdwa v12, v10, v12, vcc_lo dst_sel:DWORD dst_unused:UNUSED_PAD src0_sel:DWORD src1_sel:WORD_1
	v_cmp_o_f32_e32 vcc_lo, v23, v23
	v_cmp_o_f32_e64 s0, v26, v26
	v_add3_u32 v18, v26, v18, 0x7fff
	global_store_short v[13:14], v11, off
	global_store_short v[1:2], v12, off
	v_cndmask_b32_sdwa v17, v10, v17, vcc_lo dst_sel:DWORD dst_unused:UNUSED_PAD src0_sel:DWORD src1_sel:WORD_1
	s_mov_b32 vcc_lo, s0
	v_cndmask_b32_sdwa v18, v10, v18, vcc_lo dst_sel:DWORD dst_unused:UNUSED_PAD src0_sel:DWORD src1_sel:WORD_1
	global_store_short v[15:16], v17, off
	global_store_short v[19:20], v18, off
	s_andn2_b32 exec_lo, exec_lo, s5
	s_cbranch_execz .LBB13_13
.LBB13_3:                               ; =>This Inner Loop Header: Depth=1
	v_sub_nc_u32_e32 v1, 0, v0
	v_max_i32_e32 v13, v0, v1
	v_mul_hi_u32 v1, v13, v3
	v_mul_lo_u32 v2, v1, s43
	v_add_nc_u32_e32 v11, 1, v1
	v_sub_nc_u32_e32 v2, v13, v2
	v_subrev_nc_u32_e32 v12, s43, v2
	v_cmp_le_u32_e32 vcc_lo, s43, v2
	v_cndmask_b32_e32 v1, v1, v11, vcc_lo
	v_cndmask_b32_e32 v2, v2, v12, vcc_lo
	v_ashrrev_i32_e32 v11, 31, v0
	v_add_nc_u32_e32 v12, 1, v1
	v_cmp_le_u32_e32 vcc_lo, s43, v2
	v_xor_b32_e32 v23, s46, v11
	v_cndmask_b32_e32 v1, v1, v12, vcc_lo
	v_xor_b32_e32 v24, v1, v23
	v_mul_i32_i24_e32 v1, 3, v23
	v_sub_nc_u32_e32 v25, v24, v23
	v_lshl_add_u32 v2, v24, 1, v24
	v_mul_lo_u32 v12, s58, v25
	v_sub_nc_u32_e32 v14, v2, v1
	v_mad_u64_u32 v[1:2], null, s8, v14, s[8:9]
	v_add_nc_u32_e32 v15, v0, v12
	v_add_nc_u32_e32 v2, 2, v14
	;; [unrolled: 1-line block ×3, first 2 shown]
	v_ashrrev_i32_e32 v22, 31, v15
	v_mul_lo_u32 v14, s8, v2
	v_mul_lo_u32 v2, s8, v16
	v_add_nc_u32_e32 v15, v0, v1
	v_add3_u32 v16, v22, v12, v0
	v_xor_b32_e32 v26, s52, v22
	v_xor_b32_e32 v28, s53, v22
	v_ashrrev_i32_e32 v20, 31, v15
	v_add_nc_u32_e32 v17, v0, v14
	v_xor_b32_e32 v15, v16, v22
	v_add_nc_u32_e32 v18, v0, v2
	v_add3_u32 v16, v20, v1, v0
	v_ashrrev_i32_e32 v21, 31, v17
	v_mul_hi_u32 v29, v15, v4
	v_mul_hi_u32 v32, v15, v5
	v_ashrrev_i32_e32 v19, 31, v18
	v_xor_b32_e32 v16, v16, v20
	v_add3_u32 v17, v21, v14, v0
	v_xor_b32_e32 v27, s52, v20
	v_xor_b32_e32 v30, s52, v21
	v_add3_u32 v18, v19, v2, v0
	v_mul_lo_u32 v35, v29, s44
	v_mul_hi_u32 v33, v16, v4
	v_mul_lo_u32 v39, v32, s47
	v_xor_b32_e32 v17, v17, v21
	v_add_nc_u32_e32 v38, 1, v29
	v_xor_b32_e32 v18, v18, v19
	v_add_nc_u32_e32 v40, 1, v32
	v_mul_hi_u32 v34, v16, v5
	v_sub_nc_u32_e32 v35, v15, v35
	v_mul_lo_u32 v45, v33, s44
	v_sub_nc_u32_e32 v39, v15, v39
	v_mul_hi_u32 v41, v17, v4
	v_mul_hi_u32 v42, v18, v4
	v_cmp_le_u32_e32 vcc_lo, s44, v35
	v_add_nc_u32_e32 v46, 1, v33
	v_cmp_le_u32_e64 s0, s47, v39
	v_mul_hi_u32 v43, v17, v5
	v_sub_nc_u32_e32 v45, v16, v45
	v_cndmask_b32_e32 v29, v29, v38, vcc_lo
	v_subrev_nc_u32_e32 v38, s44, v35
	v_cndmask_b32_e64 v32, v32, v40, s0
	v_subrev_nc_u32_e32 v40, s47, v39
	v_mul_lo_u32 v49, v41, s44
	v_mul_lo_u32 v51, v42, s44
	v_cndmask_b32_e32 v35, v35, v38, vcc_lo
	v_cmp_le_u32_e32 vcc_lo, s44, v45
	v_cndmask_b32_e64 v39, v39, v40, s0
	v_add_nc_u32_e32 v38, 1, v29
	v_add_nc_u32_e32 v40, 1, v32
	v_cmp_le_u32_e64 s1, s44, v35
	v_cndmask_b32_e32 v33, v33, v46, vcc_lo
	v_subrev_nc_u32_e32 v46, s44, v45
	v_sub_nc_u32_e32 v49, v17, v49
	v_cmp_le_u32_e64 s2, s47, v39
	v_add_nc_u32_e32 v50, 1, v41
	v_sub_nc_u32_e32 v51, v18, v51
	v_cndmask_b32_e32 v35, v45, v46, vcc_lo
	v_cndmask_b32_e64 v29, v29, v38, s1
	v_add_nc_u32_e32 v38, 1, v33
	v_cmp_le_u32_e32 vcc_lo, s44, v49
	v_subrev_nc_u32_e32 v45, s44, v49
	v_cndmask_b32_e64 v32, v32, v40, s2
	v_cmp_le_u32_e64 s2, s44, v35
	v_add_nc_u32_e32 v52, 1, v42
	v_cndmask_b32_e32 v41, v41, v50, vcc_lo
	v_cmp_le_u32_e64 s1, s44, v51
	v_subrev_nc_u32_e32 v46, s44, v51
	v_xor_b32_e32 v29, v29, v26
	v_cndmask_b32_e64 v33, v33, v38, s2
	v_cndmask_b32_e32 v35, v49, v45, vcc_lo
	v_mul_lo_u32 v47, v34, s47
	v_cndmask_b32_e64 v42, v42, v52, s1
	v_add_nc_u32_e32 v38, 1, v41
	v_cndmask_b32_e64 v39, v51, v46, s1
	v_sub_nc_u32_e32 v29, v29, v26
	v_xor_b32_e32 v26, v33, v27
	v_cmp_le_u32_e32 vcc_lo, s44, v35
	v_add_nc_u32_e32 v40, 1, v42
	v_mul_lo_u32 v53, v43, s47
	v_sub_nc_u32_e32 v47, v16, v47
	v_xor_b32_e32 v31, s52, v19
	v_cndmask_b32_e32 v33, v41, v38, vcc_lo
	v_cmp_le_u32_e32 vcc_lo, s44, v39
	v_sub_nc_u32_e32 v39, v26, v27
	v_mul_lo_u32 v38, v29, s33
	v_add_nc_u32_e32 v48, 1, v34
	v_cmp_le_u32_e64 s0, s47, v47
	v_cndmask_b32_e32 v35, v42, v40, vcc_lo
	v_mul_lo_u32 v40, v39, s33
	v_xor_b32_e32 v26, v33, v30
	v_sub_nc_u32_e32 v53, v17, v53
	v_cndmask_b32_e64 v34, v34, v48, s0
	v_xor_b32_e32 v35, v35, v31
	v_subrev_nc_u32_e32 v48, s47, v47
	v_sub_nc_u32_e32 v41, v26, v30
	v_sub_nc_u32_e32 v26, v12, v38
	v_sub_nc_u32_e32 v40, v1, v40
	v_add_nc_u32_e32 v54, 1, v43
	v_cmp_le_u32_e32 vcc_lo, s47, v53
	v_sub_nc_u32_e32 v35, v35, v31
	v_cndmask_b32_e64 v27, v47, v48, s0
	v_add_nc_u32_e32 v26, v0, v26
	v_add_nc_u32_e32 v40, v0, v40
	v_cndmask_b32_e32 v38, v43, v54, vcc_lo
	v_mul_lo_u32 v31, v41, s33
	v_mul_lo_u32 v43, v35, s33
	;; [unrolled: 1-line block ×3, first 2 shown]
	v_cmp_le_u32_e64 s0, s47, v27
	v_mul_lo_u32 v27, v40, s13
	v_subrev_nc_u32_e32 v30, s47, v53
	v_xor_b32_e32 v32, v32, v28
	v_add_nc_u32_e32 v33, 1, v34
	v_sub_nc_u32_e32 v31, v14, v31
	v_mul_hi_u32 v44, v18, v5
	v_cndmask_b32_e32 v45, v53, v30, vcc_lo
	v_sub_nc_u32_e32 v30, v2, v43
	v_sub_nc_u32_e32 v40, v32, v28
	v_mad_u64_u32 v[28:29], null, v29, s12, v[26:27]
	v_add_nc_u32_e32 v31, v0, v31
	v_add_nc_u32_e32 v29, v0, v30
	v_cndmask_b32_e64 v34, v34, v33, s0
	v_mul_lo_u32 v55, v44, s47
	v_xor_b32_e32 v36, s53, v20
	v_mul_lo_u32 v26, v31, s13
	v_mad_u64_u32 v[30:31], null, v39, s12, v[27:28]
	v_mul_lo_u32 v27, v29, s13
	v_ashrrev_i32_e32 v29, 31, v28
	v_add_nc_u32_e32 v56, 1, v44
	v_sub_nc_u32_e32 v55, v18, v55
	v_add_nc_u32_e32 v43, 1, v38
	v_cmp_le_u32_e64 s0, s47, v45
	v_ashrrev_i32_e32 v31, 31, v30
	v_lshlrev_b64 v[28:29], 1, v[28:29]
	v_mad_u64_u32 v[32:33], null, v41, s12, v[26:27]
	v_xor_b32_e32 v41, v34, v36
	v_lshlrev_b64 v[30:31], 1, v[30:31]
	v_subrev_nc_u32_e32 v42, s47, v55
	v_mad_u64_u32 v[26:27], null, v35, s12, v[27:28]
	v_add_co_u32 v28, vcc_lo, s10, v28
	v_ashrrev_i32_e32 v33, 31, v32
	v_add_co_ci_u32_e64 v29, null, s11, v29, vcc_lo
	v_add_co_u32 v30, vcc_lo, s10, v30
	v_lshlrev_b64 v[32:33], 1, v[32:33]
	v_add_co_ci_u32_e64 v31, null, s11, v31, vcc_lo
	v_mul_lo_u32 v39, v40, s38
	v_xor_b32_e32 v37, s53, v21
	v_add_co_u32 v34, vcc_lo, s10, v32
	v_add_co_ci_u32_e64 v35, null, s11, v33, vcc_lo
	v_cmp_le_u32_e32 vcc_lo, s47, v55
	v_cndmask_b32_e64 v32, v38, v43, s0
	v_sub_nc_u32_e32 v38, v41, v36
	v_mul_hi_u32 v41, v13, v7
	v_xor_b32_e32 v43, s53, v19
	v_cndmask_b32_e32 v27, v44, v56, vcc_lo
	v_cndmask_b32_e32 v33, v55, v42, vcc_lo
	v_sub_nc_u32_e32 v39, v12, v39
	v_xor_b32_e32 v32, v32, v37
	v_mul_lo_u32 v42, v38, s38
	v_add_nc_u32_e32 v36, 1, v27
	v_cmp_le_u32_e32 vcc_lo, s47, v33
	v_sub_nc_u32_e32 v44, v32, v37
	v_add_nc_u32_e32 v32, v0, v39
	v_cndmask_b32_e32 v33, v27, v36, vcc_lo
	v_mul_lo_u32 v36, v41, s49
	v_mul_lo_u32 v37, v44, s38
	v_mul_lo_u32 v32, v32, s17
	v_sub_nc_u32_e32 v39, v1, v42
	v_xor_b32_e32 v33, v33, v43
	v_ashrrev_i32_e32 v27, 31, v26
	v_add_nc_u32_e32 v39, v0, v39
	v_sub_nc_u32_e32 v45, v33, v43
	v_sub_nc_u32_e32 v33, v13, v36
	v_add_nc_u32_e32 v36, 1, v41
	v_sub_nc_u32_e32 v42, v14, v37
	v_lshlrev_b64 v[26:27], 1, v[26:27]
	v_mul_lo_u32 v43, v45, s38
	v_subrev_nc_u32_e32 v46, s49, v33
	v_cmp_le_u32_e32 vcc_lo, s49, v33
	v_cndmask_b32_e32 v41, v41, v36, vcc_lo
	v_mad_u64_u32 v[36:37], null, v40, s16, v[32:33]
	v_cndmask_b32_e32 v33, v33, v46, vcc_lo
	v_mul_lo_u32 v32, v39, s17
	v_add_nc_u32_e32 v37, 1, v41
	v_add_nc_u32_e32 v39, v0, v42
	v_xor_b32_e32 v42, s55, v11
	v_cmp_le_u32_e32 vcc_lo, s49, v33
	v_sub_nc_u32_e32 v40, v2, v43
	v_mul_lo_u32 v33, v39, s17
	v_cndmask_b32_e32 v37, v41, v37, vcc_lo
	v_add_co_u32 v26, vcc_lo, s10, v26
	v_add_co_ci_u32_e64 v27, null, s11, v27, vcc_lo
	v_xor_b32_e32 v41, v37, v42
	v_add_nc_u32_e32 v43, v0, v40
	v_mad_u64_u32 v[38:39], null, v38, s16, v[32:33]
	v_ashrrev_i32_e32 v37, 31, v36
	v_sub_nc_u32_e32 v46, v41, v42
	v_mad_u64_u32 v[40:41], null, v44, s16, v[33:34]
	s_clause 0x3
	global_load_ushort v33, v[28:29], off
	global_load_ushort v30, v[30:31], off
	;; [unrolled: 1-line block ×4, first 2 shown]
	v_mul_lo_u32 v32, v43, s17
	v_mad_u64_u32 v[42:43], null, s60, v46, v[0:1]
	v_ashrrev_i32_e32 v39, 31, v38
	v_lshlrev_b64 v[27:28], 1, v[36:37]
	v_ashrrev_i32_e32 v41, 31, v40
	v_lshlrev_b64 v[36:37], 1, v[38:39]
	v_mul_lo_u32 v29, v42, s23
	v_lshlrev_b64 v[40:41], 1, v[40:41]
	v_add_co_u32 v27, vcc_lo, s14, v27
	v_add_co_ci_u32_e64 v28, null, s15, v28, vcc_lo
	v_add_co_u32 v36, vcc_lo, s14, v36
	v_add_co_ci_u32_e64 v37, null, s15, v37, vcc_lo
	;; [unrolled: 2-line block ×3, first 2 shown]
	s_waitcnt vmcnt(3)
	v_mad_u64_u32 v[31:32], null, v45, s16, v[32:33]
	s_waitcnt vmcnt(2)
	v_mad_u64_u32 v[38:39], null, v46, s22, v[29:30]
	v_mov_b32_e32 v29, 0
	v_ashrrev_i32_e32 v32, 31, v31
	v_ashrrev_i32_e32 v39, 31, v38
	v_lshlrev_b64 v[31:32], 1, v[31:32]
	v_lshlrev_b64 v[38:39], 1, v[38:39]
	v_add_co_u32 v42, vcc_lo, s14, v31
	v_add_co_ci_u32_e64 v43, null, s15, v32, vcc_lo
	v_add_co_u32 v38, vcc_lo, s20, v38
	v_add_co_ci_u32_e64 v39, null, s21, v39, vcc_lo
	s_clause 0x3
	global_load_ushort v34, v[27:28], off
	global_load_ushort v32, v[36:37], off
	;; [unrolled: 1-line block ×5, first 2 shown]
	v_mov_b32_e32 v41, 0
	v_mov_b32_e32 v37, 0
	;; [unrolled: 1-line block ×7, first 2 shown]
	s_andn2_b32 vcc_lo, exec_lo, s42
	s_cbranch_vccnz .LBB13_5
; %bb.4:                                ;   in Loop: Header=BB13_3 Depth=1
	v_sub_nc_u32_e32 v29, v23, v24
	v_mad_u64_u32 v[23:24], null, s59, v25, v[0:1]
	v_mul_lo_u32 v25, s8, v29
	v_add_nc_u32_e32 v31, 2, v29
	v_add_nc_u32_e32 v29, 3, v29
	v_mul_lo_u32 v24, v23, s39
	v_mad_u64_u32 v[37:38], null, s8, v31, v[0:1]
	v_add3_u32 v31, v25, s8, v0
	v_mad_u64_u32 v[38:39], null, s8, v29, v[0:1]
	v_mul_lo_u32 v39, v23, s40
	v_ashrrev_i32_e32 v25, 31, v24
	v_mul_lo_u32 v41, v31, s39
	v_mul_lo_u32 v23, v37, s39
	;; [unrolled: 1-line block ×5, first 2 shown]
	v_lshlrev_b64 v[45:46], 1, v[24:25]
	v_mul_lo_u32 v49, v38, s40
	v_ashrrev_i32_e32 v40, 31, v39
	v_ashrrev_i32_e32 v42, 31, v41
	;; [unrolled: 1-line block ×4, first 2 shown]
	v_add_co_u32 v45, vcc_lo, s6, v45
	v_ashrrev_i32_e32 v44, 31, v43
	v_lshlrev_b64 v[41:42], 1, v[41:42]
	v_lshlrev_b64 v[23:24], 1, v[23:24]
	v_ashrrev_i32_e32 v38, 31, v37
	v_add_co_ci_u32_e64 v46, null, s7, v46, vcc_lo
	v_lshlrev_b64 v[43:44], 1, v[43:44]
	v_add_co_u32 v41, vcc_lo, s6, v41
	v_lshlrev_b64 v[39:40], 1, v[39:40]
	v_ashrrev_i32_e32 v50, 31, v49
	v_add_co_ci_u32_e64 v42, null, s7, v42, vcc_lo
	v_add_co_u32 v23, vcc_lo, s6, v23
	v_lshlrev_b64 v[47:48], 1, v[47:48]
	v_add_co_ci_u32_e64 v24, null, s7, v24, vcc_lo
	v_add_co_u32 v43, vcc_lo, s6, v43
	v_lshlrev_b64 v[37:38], 1, v[37:38]
	;; [unrolled: 3-line block ×3, first 2 shown]
	v_add_co_ci_u32_e64 v40, null, s19, v40, vcc_lo
	v_add_co_u32 v47, vcc_lo, s18, v47
	v_add_co_ci_u32_e64 v48, null, s19, v48, vcc_lo
	v_add_co_u32 v37, vcc_lo, s18, v37
	;; [unrolled: 2-line block ×3, first 2 shown]
	v_add_co_ci_u32_e64 v50, null, s19, v50, vcc_lo
	global_load_ushort v25, v[45:46], off
	global_load_ushort v29, v[39:40], off
	;; [unrolled: 1-line block ×4, first 2 shown]
	s_clause 0x1
	global_load_ushort v23, v[23:24], off
	global_load_ushort v24, v[43:44], off
	s_clause 0x1
	global_load_ushort v43, v[37:38], off
	global_load_ushort v44, v[49:50], off
	s_waitcnt vmcnt(7)
	v_lshlrev_b32_e32 v40, 16, v25
	s_waitcnt vmcnt(6)
	v_lshlrev_b32_e32 v38, 16, v29
	;; [unrolled: 2-line block ×8, first 2 shown]
.LBB13_5:                               ;   in Loop: Header=BB13_3 Depth=1
	s_waitcnt vmcnt(6)
	v_lshlrev_b32_e32 v23, 16, v35
	s_waitcnt vmcnt(2)
	v_lshlrev_b32_e32 v24, 16, v36
	v_add_f32_e32 v23, v23, v24
                                        ; implicit-def: $vgpr24
	v_add_f32_e32 v23, v23, v42
	v_add_f32_e32 v23, v41, v23
	v_cmp_ngt_f32_e64 s0, 0x3f200000, |v23|
	s_and_saveexec_b32 s1, s0
	s_xor_b32 s0, exec_lo, s1
	s_cbranch_execz .LBB13_7
; %bb.6:                                ;   in Loop: Header=BB13_3 Depth=1
	v_add_f32_e64 v24, |v23|, |v23|
	v_mul_f32_e32 v25, 0x3fb8aa3b, v24
	v_cmp_ngt_f32_e32 vcc_lo, 0xc2ce8ed0, v24
	v_rndne_f32_e32 v35, v25
	v_fma_f32 v36, 0x3fb8aa3b, v24, -v25
	v_sub_f32_e32 v25, v25, v35
	v_fmac_f32_e32 v36, 0x32a5705f, v24
	v_cvt_i32_f32_e32 v35, v35
	v_add_f32_e32 v25, v25, v36
	v_exp_f32_e32 v25, v25
	v_ldexp_f32 v25, v25, v35
	v_cndmask_b32_e32 v25, 0, v25, vcc_lo
	v_cmp_nlt_f32_e32 vcc_lo, 0x42b17218, v24
	v_cndmask_b32_e32 v24, 0x7f800000, v25, vcc_lo
	v_add_f32_e32 v24, 1.0, v24
	v_rcp_f32_e32 v24, v24
	v_fma_f32 v24, v24, -2.0, 1.0
.LBB13_7:                               ;   in Loop: Header=BB13_3 Depth=1
	s_andn2_saveexec_b32 s0, s0
	s_cbranch_execz .LBB13_9
; %bb.8:                                ;   in Loop: Header=BB13_3 Depth=1
	v_mul_f32_e32 v24, v23, v23
	v_fmaak_f32 v25, s63, v24, 0x3ca908c9
	v_fmaak_f32 v25, v24, v25, 0xbd5c1c4e
	;; [unrolled: 1-line block ×4, first 2 shown]
	v_mul_f32_e64 v25, |v23|, v25
	v_fma_f32 v24, v24, v25, |v23|
.LBB13_9:                               ;   in Loop: Header=BB13_3 Depth=1
	s_or_b32 exec_lo, exec_lo, s0
	v_lshlrev_b32_e32 v25, 16, v33
	v_lshlrev_b32_e32 v33, 16, v34
	;; [unrolled: 1-line block ×4, first 2 shown]
	v_bfi_b32 v23, 0x7fffffff, v24, v23
	v_add_f32_e32 v25, v25, v33
	v_add_f32_e32 v30, v30, v32
	;; [unrolled: 1-line block ×6, first 2 shown]
	v_mul_f32_e32 v32, 0xbfb8aa3b, v25
	v_cmp_nlt_f32_e32 vcc_lo, 0x42ce8ed0, v25
	v_mul_f32_e32 v33, 0xbfb8aa3b, v30
	v_fma_f32 v34, 0xbfb8aa3b, v25, -v32
	v_rndne_f32_e32 v35, v32
	v_fma_f32 v36, 0xbfb8aa3b, v30, -v33
	v_rndne_f32_e32 v37, v33
	v_fmac_f32_e32 v34, 0xb2a5705f, v25
	v_sub_f32_e32 v32, v32, v35
	v_fmac_f32_e32 v36, 0xb2a5705f, v30
	v_sub_f32_e32 v33, v33, v37
	v_add_f32_e32 v32, v32, v34
	v_cvt_i32_f32_e32 v34, v35
	v_add_f32_e32 v33, v33, v36
	v_cvt_i32_f32_e32 v35, v37
	v_exp_f32_e32 v32, v32
	v_exp_f32_e32 v33, v33
	v_ldexp_f32 v32, v32, v34
	v_ldexp_f32 v33, v33, v35
	v_cndmask_b32_e32 v32, 0, v32, vcc_lo
	v_cmp_nlt_f32_e32 vcc_lo, 0x42ce8ed0, v30
	v_cndmask_b32_e32 v33, 0, v33, vcc_lo
	v_cmp_ngt_f32_e32 vcc_lo, 0xc2b17218, v25
	v_cndmask_b32_e32 v25, 0x7f800000, v32, vcc_lo
	v_cmp_ngt_f32_e32 vcc_lo, 0xc2b17218, v30
	v_add_f32_e32 v25, 1.0, v25
	v_cndmask_b32_e32 v30, 0x7f800000, v33, vcc_lo
	v_div_scale_f32 v32, null, v25, v25, 1.0
	v_add_f32_e32 v30, 1.0, v30
	v_div_scale_f32 v38, vcc_lo, 1.0, v25, 1.0
	v_rcp_f32_e32 v34, v32
	v_div_scale_f32 v33, null, v30, v30, 1.0
	v_rcp_f32_e32 v35, v33
	v_fma_f32 v36, -v32, v34, 1.0
	v_fmac_f32_e32 v34, v36, v34
	v_div_scale_f32 v36, s0, 1.0, v30, 1.0
	v_fma_f32 v37, -v33, v35, 1.0
	v_fmac_f32_e32 v35, v37, v35
	v_mul_f32_e32 v37, v38, v34
	v_mul_f32_e32 v39, v36, v35
	v_fma_f32 v40, -v32, v37, v38
	v_fma_f32 v41, -v33, v39, v36
	v_fmac_f32_e32 v37, v40, v34
	v_fmac_f32_e32 v39, v41, v35
	v_fma_f32 v32, -v32, v37, v38
	v_fma_f32 v33, -v33, v39, v36
	v_div_fmas_f32 v32, v32, v34, v37
	s_mov_b32 vcc_lo, s0
	v_div_fmas_f32 v33, v33, v35, v39
	v_div_fixup_f32 v25, v32, v25, 1.0
	v_div_fixup_f32 v24, v33, v30, 1.0
	s_waitcnt vmcnt(0)
	v_lshlrev_b32_e32 v30, 16, v27
	v_mul_f32_e32 v27, v25, v23
	v_fmac_f32_e32 v27, v24, v30
                                        ; implicit-def: $vgpr30
	v_cmp_ngt_f32_e64 s0, 0x3f200000, |v27|
	s_and_saveexec_b32 s1, s0
	s_xor_b32 s0, exec_lo, s1
	s_cbranch_execz .LBB13_11
; %bb.10:                               ;   in Loop: Header=BB13_3 Depth=1
	v_add_f32_e64 v30, |v27|, |v27|
	v_mul_f32_e32 v32, 0x3fb8aa3b, v30
	v_cmp_ngt_f32_e32 vcc_lo, 0xc2ce8ed0, v30
	v_rndne_f32_e32 v33, v32
	v_fma_f32 v34, 0x3fb8aa3b, v30, -v32
	v_sub_f32_e32 v32, v32, v33
	v_fmac_f32_e32 v34, 0x32a5705f, v30
	v_cvt_i32_f32_e32 v33, v33
	v_add_f32_e32 v32, v32, v34
	v_exp_f32_e32 v32, v32
	v_ldexp_f32 v32, v32, v33
	v_cndmask_b32_e32 v32, 0, v32, vcc_lo
	v_cmp_nlt_f32_e32 vcc_lo, 0x42b17218, v30
	v_cndmask_b32_e32 v30, 0x7f800000, v32, vcc_lo
	v_add_f32_e32 v30, 1.0, v30
	v_rcp_f32_e32 v30, v30
	v_fma_f32 v30, v30, -2.0, 1.0
.LBB13_11:                              ;   in Loop: Header=BB13_3 Depth=1
	s_andn2_saveexec_b32 s0, s0
	s_cbranch_execz .LBB13_2
; %bb.12:                               ;   in Loop: Header=BB13_3 Depth=1
	v_mul_f32_e32 v30, v27, v27
	v_fmaak_f32 v32, s63, v30, 0x3ca908c9
	v_fmaak_f32 v32, v30, v32, 0xbd5c1c4e
	;; [unrolled: 1-line block ×4, first 2 shown]
	v_mul_f32_e64 v32, |v27|, v32
	v_fma_f32 v30, v30, v32, |v27|
	s_branch .LBB13_2
.LBB13_13:
	s_endpgm
	.section	.rodata,"a",@progbits
	.p2align	6, 0x0
	.amdhsa_kernel _ZN2at6native12_GLOBAL__N_16kernel17lstm_cell_forwardIN3c108BFloat16EfiLi2EEEvNS_4cuda6detail10TensorInfoIT_T1_EESB_SB_SB_SB_SB_SB_SB_SA_SA_
		.amdhsa_group_segment_fixed_size 0
		.amdhsa_private_segment_fixed_size 0
		.amdhsa_kernarg_size 1992
		.amdhsa_user_sgpr_count 6
		.amdhsa_user_sgpr_private_segment_buffer 1
		.amdhsa_user_sgpr_dispatch_ptr 0
		.amdhsa_user_sgpr_queue_ptr 0
		.amdhsa_user_sgpr_kernarg_segment_ptr 1
		.amdhsa_user_sgpr_dispatch_id 0
		.amdhsa_user_sgpr_flat_scratch_init 0
		.amdhsa_user_sgpr_private_segment_size 0
		.amdhsa_wavefront_size32 1
		.amdhsa_uses_dynamic_stack 0
		.amdhsa_system_sgpr_private_segment_wavefront_offset 0
		.amdhsa_system_sgpr_workgroup_id_x 1
		.amdhsa_system_sgpr_workgroup_id_y 0
		.amdhsa_system_sgpr_workgroup_id_z 0
		.amdhsa_system_sgpr_workgroup_info 0
		.amdhsa_system_vgpr_workitem_id 0
		.amdhsa_next_free_vgpr 57
		.amdhsa_next_free_sgpr 64
		.amdhsa_reserve_vcc 1
		.amdhsa_reserve_flat_scratch 0
		.amdhsa_float_round_mode_32 0
		.amdhsa_float_round_mode_16_64 0
		.amdhsa_float_denorm_mode_32 3
		.amdhsa_float_denorm_mode_16_64 3
		.amdhsa_dx10_clamp 1
		.amdhsa_ieee_mode 1
		.amdhsa_fp16_overflow 0
		.amdhsa_workgroup_processor_mode 1
		.amdhsa_memory_ordered 1
		.amdhsa_forward_progress 1
		.amdhsa_shared_vgpr_count 0
		.amdhsa_exception_fp_ieee_invalid_op 0
		.amdhsa_exception_fp_denorm_src 0
		.amdhsa_exception_fp_ieee_div_zero 0
		.amdhsa_exception_fp_ieee_overflow 0
		.amdhsa_exception_fp_ieee_underflow 0
		.amdhsa_exception_fp_ieee_inexact 0
		.amdhsa_exception_int_div_zero 0
	.end_amdhsa_kernel
	.section	.text._ZN2at6native12_GLOBAL__N_16kernel17lstm_cell_forwardIN3c108BFloat16EfiLi2EEEvNS_4cuda6detail10TensorInfoIT_T1_EESB_SB_SB_SB_SB_SB_SB_SA_SA_,"axG",@progbits,_ZN2at6native12_GLOBAL__N_16kernel17lstm_cell_forwardIN3c108BFloat16EfiLi2EEEvNS_4cuda6detail10TensorInfoIT_T1_EESB_SB_SB_SB_SB_SB_SB_SA_SA_,comdat
.Lfunc_end13:
	.size	_ZN2at6native12_GLOBAL__N_16kernel17lstm_cell_forwardIN3c108BFloat16EfiLi2EEEvNS_4cuda6detail10TensorInfoIT_T1_EESB_SB_SB_SB_SB_SB_SB_SA_SA_, .Lfunc_end13-_ZN2at6native12_GLOBAL__N_16kernel17lstm_cell_forwardIN3c108BFloat16EfiLi2EEEvNS_4cuda6detail10TensorInfoIT_T1_EESB_SB_SB_SB_SB_SB_SB_SA_SA_
                                        ; -- End function
	.set _ZN2at6native12_GLOBAL__N_16kernel17lstm_cell_forwardIN3c108BFloat16EfiLi2EEEvNS_4cuda6detail10TensorInfoIT_T1_EESB_SB_SB_SB_SB_SB_SB_SA_SA_.num_vgpr, 57
	.set _ZN2at6native12_GLOBAL__N_16kernel17lstm_cell_forwardIN3c108BFloat16EfiLi2EEEvNS_4cuda6detail10TensorInfoIT_T1_EESB_SB_SB_SB_SB_SB_SB_SA_SA_.num_agpr, 0
	.set _ZN2at6native12_GLOBAL__N_16kernel17lstm_cell_forwardIN3c108BFloat16EfiLi2EEEvNS_4cuda6detail10TensorInfoIT_T1_EESB_SB_SB_SB_SB_SB_SB_SA_SA_.numbered_sgpr, 64
	.set _ZN2at6native12_GLOBAL__N_16kernel17lstm_cell_forwardIN3c108BFloat16EfiLi2EEEvNS_4cuda6detail10TensorInfoIT_T1_EESB_SB_SB_SB_SB_SB_SB_SA_SA_.num_named_barrier, 0
	.set _ZN2at6native12_GLOBAL__N_16kernel17lstm_cell_forwardIN3c108BFloat16EfiLi2EEEvNS_4cuda6detail10TensorInfoIT_T1_EESB_SB_SB_SB_SB_SB_SB_SA_SA_.private_seg_size, 0
	.set _ZN2at6native12_GLOBAL__N_16kernel17lstm_cell_forwardIN3c108BFloat16EfiLi2EEEvNS_4cuda6detail10TensorInfoIT_T1_EESB_SB_SB_SB_SB_SB_SB_SA_SA_.uses_vcc, 1
	.set _ZN2at6native12_GLOBAL__N_16kernel17lstm_cell_forwardIN3c108BFloat16EfiLi2EEEvNS_4cuda6detail10TensorInfoIT_T1_EESB_SB_SB_SB_SB_SB_SB_SA_SA_.uses_flat_scratch, 0
	.set _ZN2at6native12_GLOBAL__N_16kernel17lstm_cell_forwardIN3c108BFloat16EfiLi2EEEvNS_4cuda6detail10TensorInfoIT_T1_EESB_SB_SB_SB_SB_SB_SB_SA_SA_.has_dyn_sized_stack, 0
	.set _ZN2at6native12_GLOBAL__N_16kernel17lstm_cell_forwardIN3c108BFloat16EfiLi2EEEvNS_4cuda6detail10TensorInfoIT_T1_EESB_SB_SB_SB_SB_SB_SB_SA_SA_.has_recursion, 0
	.set _ZN2at6native12_GLOBAL__N_16kernel17lstm_cell_forwardIN3c108BFloat16EfiLi2EEEvNS_4cuda6detail10TensorInfoIT_T1_EESB_SB_SB_SB_SB_SB_SB_SA_SA_.has_indirect_call, 0
	.section	.AMDGPU.csdata,"",@progbits
; Kernel info:
; codeLenInByte = 4816
; TotalNumSgprs: 66
; NumVgprs: 57
; ScratchSize: 0
; MemoryBound: 0
; FloatMode: 240
; IeeeMode: 1
; LDSByteSize: 0 bytes/workgroup (compile time only)
; SGPRBlocks: 0
; VGPRBlocks: 7
; NumSGPRsForWavesPerEU: 66
; NumVGPRsForWavesPerEU: 57
; Occupancy: 16
; WaveLimiterHint : 1
; COMPUTE_PGM_RSRC2:SCRATCH_EN: 0
; COMPUTE_PGM_RSRC2:USER_SGPR: 6
; COMPUTE_PGM_RSRC2:TRAP_HANDLER: 0
; COMPUTE_PGM_RSRC2:TGID_X_EN: 1
; COMPUTE_PGM_RSRC2:TGID_Y_EN: 0
; COMPUTE_PGM_RSRC2:TGID_Z_EN: 0
; COMPUTE_PGM_RSRC2:TIDIG_COMP_CNT: 0
	.section	.text._ZN2at6native12_GLOBAL__N_16kernel17lstm_cell_forwardIN3c108BFloat16EflLi1EEEvNS_4cuda6detail10TensorInfoIT_T1_EESB_SB_SB_SB_SB_SB_SB_SA_SA_,"axG",@progbits,_ZN2at6native12_GLOBAL__N_16kernel17lstm_cell_forwardIN3c108BFloat16EflLi1EEEvNS_4cuda6detail10TensorInfoIT_T1_EESB_SB_SB_SB_SB_SB_SB_SA_SA_,comdat
	.globl	_ZN2at6native12_GLOBAL__N_16kernel17lstm_cell_forwardIN3c108BFloat16EflLi1EEEvNS_4cuda6detail10TensorInfoIT_T1_EESB_SB_SB_SB_SB_SB_SB_SA_SA_ ; -- Begin function _ZN2at6native12_GLOBAL__N_16kernel17lstm_cell_forwardIN3c108BFloat16EflLi1EEEvNS_4cuda6detail10TensorInfoIT_T1_EESB_SB_SB_SB_SB_SB_SB_SA_SA_
	.p2align	8
	.type	_ZN2at6native12_GLOBAL__N_16kernel17lstm_cell_forwardIN3c108BFloat16EflLi1EEEvNS_4cuda6detail10TensorInfoIT_T1_EESB_SB_SB_SB_SB_SB_SB_SA_SA_,@function
_ZN2at6native12_GLOBAL__N_16kernel17lstm_cell_forwardIN3c108BFloat16EflLi1EEEvNS_4cuda6detail10TensorInfoIT_T1_EESB_SB_SB_SB_SB_SB_SB_SA_SA_: ; @_ZN2at6native12_GLOBAL__N_16kernel17lstm_cell_forwardIN3c108BFloat16EflLi1EEEvNS_4cuda6detail10TensorInfoIT_T1_EESB_SB_SB_SB_SB_SB_SB_SA_SA_
; %bb.0:
	s_clause 0x1
	s_load_dword s2, s[4:5], 0xd1c
	s_load_dwordx4 s[8:11], s[4:5], 0xd00
	v_mov_b32_e32 v1, 0
	s_add_u32 s0, s4, 0xd10
	s_addc_u32 s1, s5, 0
	s_waitcnt lgkmcnt(0)
	s_and_b32 s26, s2, 0xffff
	s_mov_b32 s2, exec_lo
	v_mad_u64_u32 v[3:4], null, s6, s26, v[0:1]
	v_mov_b32_e32 v4, v1
	v_cmpx_gt_i64_e64 s[10:11], v[3:4]
	s_cbranch_execz .LBB14_18
; %bb.1:
	s_clause 0x4
	s_load_dwordx2 s[28:29], s[4:5], 0x750
	s_load_dwordx2 s[2:3], s[4:5], 0x340
	;; [unrolled: 1-line block ×5, first 2 shown]
	s_load_dword s0, s[0:1], 0x0
	s_clause 0xa
	s_load_dwordx2 s[6:7], s[4:5], 0x0
	s_load_dwordx2 s[12:13], s[4:5], 0xd0
	;; [unrolled: 1-line block ×11, first 2 shown]
	s_mul_i32 s27, s9, 3
	s_mul_hi_u32 s39, s8, 3
	s_mov_b32 s1, 0
	s_waitcnt lgkmcnt(0)
	v_mul_lo_u32 v0, 0, s28
	v_mul_lo_u32 v2, v3, s29
	v_mad_u64_u32 v[5:6], null, v3, s28, 0
	v_mul_lo_u32 v9, 0, s36
	v_mad_u64_u32 v[7:8], null, v3, s36, 0
	s_cmp_lg_u64 s[2:3], 0
	s_mul_i32 s33, s0, s26
	s_cselect_b32 s38, -1, 0
	v_add3_u32 v6, v6, v2, v0
	v_mul_lo_u32 v0, v3, s37
	s_add_i32 s39, s39, s27
	s_mul_i32 s0, s33, s29
	v_mul_lo_u32 v2, v3, s47
	v_lshlrev_b64 v[5:6], 1, v[5:6]
	s_mul_hi_u32 s26, s33, s28
	s_sub_u32 s41, 0, s8
	s_subb_u32 s42, 0, s9
	v_add3_u32 v8, v8, v0, v9
	v_mul_lo_u32 v0, 0, s46
	v_mad_u64_u32 v[9:10], null, v3, s46, 0
	v_add_co_u32 v5, vcc_lo, s30, v5
	v_lshlrev_b64 v[7:8], 1, v[7:8]
	v_add_co_ci_u32_e64 v6, null, s31, v6, vcc_lo
	s_add_i32 s27, s26, s0
	v_add3_u32 v10, v10, v2, v0
	s_mul_i32 s26, s33, s28
	v_add_co_u32 v7, vcc_lo, s34, v7
	s_mul_i32 s0, s33, s37
	v_lshlrev_b64 v[9:10], 1, v[9:10]
	s_mul_hi_u32 s28, s33, s36
	v_add_co_ci_u32_e64 v8, null, s35, v8, vcc_lo
	s_add_i32 s29, s28, s0
	s_mul_i32 s0, s33, s47
	v_add_co_u32 v9, vcc_lo, s44, v9
	s_mul_hi_u32 s30, s33, s46
	v_add_co_ci_u32_e64 v10, null, s45, v10, vcc_lo
	s_mul_i32 s28, s33, s36
	s_add_i32 s31, s30, s0
	s_mul_i32 s30, s33, s46
	s_mul_i32 s40, s8, 3
	s_lshl_b64 s[26:27], s[26:27], 1
	s_lshl_b64 s[28:29], s[28:29], 1
	;; [unrolled: 1-line block ×3, first 2 shown]
	s_ashr_i32 s34, s9, 31
	s_mov_b32 s43, 0xbbbac73d
	s_branch .LBB14_3
.LBB14_2:                               ;   in Loop: Header=BB14_3 Depth=1
	s_or_b32 exec_lo, exec_lo, s0
	v_lshlrev_b32_e32 v16, 16, v16
	v_lshlrev_b32_e32 v20, 16, v20
	v_mul_lo_u32 v27, v19, s4
	v_mul_lo_u32 v28, v14, s5
	;; [unrolled: 1-line block ×4, first 2 shown]
	v_add_f32_e32 v16, v16, v20
	v_mul_lo_u32 v0, v0, s4
	v_bfe_u32 v34, v23, 16, 1
	v_mul_lo_u32 v2, v2, s4
	v_bfe_u32 v36, v24, 16, 1
	v_add_f32_e32 v16, v16, v18
	v_mul_lo_u32 v31, v12, s5
	v_add3_u32 v34, v23, v34, 0x7fff
	v_bfe_u32 v37, v22, 16, 1
	v_add3_u32 v36, v24, v36, 0x7fff
	v_add_f32_e32 v16, v17, v16
	v_bfi_b32 v25, 0x7fffffff, v25, v21
	v_add_co_u32 v3, s0, v3, s33
	v_add3_u32 v37, v22, v37, 0x7fff
	v_mul_f32_e32 v17, 0xbfb8aa3b, v16
	v_cmp_nlt_f32_e32 vcc_lo, 0x42ce8ed0, v16
	v_add_co_ci_u32_e64 v4, null, 0, v4, s0
	v_add_co_u32 v5, s0, v5, s26
	v_fma_f32 v18, 0xbfb8aa3b, v16, -v17
	v_rndne_f32_e32 v20, v17
	v_add_co_ci_u32_e64 v6, null, s27, v6, s0
	v_cmp_le_i64_e64 s0, s[10:11], v[3:4]
	v_fmac_f32_e32 v18, 0xb2a5705f, v16
	v_sub_f32_e32 v17, v17, v20
	s_or_b32 s1, s0, s1
	v_add_f32_e32 v17, v17, v18
	v_cvt_i32_f32_e32 v18, v20
	v_mul_lo_u32 v20, v11, s5
	v_exp_f32_e32 v17, v17
	v_ldexp_f32 v17, v17, v18
	v_mad_u64_u32 v[18:19], null, v14, s4, 0
	v_mad_u64_u32 v[13:14], null, v15, s4, 0
	v_cndmask_b32_e32 v17, 0, v17, vcc_lo
	v_cmp_ngt_f32_e32 vcc_lo, 0xc2b17218, v16
	v_bfe_u32 v15, v21, 16, 1
	v_add3_u32 v19, v19, v28, v27
	v_lshrrev_b32_e32 v27, 16, v37
	v_cndmask_b32_e32 v16, 0x7f800000, v17, vcc_lo
	v_add3_u32 v15, v21, v15, 0x7fff
	v_add3_u32 v14, v14, v33, v2
	v_lshrrev_b32_e32 v2, 16, v34
	v_add_f32_e32 v26, 1.0, v16
	v_mad_u64_u32 v[16:17], null, v11, s4, 0
	v_mad_u64_u32 v[11:12], null, v12, s4, 0
	v_div_scale_f32 v29, null, v26, v26, 1.0
	v_div_scale_f32 v38, vcc_lo, 1.0, v26, 1.0
	v_add3_u32 v17, v17, v20, v0
	v_rcp_f32_e32 v32, v29
	v_lshrrev_b32_e32 v0, 16, v15
	v_lshrrev_b32_e32 v20, 16, v36
	v_add3_u32 v12, v12, v31, v30
	v_lshlrev_b64 v[13:14], 1, v[13:14]
	v_lshlrev_b64 v[11:12], 1, v[11:12]
	v_fma_f32 v35, -v29, v32, 1.0
	v_fmac_f32_e32 v32, v35, v32
	v_mul_f32_e32 v35, v38, v32
	v_fma_f32 v39, -v29, v35, v38
	v_fmac_f32_e32 v35, v39, v32
	v_fma_f32 v15, -v29, v35, v38
	v_div_fmas_f32 v28, v15, v32, v35
	v_cmp_o_f32_e32 vcc_lo, v21, v21
	v_lshlrev_b64 v[15:16], 1, v[16:17]
	v_lshlrev_b64 v[17:18], 1, v[18:19]
	v_div_fixup_f32 v19, v28, v26, 1.0
	v_cndmask_b32_e32 v0, 0x7fc0, v0, vcc_lo
	v_cmp_o_f32_e32 vcc_lo, v23, v23
	v_mul_f32_e32 v21, v19, v25
	v_cndmask_b32_e32 v2, 0x7fc0, v2, vcc_lo
	v_cmp_o_f32_e32 vcc_lo, v24, v24
	v_bfe_u32 v24, v19, 16, 1
	v_bfe_u32 v23, v21, 16, 1
	v_cndmask_b32_e32 v20, 0x7fc0, v20, vcc_lo
	v_cmp_o_f32_e32 vcc_lo, v22, v22
	v_add3_u32 v23, v21, v23, 0x7fff
	v_add3_u32 v24, v19, v24, 0x7fff
	v_cndmask_b32_e32 v22, 0x7fc0, v27, vcc_lo
	v_add_co_u32 v15, vcc_lo, s24, v15
	v_add_co_ci_u32_e64 v16, null, s25, v16, vcc_lo
	v_add_co_u32 v17, vcc_lo, s24, v17
	v_add_co_ci_u32_e64 v18, null, s25, v18, vcc_lo
	v_add_co_u32 v11, vcc_lo, s24, v11
	v_lshrrev_b32_e32 v23, 16, v23
	v_add_co_ci_u32_e64 v12, null, s25, v12, vcc_lo
	v_cmp_o_f32_e32 vcc_lo, v21, v21
	v_lshrrev_b32_e32 v24, 16, v24
	v_cndmask_b32_e32 v21, 0x7fc0, v23, vcc_lo
	v_add_co_u32 v13, vcc_lo, s24, v13
	v_add_co_ci_u32_e64 v14, null, s25, v14, vcc_lo
	v_cmp_o_f32_e32 vcc_lo, v19, v19
	global_store_short v[7:8], v21, off
	global_store_short v[9:10], v0, off
	;; [unrolled: 1-line block ×4, first 2 shown]
	v_cndmask_b32_e32 v19, 0x7fc0, v24, vcc_lo
	v_add_co_u32 v7, vcc_lo, v7, s28
	v_add_co_ci_u32_e64 v8, null, s29, v8, vcc_lo
	v_add_co_u32 v9, vcc_lo, v9, s30
	v_add_co_ci_u32_e64 v10, null, s31, v10, vcc_lo
	global_store_short v[11:12], v22, off
	global_store_short v[13:14], v19, off
	s_andn2_b32 exec_lo, exec_lo, s1
	s_cbranch_execz .LBB14_18
.LBB14_3:                               ; =>This Inner Loop Header: Depth=1
	v_or_b32_e32 v2, s9, v4
                                        ; implicit-def: $vgpr17_vgpr18
	s_mov_b32 s0, exec_lo
	v_cmpx_ne_u64_e32 0, v[1:2]
	s_xor_b32 s44, exec_lo, s0
	s_cbranch_execz .LBB14_5
; %bb.4:                                ;   in Loop: Header=BB14_3 Depth=1
	s_add_u32 s36, s8, s34
	s_mov_b32 s35, s34
	s_addc_u32 s37, s9, s34
	v_ashrrev_i32_e32 v17, 31, v4
	s_xor_b64 s[36:37], s[36:37], s[34:35]
	v_cvt_f32_u32_e32 v0, s36
	v_cvt_f32_u32_e32 v2, s37
	s_sub_u32 s0, 0, s36
	s_subb_u32 s46, 0, s37
	v_add_co_u32 v11, vcc_lo, v3, v17
	v_fmac_f32_e32 v0, 0x4f800000, v2
	v_rcp_f32_e32 v0, v0
	v_mul_f32_e32 v0, 0x5f7ffffc, v0
	v_mul_f32_e32 v2, 0x2f800000, v0
	v_trunc_f32_e32 v2, v2
	v_fmac_f32_e32 v0, 0xcf800000, v2
	v_cvt_u32_f32_e32 v2, v2
	v_cvt_u32_f32_e32 v0, v0
	v_readfirstlane_b32 s35, v2
	v_xor_b32_e32 v2, v11, v17
	v_readfirstlane_b32 s45, v0
	s_mul_i32 s47, s0, s35
	v_add_co_ci_u32_e64 v0, null, v4, v17, vcc_lo
	s_mul_hi_u32 s49, s0, s45
	s_mul_i32 s48, s46, s45
	s_add_i32 s47, s49, s47
	s_mul_i32 s50, s0, s45
	s_add_i32 s47, s47, s48
	s_mul_hi_u32 s49, s45, s50
	s_mul_i32 s52, s45, s47
	s_mul_hi_u32 s51, s35, s50
	s_mul_i32 s48, s35, s50
	s_mul_hi_u32 s50, s45, s47
	s_add_u32 s49, s49, s52
	s_addc_u32 s50, 0, s50
	s_mul_hi_u32 s53, s35, s47
	s_add_u32 s48, s49, s48
	s_mul_i32 s47, s35, s47
	s_addc_u32 s48, s50, s51
	s_addc_u32 s49, s53, 0
	s_add_u32 s47, s48, s47
	s_addc_u32 s48, 0, s49
	s_add_u32 s45, s45, s47
	s_cselect_b32 s47, -1, 0
	s_mul_hi_u32 s49, s0, s45
	s_cmp_lg_u32 s47, 0
	s_mul_i32 s47, s0, s45
	s_addc_u32 s35, s35, s48
	s_mul_i32 s46, s46, s45
	s_mul_i32 s0, s0, s35
	s_mul_hi_u32 s48, s45, s47
	s_add_i32 s0, s49, s0
	s_mul_hi_u32 s49, s35, s47
	s_add_i32 s0, s0, s46
	s_mul_i32 s46, s35, s47
	s_mul_i32 s51, s45, s0
	s_mul_hi_u32 s50, s45, s0
	s_add_u32 s48, s48, s51
	s_addc_u32 s50, 0, s50
	s_mul_hi_u32 s47, s35, s0
	s_add_u32 s46, s48, s46
	s_mul_i32 s0, s35, s0
	s_addc_u32 s46, s50, s49
	s_addc_u32 s47, s47, 0
	s_add_u32 s0, s46, s0
	s_addc_u32 s46, 0, s47
	s_add_u32 s0, s45, s0
	s_cselect_b32 s45, -1, 0
	v_xor_b32_e32 v0, v0, v17
	s_cmp_lg_u32 s45, 0
	v_mul_hi_u32 v18, v2, s0
	s_addc_u32 s35, s35, s46
	v_mad_u64_u32 v[11:12], null, v2, s35, 0
	v_mad_u64_u32 v[13:14], null, v0, s0, 0
	;; [unrolled: 1-line block ×3, first 2 shown]
	v_add_co_u32 v11, vcc_lo, v18, v11
	v_add_co_ci_u32_e64 v12, null, 0, v12, vcc_lo
	v_add_co_u32 v11, vcc_lo, v11, v13
	v_add_co_ci_u32_e32 v11, vcc_lo, v12, v14, vcc_lo
	v_add_co_ci_u32_e32 v12, vcc_lo, 0, v16, vcc_lo
	v_add_co_u32 v13, vcc_lo, v11, v15
	v_add_co_ci_u32_e64 v14, null, 0, v12, vcc_lo
	v_mul_lo_u32 v15, s37, v13
	v_mad_u64_u32 v[11:12], null, s36, v13, 0
	v_mul_lo_u32 v16, s36, v14
	v_sub_co_u32 v2, vcc_lo, v2, v11
	v_add3_u32 v12, v12, v16, v15
	v_sub_nc_u32_e32 v15, v0, v12
	v_sub_co_ci_u32_e64 v0, null, v0, v12, vcc_lo
	v_subrev_co_ci_u32_e64 v11, null, s37, v15, vcc_lo
	v_add_co_u32 v15, s0, v13, 2
	v_add_co_ci_u32_e64 v16, null, 0, v14, s0
	v_sub_co_u32 v18, s0, v2, s36
	v_subrev_co_ci_u32_e64 v11, null, 0, v11, s0
	v_cmp_le_u32_e32 vcc_lo, s36, v18
	v_cndmask_b32_e64 v12, 0, -1, vcc_lo
	v_cmp_le_u32_e32 vcc_lo, s37, v11
	v_cndmask_b32_e64 v18, 0, -1, vcc_lo
	;; [unrolled: 2-line block ×4, first 2 shown]
	v_cmp_eq_u32_e32 vcc_lo, s37, v11
	v_cndmask_b32_e32 v11, v18, v12, vcc_lo
	v_add_co_u32 v12, vcc_lo, v13, 1
	v_add_co_ci_u32_e64 v18, null, 0, v14, vcc_lo
	v_cmp_eq_u32_e32 vcc_lo, s37, v0
	v_cndmask_b32_e32 v0, v19, v2, vcc_lo
	v_cmp_ne_u32_e32 vcc_lo, 0, v11
	v_xor_b32_e32 v11, s34, v17
	v_cmp_ne_u32_e64 s0, 0, v0
	v_cndmask_b32_e32 v0, v12, v15, vcc_lo
	v_cndmask_b32_e32 v2, v18, v16, vcc_lo
	v_cndmask_b32_e64 v0, v13, v0, s0
	v_cndmask_b32_e64 v2, v14, v2, s0
	v_xor_b32_e32 v0, v0, v11
	v_xor_b32_e32 v2, v2, v11
	v_sub_co_u32 v17, vcc_lo, v0, v11
	v_sub_co_ci_u32_e64 v18, null, v2, v11, vcc_lo
.LBB14_5:                               ;   in Loop: Header=BB14_3 Depth=1
	s_andn2_saveexec_b32 s0, s44
	s_cbranch_execz .LBB14_7
; %bb.6:                                ;   in Loop: Header=BB14_3 Depth=1
	v_cvt_f32_u32_e32 v0, s8
	s_sub_i32 s35, 0, s8
	v_mov_b32_e32 v18, v1
	v_rcp_iflag_f32_e32 v0, v0
	v_mul_f32_e32 v0, 0x4f7ffffe, v0
	v_cvt_u32_f32_e32 v0, v0
	v_mul_lo_u32 v2, s35, v0
	v_mul_hi_u32 v2, v0, v2
	v_add_nc_u32_e32 v0, v0, v2
	v_mul_hi_u32 v0, v3, v0
	v_mul_lo_u32 v2, v0, s8
	v_add_nc_u32_e32 v11, 1, v0
	v_sub_nc_u32_e32 v2, v3, v2
	v_subrev_nc_u32_e32 v12, s8, v2
	v_cmp_le_u32_e32 vcc_lo, s8, v2
	v_cndmask_b32_e32 v2, v2, v12, vcc_lo
	v_cndmask_b32_e32 v0, v0, v11, vcc_lo
	v_cmp_le_u32_e32 vcc_lo, s8, v2
	v_add_nc_u32_e32 v11, 1, v0
	v_cndmask_b32_e32 v17, v0, v11, vcc_lo
.LBB14_7:                               ;   in Loop: Header=BB14_3 Depth=1
	s_or_b32 exec_lo, exec_lo, s0
	v_mad_u64_u32 v[19:20], null, v17, 3, 0
	v_mad_u64_u32 v[11:12], null, s40, v17, v[3:4]
	v_mul_lo_u32 v0, s40, v18
	v_mul_lo_u32 v13, s39, v17
	v_mov_b32_e32 v2, v20
	v_mul_lo_u32 v27, v11, s13
	v_add3_u32 v0, v13, v12, v0
	v_mad_u64_u32 v[20:21], null, v18, 3, v[2:3]
	v_add_co_u32 v12, vcc_lo, v19, 1
	v_add_co_u32 v13, s0, v19, 2
	v_mad_u64_u32 v[21:22], null, v11, s12, 0
	v_add_co_ci_u32_e64 v16, null, 0, v20, vcc_lo
	v_add_co_ci_u32_e64 v24, null, 0, v20, s0
	v_mul_lo_u32 v23, s9, v12
	v_mad_u64_u32 v[14:15], null, s8, v12, v[3:4]
	v_mul_lo_u32 v16, s8, v16
	v_mul_lo_u32 v25, s9, v13
	v_mad_u64_u32 v[12:13], null, s8, v13, v[3:4]
	v_mul_lo_u32 v26, s8, v24
	v_add_co_u32 v28, vcc_lo, v19, 3
	v_add_co_ci_u32_e64 v20, null, 0, v20, vcc_lo
	v_add3_u32 v19, v23, v15, v16
	v_mul_lo_u32 v2, v0, s12
	v_mul_lo_u32 v31, s9, v28
	v_add3_u32 v13, v25, v13, v26
	v_mul_lo_u32 v20, s8, v20
	v_mad_u64_u32 v[15:16], null, s8, v28, v[3:4]
	v_mul_lo_u32 v29, v14, s13
	v_mad_u64_u32 v[23:24], null, v14, s12, 0
	v_mul_lo_u32 v30, v19, s12
	v_mul_lo_u32 v28, v13, s12
	;; [unrolled: 1-line block ×3, first 2 shown]
	v_mad_u64_u32 v[25:26], null, v12, s12, 0
	v_add3_u32 v22, v22, v27, v2
	v_add3_u32 v2, v31, v16, v20
	v_mul_lo_u32 v35, v19, s16
	v_add3_u32 v24, v24, v29, v30
	v_mul_lo_u32 v29, v15, s13
	v_lshlrev_b64 v[20:21], 1, v[21:22]
	v_add3_u32 v26, v26, v32, v28
	v_mul_lo_u32 v16, v2, s12
	v_mad_u64_u32 v[27:28], null, v15, s12, 0
	v_lshlrev_b64 v[22:23], 1, v[23:24]
	v_lshlrev_b64 v[24:25], 1, v[25:26]
	v_add_co_u32 v20, vcc_lo, s6, v20
	v_add_co_ci_u32_e64 v21, null, s7, v21, vcc_lo
	v_add3_u32 v28, v28, v29, v16
	v_add_co_u32 v22, vcc_lo, s6, v22
	v_add_co_ci_u32_e64 v23, null, s7, v23, vcc_lo
	v_add_co_u32 v29, vcc_lo, s6, v24
	v_add_co_ci_u32_e64 v30, null, s7, v25, vcc_lo
	v_lshlrev_b64 v[24:25], 1, v[27:28]
	v_mul_lo_u32 v16, v11, s17
	v_mul_lo_u32 v28, v0, s16
	v_mad_u64_u32 v[26:27], null, v11, s16, 0
	v_mul_lo_u32 v36, v14, s17
	v_mad_u64_u32 v[31:32], null, v14, s16, 0
	v_add_co_u32 v33, vcc_lo, s6, v24
	v_add_co_ci_u32_e64 v34, null, s7, v25, vcc_lo
	v_add3_u32 v27, v27, v16, v28
	v_mul_lo_u32 v16, v13, s16
	v_mul_lo_u32 v28, v12, s17
	v_mad_u64_u32 v[24:25], null, v12, s16, 0
	v_add3_u32 v32, v32, v36, v35
	v_mul_lo_u32 v39, v2, s16
	v_mul_lo_u32 v40, v15, s17
	v_mad_u64_u32 v[35:36], null, v15, s16, 0
	v_lshlrev_b64 v[26:27], 1, v[26:27]
	v_lshlrev_b64 v[31:32], 1, v[31:32]
	v_add3_u32 v25, v25, v28, v16
	v_add3_u32 v36, v36, v40, v39
	v_add_co_u32 v37, vcc_lo, s14, v26
	v_add_co_ci_u32_e64 v38, null, s15, v27, vcc_lo
	v_lshlrev_b64 v[24:25], 1, v[24:25]
	v_add_co_u32 v27, vcc_lo, s14, v31
	v_add_co_ci_u32_e64 v28, null, s15, v32, vcc_lo
	v_lshlrev_b64 v[31:32], 1, v[35:36]
	v_add_co_u32 v35, vcc_lo, s14, v24
	v_add_co_ci_u32_e64 v36, null, s15, v25, vcc_lo
	v_add_co_u32 v31, vcc_lo, s14, v31
	v_add_co_ci_u32_e64 v32, null, s15, v32, vcc_lo
	s_clause 0x3
	global_load_ushort v24, v[20:21], off
	global_load_ushort v22, v[22:23], off
	global_load_ushort v26, v[29:30], off
	global_load_ushort v16, v[33:34], off
	s_clause 0x3
	global_load_ushort v25, v[37:38], off
	global_load_ushort v23, v[27:28], off
	;; [unrolled: 1-line block ×5, first 2 shown]
	s_andn2_b32 vcc_lo, exec_lo, s38
	s_cbranch_vccnz .LBB14_9
; %bb.8:                                ;   in Loop: Header=BB14_3 Depth=1
	v_sub_co_u32 v30, vcc_lo, 1, v17
	v_sub_co_ci_u32_e64 v31, null, 0, v18, vcc_lo
	v_mad_u64_u32 v[28:29], null, s41, v17, v[3:4]
	v_mul_lo_u32 v32, s41, v18
	v_mul_lo_u32 v33, s42, v17
	v_mul_lo_u32 v34, s8, v31
	v_mul_lo_u32 v35, s9, v30
	v_mad_u64_u32 v[30:31], null, s8, v30, v[3:4]
	v_mul_lo_u32 v38, v28, s19
	v_add3_u32 v29, v33, v29, v32
	v_sub_co_u32 v33, vcc_lo, 2, v17
	v_add3_u32 v40, v35, v31, v34
	v_sub_co_ci_u32_e64 v34, null, 0, v18, vcc_lo
	v_mul_lo_u32 v36, s9, v33
	v_sub_co_u32 v37, vcc_lo, 3, v17
	v_mul_lo_u32 v35, s8, v34
	v_mad_u64_u32 v[33:34], null, s8, v33, v[3:4]
	v_sub_co_ci_u32_e64 v42, null, 0, v18, vcc_lo
	v_mul_lo_u32 v41, v40, s18
	v_mul_lo_u32 v43, v30, s19
	v_mad_u64_u32 v[17:18], null, v30, s18, 0
	v_add3_u32 v44, v36, v34, v35
	v_mul_lo_u32 v42, s8, v42
	v_mul_lo_u32 v45, s9, v37
	v_mad_u64_u32 v[34:35], null, s8, v37, v[3:4]
	v_mul_lo_u32 v39, v29, s18
	v_mad_u64_u32 v[31:32], null, v28, s18, 0
	v_add3_u32 v18, v18, v43, v41
	v_mul_lo_u32 v46, v44, s18
	v_mul_lo_u32 v47, v33, s19
	v_add3_u32 v43, v45, v35, v42
	v_mad_u64_u32 v[36:37], null, v33, s18, 0
	v_add3_u32 v32, v32, v38, v39
	v_mul_lo_u32 v42, v34, s19
	v_mul_lo_u32 v41, v43, s18
	v_mad_u64_u32 v[38:39], null, v34, s18, 0
	v_mul_lo_u32 v45, v40, s22
	v_add3_u32 v37, v37, v47, v46
	v_mul_lo_u32 v46, v30, s23
	v_lshlrev_b64 v[31:32], 1, v[31:32]
	v_mul_lo_u32 v43, v43, s22
	v_lshlrev_b64 v[17:18], 1, v[17:18]
	v_add3_u32 v39, v39, v42, v41
	v_mul_lo_u32 v41, v28, s23
	v_mul_lo_u32 v42, v29, s22
	v_mad_u64_u32 v[28:29], null, v28, s22, 0
	v_lshlrev_b64 v[35:36], 1, v[36:37]
	v_lshlrev_b64 v[37:38], 1, v[38:39]
	v_mad_u64_u32 v[39:40], null, v30, s22, 0
	v_mul_lo_u32 v30, v44, s22
	v_mul_lo_u32 v44, v33, s23
	v_add3_u32 v29, v29, v41, v42
	v_mad_u64_u32 v[41:42], null, v33, s22, 0
	v_add_co_u32 v31, vcc_lo, s2, v31
	v_add3_u32 v40, v40, v46, v45
	v_mul_lo_u32 v45, v34, s23
	v_mad_u64_u32 v[33:34], null, v34, s22, 0
	v_add3_u32 v42, v42, v44, v30
	v_add_co_ci_u32_e64 v32, null, s3, v32, vcc_lo
	v_add_co_u32 v17, vcc_lo, s2, v17
	v_lshlrev_b64 v[28:29], 1, v[28:29]
	v_add3_u32 v34, v34, v45, v43
	v_add_co_ci_u32_e64 v18, null, s3, v18, vcc_lo
	v_add_co_u32 v35, vcc_lo, s2, v35
	v_lshlrev_b64 v[39:40], 1, v[39:40]
	v_add_co_ci_u32_e64 v36, null, s3, v36, vcc_lo
	v_add_co_u32 v37, vcc_lo, s2, v37
	v_lshlrev_b64 v[41:42], 1, v[41:42]
	;; [unrolled: 3-line block ×3, first 2 shown]
	v_add_co_ci_u32_e64 v29, null, s21, v29, vcc_lo
	v_add_co_u32 v39, vcc_lo, s20, v39
	v_add_co_ci_u32_e64 v40, null, s21, v40, vcc_lo
	v_add_co_u32 v41, vcc_lo, s20, v41
	;; [unrolled: 2-line block ×3, first 2 shown]
	v_add_co_ci_u32_e64 v34, null, s21, v34, vcc_lo
	global_load_ushort v30, v[31:32], off
	global_load_ushort v28, v[28:29], off
	;; [unrolled: 1-line block ×4, first 2 shown]
	s_clause 0x1
	global_load_ushort v32, v[35:36], off
	global_load_ushort v35, v[37:38], off
	s_clause 0x1
	global_load_ushort v36, v[41:42], off
	global_load_ushort v34, v[33:34], off
	s_waitcnt vmcnt(7)
	v_lshlrev_b32_e32 v31, 16, v30
	s_waitcnt vmcnt(6)
	v_lshlrev_b32_e32 v29, 16, v28
	;; [unrolled: 2-line block ×8, first 2 shown]
	s_branch .LBB14_10
.LBB14_9:                               ;   in Loop: Header=BB14_3 Depth=1
	v_mov_b32_e32 v32, 0
	v_mov_b32_e32 v17, 0
	v_mov_b32_e32 v28, 0
	v_mov_b32_e32 v29, 0
	v_mov_b32_e32 v33, 0
	v_mov_b32_e32 v18, 0
	v_mov_b32_e32 v30, 0
	v_mov_b32_e32 v31, 0
.LBB14_10:                              ;   in Loop: Header=BB14_3 Depth=1
	s_waitcnt vmcnt(6)
	v_lshlrev_b32_e32 v26, 16, v26
	s_waitcnt vmcnt(2)
	v_lshlrev_b32_e32 v27, 16, v27
	v_add_f32_e32 v26, v26, v27
                                        ; implicit-def: $vgpr27
	v_add_f32_e32 v26, v26, v33
	v_add_f32_e32 v26, v32, v26
	v_cmp_ngt_f32_e64 s0, 0x3f200000, |v26|
	s_and_saveexec_b32 s35, s0
	s_xor_b32 s0, exec_lo, s35
	s_cbranch_execz .LBB14_12
; %bb.11:                               ;   in Loop: Header=BB14_3 Depth=1
	v_add_f32_e64 v27, |v26|, |v26|
	v_mul_f32_e32 v32, 0x3fb8aa3b, v27
	v_cmp_ngt_f32_e32 vcc_lo, 0xc2ce8ed0, v27
	v_rndne_f32_e32 v33, v32
	v_fma_f32 v34, 0x3fb8aa3b, v27, -v32
	v_sub_f32_e32 v32, v32, v33
	v_fmac_f32_e32 v34, 0x32a5705f, v27
	v_cvt_i32_f32_e32 v33, v33
	v_add_f32_e32 v32, v32, v34
	v_exp_f32_e32 v32, v32
	v_ldexp_f32 v32, v32, v33
	v_cndmask_b32_e32 v32, 0, v32, vcc_lo
	v_cmp_nlt_f32_e32 vcc_lo, 0x42b17218, v27
	v_cndmask_b32_e32 v27, 0x7f800000, v32, vcc_lo
	v_add_f32_e32 v27, 1.0, v27
	v_rcp_f32_e32 v27, v27
	v_fma_f32 v27, v27, -2.0, 1.0
.LBB14_12:                              ;   in Loop: Header=BB14_3 Depth=1
	s_andn2_saveexec_b32 s0, s0
	s_cbranch_execz .LBB14_14
; %bb.13:                               ;   in Loop: Header=BB14_3 Depth=1
	v_mul_f32_e32 v27, v26, v26
	v_fmaak_f32 v32, s43, v27, 0x3ca908c9
	v_fmaak_f32 v32, v27, v32, 0xbd5c1c4e
	;; [unrolled: 1-line block ×4, first 2 shown]
	v_mul_f32_e64 v32, |v26|, v32
	v_fma_f32 v27, v27, v32, |v26|
.LBB14_14:                              ;   in Loop: Header=BB14_3 Depth=1
	s_or_b32 exec_lo, exec_lo, s0
	v_lshlrev_b32_e32 v24, 16, v24
	v_lshlrev_b32_e32 v25, 16, v25
	v_lshlrev_b32_e32 v22, 16, v22
	v_lshlrev_b32_e32 v23, 16, v23
	v_add_f32_e32 v24, v24, v25
	v_add_f32_e32 v22, v22, v23
	;; [unrolled: 1-line block ×6, first 2 shown]
	v_mul_f32_e32 v24, 0xbfb8aa3b, v23
	v_cmp_nlt_f32_e32 vcc_lo, 0x42ce8ed0, v23
	v_mul_f32_e32 v25, 0xbfb8aa3b, v22
	v_fma_f32 v28, 0xbfb8aa3b, v23, -v24
	v_rndne_f32_e32 v29, v24
	v_fma_f32 v30, 0xbfb8aa3b, v22, -v25
	v_rndne_f32_e32 v31, v25
	v_fmac_f32_e32 v28, 0xb2a5705f, v23
	v_sub_f32_e32 v24, v24, v29
	v_fmac_f32_e32 v30, 0xb2a5705f, v22
	v_sub_f32_e32 v25, v25, v31
	v_add_f32_e32 v24, v24, v28
	v_cvt_i32_f32_e32 v28, v29
	v_add_f32_e32 v25, v25, v30
	v_cvt_i32_f32_e32 v29, v31
	v_exp_f32_e32 v24, v24
	v_exp_f32_e32 v25, v25
	v_ldexp_f32 v24, v24, v28
	v_ldexp_f32 v25, v25, v29
	v_cndmask_b32_e32 v24, 0, v24, vcc_lo
	v_cmp_nlt_f32_e32 vcc_lo, 0x42ce8ed0, v22
	v_cndmask_b32_e32 v25, 0, v25, vcc_lo
	v_cmp_ngt_f32_e32 vcc_lo, 0xc2b17218, v23
	v_cndmask_b32_e32 v23, 0x7f800000, v24, vcc_lo
	v_cmp_ngt_f32_e32 vcc_lo, 0xc2b17218, v22
	v_add_f32_e32 v23, 1.0, v23
	v_cndmask_b32_e32 v22, 0x7f800000, v25, vcc_lo
	v_div_scale_f32 v32, vcc_lo, 1.0, v23, 1.0
	v_add_f32_e32 v24, 1.0, v22
	v_div_scale_f32 v22, null, v23, v23, 1.0
	v_div_scale_f32 v25, null, v24, v24, 1.0
	v_rcp_f32_e32 v28, v22
	v_rcp_f32_e32 v29, v25
	v_fma_f32 v30, -v22, v28, 1.0
	v_fma_f32 v31, -v25, v29, 1.0
	v_fmac_f32_e32 v28, v30, v28
	v_div_scale_f32 v30, s0, 1.0, v24, 1.0
	v_fmac_f32_e32 v29, v31, v29
	v_mul_f32_e32 v31, v32, v28
	v_mul_f32_e32 v33, v30, v29
	v_fma_f32 v34, -v22, v31, v32
	v_fma_f32 v35, -v25, v33, v30
	v_fmac_f32_e32 v31, v34, v28
	v_fmac_f32_e32 v33, v35, v29
	v_fma_f32 v22, -v22, v31, v32
	v_fma_f32 v25, -v25, v33, v30
	v_div_fmas_f32 v22, v22, v28, v31
	s_mov_b32 vcc_lo, s0
	v_div_fmas_f32 v25, v25, v29, v33
	v_div_fixup_f32 v23, v22, v23, 1.0
	v_bfi_b32 v22, 0x7fffffff, v27, v26
	v_div_fixup_f32 v24, v25, v24, 1.0
	s_waitcnt vmcnt(0)
	v_lshlrev_b32_e32 v25, 16, v21
	v_mul_f32_e32 v21, v23, v22
	v_fmac_f32_e32 v21, v24, v25
                                        ; implicit-def: $vgpr25
	v_cmp_ngt_f32_e64 s0, 0x3f200000, |v21|
	s_and_saveexec_b32 s35, s0
	s_xor_b32 s0, exec_lo, s35
	s_cbranch_execz .LBB14_16
; %bb.15:                               ;   in Loop: Header=BB14_3 Depth=1
	v_add_f32_e64 v25, |v21|, |v21|
	v_mul_f32_e32 v26, 0x3fb8aa3b, v25
	v_cmp_ngt_f32_e32 vcc_lo, 0xc2ce8ed0, v25
	v_rndne_f32_e32 v27, v26
	v_fma_f32 v28, 0x3fb8aa3b, v25, -v26
	v_sub_f32_e32 v26, v26, v27
	v_fmac_f32_e32 v28, 0x32a5705f, v25
	v_cvt_i32_f32_e32 v27, v27
	v_add_f32_e32 v26, v26, v28
	v_exp_f32_e32 v26, v26
	v_ldexp_f32 v26, v26, v27
	v_cndmask_b32_e32 v26, 0, v26, vcc_lo
	v_cmp_nlt_f32_e32 vcc_lo, 0x42b17218, v25
	v_cndmask_b32_e32 v25, 0x7f800000, v26, vcc_lo
	v_add_f32_e32 v25, 1.0, v25
	v_rcp_f32_e32 v25, v25
	v_fma_f32 v25, v25, -2.0, 1.0
.LBB14_16:                              ;   in Loop: Header=BB14_3 Depth=1
	s_andn2_saveexec_b32 s0, s0
	s_cbranch_execz .LBB14_2
; %bb.17:                               ;   in Loop: Header=BB14_3 Depth=1
	v_mul_f32_e32 v25, v21, v21
	v_fmaak_f32 v26, s43, v25, 0x3ca908c9
	v_fmaak_f32 v26, v25, v26, 0xbd5c1c4e
	;; [unrolled: 1-line block ×4, first 2 shown]
	v_mul_f32_e64 v26, |v21|, v26
	v_fma_f32 v25, v25, v26, |v21|
	s_branch .LBB14_2
.LBB14_18:
	s_endpgm
	.section	.rodata,"a",@progbits
	.p2align	6, 0x0
	.amdhsa_kernel _ZN2at6native12_GLOBAL__N_16kernel17lstm_cell_forwardIN3c108BFloat16EflLi1EEEvNS_4cuda6detail10TensorInfoIT_T1_EESB_SB_SB_SB_SB_SB_SB_SA_SA_
		.amdhsa_group_segment_fixed_size 0
		.amdhsa_private_segment_fixed_size 0
		.amdhsa_kernarg_size 3600
		.amdhsa_user_sgpr_count 6
		.amdhsa_user_sgpr_private_segment_buffer 1
		.amdhsa_user_sgpr_dispatch_ptr 0
		.amdhsa_user_sgpr_queue_ptr 0
		.amdhsa_user_sgpr_kernarg_segment_ptr 1
		.amdhsa_user_sgpr_dispatch_id 0
		.amdhsa_user_sgpr_flat_scratch_init 0
		.amdhsa_user_sgpr_private_segment_size 0
		.amdhsa_wavefront_size32 1
		.amdhsa_uses_dynamic_stack 0
		.amdhsa_system_sgpr_private_segment_wavefront_offset 0
		.amdhsa_system_sgpr_workgroup_id_x 1
		.amdhsa_system_sgpr_workgroup_id_y 0
		.amdhsa_system_sgpr_workgroup_id_z 0
		.amdhsa_system_sgpr_workgroup_info 0
		.amdhsa_system_vgpr_workitem_id 0
		.amdhsa_next_free_vgpr 48
		.amdhsa_next_free_sgpr 54
		.amdhsa_reserve_vcc 1
		.amdhsa_reserve_flat_scratch 0
		.amdhsa_float_round_mode_32 0
		.amdhsa_float_round_mode_16_64 0
		.amdhsa_float_denorm_mode_32 3
		.amdhsa_float_denorm_mode_16_64 3
		.amdhsa_dx10_clamp 1
		.amdhsa_ieee_mode 1
		.amdhsa_fp16_overflow 0
		.amdhsa_workgroup_processor_mode 1
		.amdhsa_memory_ordered 1
		.amdhsa_forward_progress 1
		.amdhsa_shared_vgpr_count 0
		.amdhsa_exception_fp_ieee_invalid_op 0
		.amdhsa_exception_fp_denorm_src 0
		.amdhsa_exception_fp_ieee_div_zero 0
		.amdhsa_exception_fp_ieee_overflow 0
		.amdhsa_exception_fp_ieee_underflow 0
		.amdhsa_exception_fp_ieee_inexact 0
		.amdhsa_exception_int_div_zero 0
	.end_amdhsa_kernel
	.section	.text._ZN2at6native12_GLOBAL__N_16kernel17lstm_cell_forwardIN3c108BFloat16EflLi1EEEvNS_4cuda6detail10TensorInfoIT_T1_EESB_SB_SB_SB_SB_SB_SB_SA_SA_,"axG",@progbits,_ZN2at6native12_GLOBAL__N_16kernel17lstm_cell_forwardIN3c108BFloat16EflLi1EEEvNS_4cuda6detail10TensorInfoIT_T1_EESB_SB_SB_SB_SB_SB_SB_SA_SA_,comdat
.Lfunc_end14:
	.size	_ZN2at6native12_GLOBAL__N_16kernel17lstm_cell_forwardIN3c108BFloat16EflLi1EEEvNS_4cuda6detail10TensorInfoIT_T1_EESB_SB_SB_SB_SB_SB_SB_SA_SA_, .Lfunc_end14-_ZN2at6native12_GLOBAL__N_16kernel17lstm_cell_forwardIN3c108BFloat16EflLi1EEEvNS_4cuda6detail10TensorInfoIT_T1_EESB_SB_SB_SB_SB_SB_SB_SA_SA_
                                        ; -- End function
	.set _ZN2at6native12_GLOBAL__N_16kernel17lstm_cell_forwardIN3c108BFloat16EflLi1EEEvNS_4cuda6detail10TensorInfoIT_T1_EESB_SB_SB_SB_SB_SB_SB_SA_SA_.num_vgpr, 48
	.set _ZN2at6native12_GLOBAL__N_16kernel17lstm_cell_forwardIN3c108BFloat16EflLi1EEEvNS_4cuda6detail10TensorInfoIT_T1_EESB_SB_SB_SB_SB_SB_SB_SA_SA_.num_agpr, 0
	.set _ZN2at6native12_GLOBAL__N_16kernel17lstm_cell_forwardIN3c108BFloat16EflLi1EEEvNS_4cuda6detail10TensorInfoIT_T1_EESB_SB_SB_SB_SB_SB_SB_SA_SA_.numbered_sgpr, 54
	.set _ZN2at6native12_GLOBAL__N_16kernel17lstm_cell_forwardIN3c108BFloat16EflLi1EEEvNS_4cuda6detail10TensorInfoIT_T1_EESB_SB_SB_SB_SB_SB_SB_SA_SA_.num_named_barrier, 0
	.set _ZN2at6native12_GLOBAL__N_16kernel17lstm_cell_forwardIN3c108BFloat16EflLi1EEEvNS_4cuda6detail10TensorInfoIT_T1_EESB_SB_SB_SB_SB_SB_SB_SA_SA_.private_seg_size, 0
	.set _ZN2at6native12_GLOBAL__N_16kernel17lstm_cell_forwardIN3c108BFloat16EflLi1EEEvNS_4cuda6detail10TensorInfoIT_T1_EESB_SB_SB_SB_SB_SB_SB_SA_SA_.uses_vcc, 1
	.set _ZN2at6native12_GLOBAL__N_16kernel17lstm_cell_forwardIN3c108BFloat16EflLi1EEEvNS_4cuda6detail10TensorInfoIT_T1_EESB_SB_SB_SB_SB_SB_SB_SA_SA_.uses_flat_scratch, 0
	.set _ZN2at6native12_GLOBAL__N_16kernel17lstm_cell_forwardIN3c108BFloat16EflLi1EEEvNS_4cuda6detail10TensorInfoIT_T1_EESB_SB_SB_SB_SB_SB_SB_SA_SA_.has_dyn_sized_stack, 0
	.set _ZN2at6native12_GLOBAL__N_16kernel17lstm_cell_forwardIN3c108BFloat16EflLi1EEEvNS_4cuda6detail10TensorInfoIT_T1_EESB_SB_SB_SB_SB_SB_SB_SA_SA_.has_recursion, 0
	.set _ZN2at6native12_GLOBAL__N_16kernel17lstm_cell_forwardIN3c108BFloat16EflLi1EEEvNS_4cuda6detail10TensorInfoIT_T1_EESB_SB_SB_SB_SB_SB_SB_SA_SA_.has_indirect_call, 0
	.section	.AMDGPU.csdata,"",@progbits
; Kernel info:
; codeLenInByte = 4380
; TotalNumSgprs: 56
; NumVgprs: 48
; ScratchSize: 0
; MemoryBound: 0
; FloatMode: 240
; IeeeMode: 1
; LDSByteSize: 0 bytes/workgroup (compile time only)
; SGPRBlocks: 0
; VGPRBlocks: 5
; NumSGPRsForWavesPerEU: 56
; NumVGPRsForWavesPerEU: 48
; Occupancy: 16
; WaveLimiterHint : 1
; COMPUTE_PGM_RSRC2:SCRATCH_EN: 0
; COMPUTE_PGM_RSRC2:USER_SGPR: 6
; COMPUTE_PGM_RSRC2:TRAP_HANDLER: 0
; COMPUTE_PGM_RSRC2:TGID_X_EN: 1
; COMPUTE_PGM_RSRC2:TGID_Y_EN: 0
; COMPUTE_PGM_RSRC2:TGID_Z_EN: 0
; COMPUTE_PGM_RSRC2:TIDIG_COMP_CNT: 0
	.section	.text._ZN2at6native12_GLOBAL__N_16kernel17lstm_cell_forwardIN3c108BFloat16EflLi2EEEvNS_4cuda6detail10TensorInfoIT_T1_EESB_SB_SB_SB_SB_SB_SB_SA_SA_,"axG",@progbits,_ZN2at6native12_GLOBAL__N_16kernel17lstm_cell_forwardIN3c108BFloat16EflLi2EEEvNS_4cuda6detail10TensorInfoIT_T1_EESB_SB_SB_SB_SB_SB_SB_SA_SA_,comdat
	.globl	_ZN2at6native12_GLOBAL__N_16kernel17lstm_cell_forwardIN3c108BFloat16EflLi2EEEvNS_4cuda6detail10TensorInfoIT_T1_EESB_SB_SB_SB_SB_SB_SB_SA_SA_ ; -- Begin function _ZN2at6native12_GLOBAL__N_16kernel17lstm_cell_forwardIN3c108BFloat16EflLi2EEEvNS_4cuda6detail10TensorInfoIT_T1_EESB_SB_SB_SB_SB_SB_SB_SA_SA_
	.p2align	8
	.type	_ZN2at6native12_GLOBAL__N_16kernel17lstm_cell_forwardIN3c108BFloat16EflLi2EEEvNS_4cuda6detail10TensorInfoIT_T1_EESB_SB_SB_SB_SB_SB_SB_SA_SA_,@function
_ZN2at6native12_GLOBAL__N_16kernel17lstm_cell_forwardIN3c108BFloat16EflLi2EEEvNS_4cuda6detail10TensorInfoIT_T1_EESB_SB_SB_SB_SB_SB_SB_SA_SA_: ; @_ZN2at6native12_GLOBAL__N_16kernel17lstm_cell_forwardIN3c108BFloat16EflLi2EEEvNS_4cuda6detail10TensorInfoIT_T1_EESB_SB_SB_SB_SB_SB_SB_SA_SA_
; %bb.0:
	s_clause 0x1
	s_load_dword s2, s[4:5], 0xd1c
	s_load_dwordx4 s[8:11], s[4:5], 0xd00
	v_mov_b32_e32 v1, 0
	s_add_u32 s0, s4, 0xd10
	s_addc_u32 s1, s5, 0
	s_waitcnt lgkmcnt(0)
	s_and_b32 s64, s2, 0xffff
	s_mov_b32 s2, exec_lo
	v_mad_u64_u32 v[3:4], null, s6, s64, v[0:1]
	v_mov_b32_e32 v4, v1
	v_cmpx_gt_i64_e64 s[10:11], v[3:4]
	s_cbranch_execz .LBB15_78
; %bb.1:
	v_cvt_f32_u32_e32 v0, s8
	s_clause 0x6
	s_load_dwordx2 s[2:3], s[4:5], 0x0
	s_load_dwordx2 s[34:35], s[4:5], 0x10
	s_load_dwordx4 s[12:15], s[4:5], 0xd0
	s_load_dwordx2 s[36:37], s[4:5], 0x1a0
	s_load_dwordx2 s[38:39], s[4:5], 0x340
	;; [unrolled: 1-line block ×3, first 2 shown]
	s_load_dwordx4 s[16:19], s[4:5], 0x270
	s_load_dword s0, s[0:1], 0x0
	s_clause 0xe
	s_load_dwordx2 s[42:43], s[4:5], 0x410
	s_load_dwordx2 s[44:45], s[4:5], 0x4e0
	;; [unrolled: 1-line block ×5, first 2 shown]
	s_load_dwordx4 s[20:23], s[4:5], 0x750
	s_load_dwordx2 s[52:53], s[4:5], 0x820
	s_load_dwordx2 s[54:55], s[4:5], 0x830
	s_load_dwordx4 s[24:27], s[4:5], 0x8f0
	s_load_dwordx2 s[56:57], s[4:5], 0x9c0
	s_load_dwordx2 s[58:59], s[4:5], 0x9d0
	;; [unrolled: 3-line block ×3, first 2 shown]
	s_load_dwordx4 s[4:7], s[4:5], 0xc30
	s_mul_hi_u32 s1, s8, 3
	v_mov_b32_e32 v27, 0x7fc0
	v_rcp_iflag_f32_e32 v0, v0
	s_mov_b32 s69, 0
	s_waitcnt lgkmcnt(0)
	s_cmp_lg_u64 s[38:39], 0
	s_mul_i32 s71, s8, 3
	s_cselect_b32 s33, -1, 0
	s_mul_i32 s68, s0, s64
	s_mul_i32 s0, s9, 3
	s_mov_b32 s80, 0xbbbac73d
	s_add_i32 s70, s1, s0
	s_sub_u32 s72, 0, s8
	v_mul_f32_e32 v0, 0x4f7ffffe, v0
	s_subb_u32 s73, 0, s9
	s_sub_u32 s74, 0, s50
	s_subb_u32 s75, 0, s51
	s_sub_u32 s76, 0, s54
	v_cvt_u32_f32_e32 v0, v0
	s_subb_u32 s77, 0, s55
	s_sub_u32 s78, 0, s58
	s_subb_u32 s79, 0, s59
	s_branch .LBB15_3
.LBB15_2:                               ;   in Loop: Header=BB15_3 Depth=1
	s_or_b32 exec_lo, exec_lo, s0
	v_lshlrev_b32_e32 v30, 16, v32
	v_lshlrev_b32_e32 v31, 16, v38
	v_mul_lo_u32 v40, s79, v25
	v_mul_lo_u32 v41, v26, s28
	v_mul_lo_u32 v42, v25, s29
	v_mul_lo_u32 v43, s76, v24
	v_add_f32_e32 v30, v30, v31
	v_mul_lo_u32 v44, s77, v23
	v_mul_lo_u32 v51, v20, s62
	v_mul_lo_u32 v52, v19, s63
	v_mul_lo_u32 v47, v22, s62
	v_add_f32_e32 v30, v30, v39
	;; [unrolled: 5-line block ×3, first 2 shown]
	v_mad_u64_u32 v[30:31], null, s78, v25, v[3:4]
	v_mad_u64_u32 v[25:26], null, v25, s28, 0
	v_mul_f32_e32 v32, 0xbfb8aa3b, v38
	v_cmp_nlt_f32_e32 vcc_lo, 0x42ce8ed0, v38
	v_mul_lo_u32 v45, v24, s24
	v_mul_lo_u32 v46, v23, s25
	v_add3_u32 v39, v40, v31, v39
	v_fma_f32 v34, 0xbfb8aa3b, v38, -v32
	v_rndne_f32_e32 v35, v32
	v_add3_u32 v26, v26, v42, v41
	v_mul_lo_u32 v40, v30, s31
	v_mad_u64_u32 v[30:31], null, v30, s30, 0
	v_fmac_f32_e32 v34, 0xb2a5705f, v38
	v_sub_f32_e32 v36, v32, v35
	v_cvt_i32_f32_e32 v37, v35
	v_mad_u64_u32 v[32:33], null, s76, v23, v[3:4]
	v_mad_u64_u32 v[23:24], null, v23, s24, 0
	v_add_f32_e32 v34, v36, v34
	v_mul_lo_u32 v39, v39, s30
	v_lshlrev_b64 v[25:26], 1, v[25:26]
	v_add3_u32 v41, v44, v33, v43
	v_exp_f32_e32 v36, v34
	v_mad_u64_u32 v[34:35], null, v21, s62, 0
	v_mad_u64_u32 v[21:22], null, v21, s4, 0
	v_add3_u32 v24, v24, v46, v45
	v_mul_lo_u32 v42, v32, s27
	v_mad_u64_u32 v[32:33], null, v32, s26, 0
	v_add3_u32 v35, v35, v48, v47
	v_ldexp_f32 v36, v36, v37
	v_add3_u32 v22, v22, v50, v49
	v_mul_lo_u32 v41, v41, s26
	v_lshlrev_b64 v[23:24], 1, v[23:24]
	v_add3_u32 v31, v31, v40, v39
	v_cndmask_b32_e32 v53, 0, v36, vcc_lo
	v_cmp_ngt_f32_e32 vcc_lo, 0xc2b17218, v38
	v_mad_u64_u32 v[36:37], null, v19, s62, 0
	v_add3_u32 v33, v33, v42, v41
	v_cndmask_b32_e32 v38, 0x7f800000, v53, vcc_lo
	v_sub_co_u32 v13, vcc_lo, v13, v34
	v_sub_co_ci_u32_e64 v35, null, v14, v35, vcc_lo
	v_add_f32_e32 v38, 1.0, v38
	v_add3_u32 v34, v37, v52, v51
	v_add_co_u32 v44, vcc_lo, v3, v13
	v_lshlrev_b64 v[13:14], 1, v[21:22]
	v_div_scale_f32 v43, null, v38, v38, 1.0
	v_sub_co_u32 v36, s0, v11, v36
	v_sub_co_ci_u32_e64 v34, null, v12, v34, s0
	v_rcp_f32_e32 v37, v43
	v_div_scale_f32 v45, s0, 1.0, v38, 1.0
	v_mad_u64_u32 v[11:12], null, v44, s6, 0
	v_fma_f32 v21, -v43, v37, 1.0
	v_fmac_f32_e32 v37, v21, v37
	v_add_co_ci_u32_e64 v21, null, v4, v35, vcc_lo
	v_mul_lo_u32 v35, v44, s7
	v_add_co_u32 v25, vcc_lo, s56, v25
	v_mul_f32_e32 v44, v45, v37
	v_mul_lo_u32 v40, v21, s6
	v_lshlrev_b64 v[21:22], 1, v[30:31]
	v_add_co_ci_u32_e64 v26, null, s57, v26, vcc_lo
	v_fma_f32 v39, -v43, v44, v45
	v_add_co_u32 v23, vcc_lo, s52, v23
	v_add_co_ci_u32_e64 v24, null, s53, v24, vcc_lo
	v_fmac_f32_e32 v44, v39, v37
	v_add_co_u32 v30, vcc_lo, s60, v13
	v_add_co_ci_u32_e64 v31, null, s61, v14, vcc_lo
	v_lshlrev_b64 v[13:14], 1, v[32:33]
	v_fma_f32 v32, -v43, v44, v45
	v_add_co_u32 v21, vcc_lo, v25, v21
	v_add_co_ci_u32_e64 v22, null, v26, v22, vcc_lo
	s_mov_b32 vcc_lo, s0
	v_mul_lo_u32 v33, v18, s62
	v_div_fmas_f32 v25, v32, v37, v44
	v_add_co_u32 v13, vcc_lo, v23, v13
	v_add_co_ci_u32_e64 v14, null, v24, v14, vcc_lo
	v_div_fixup_f32 v26, v25, v38, 1.0
	v_add_co_u32 v25, vcc_lo, v3, v36
	v_add_co_ci_u32_e64 v32, null, v4, v34, vcc_lo
	v_mul_lo_u32 v34, v17, s63
	v_mad_u64_u32 v[23:24], null, v17, s62, 0
	v_add3_u32 v12, v12, v35, v40
	v_mul_lo_u32 v36, v20, s4
	v_mul_lo_u32 v37, v19, s5
	v_mad_u64_u32 v[19:20], null, v19, s4, 0
	v_lshlrev_b64 v[11:12], 1, v[11:12]
	v_add3_u32 v33, v24, v34, v33
	v_sub_co_u32 v7, vcc_lo, v7, v23
	v_mul_lo_u32 v32, v32, s6
	v_mul_lo_u32 v35, v25, s7
	v_sub_co_ci_u32_e64 v8, null, v8, v33, vcc_lo
	v_mad_u64_u32 v[24:25], null, v25, s6, 0
	v_add_co_u32 v23, vcc_lo, v3, v7
	v_add3_u32 v20, v20, v37, v36
	v_add_co_ci_u32_e64 v33, null, v4, v8, vcc_lo
	v_add_co_u32 v7, vcc_lo, v30, v11
	v_add_co_ci_u32_e64 v8, null, v31, v12, vcc_lo
	v_add3_u32 v25, v25, v35, v32
	v_lshlrev_b64 v[11:12], 1, v[19:20]
	v_mul_lo_u32 v32, v33, s6
	v_mul_lo_u32 v33, v23, s7
	v_mad_u64_u32 v[19:20], null, v23, s6, 0
	v_mul_lo_u32 v23, v16, s62
	v_mul_lo_u32 v34, v15, s63
	v_mad_u64_u32 v[30:31], null, v15, s62, 0
	v_add_co_u32 v35, vcc_lo, s60, v11
	v_add_co_ci_u32_e64 v36, null, s61, v12, vcc_lo
	v_mul_lo_u32 v37, v18, s4
	v_mul_lo_u32 v38, v17, s5
	v_add3_u32 v23, v31, v34, v23
	v_mad_u64_u32 v[11:12], null, v17, s4, 0
	v_sub_co_u32 v5, vcc_lo, v5, v30
	v_sub_co_ci_u32_e64 v6, null, v6, v23, vcc_lo
	v_lshlrev_b64 v[17:18], 1, v[24:25]
	v_add_co_u32 v23, vcc_lo, v3, v5
	v_add3_u32 v12, v12, v38, v37
	v_add_co_ci_u32_e64 v24, null, v4, v6, vcc_lo
	v_mul_lo_u32 v25, v16, s4
	v_mul_lo_u32 v30, v15, s5
	v_mad_u64_u32 v[5:6], null, v15, s4, 0
	v_add3_u32 v20, v20, v33, v32
	v_add_co_u32 v15, vcc_lo, v35, v17
	v_lshlrev_b64 v[11:12], 1, v[11:12]
	v_add_co_ci_u32_e64 v16, null, v36, v18, vcc_lo
	v_lshlrev_b64 v[17:18], 1, v[19:20]
	v_mul_lo_u32 v31, v23, s7
	v_mad_u64_u32 v[19:20], null, v23, s6, 0
	v_bfi_b32 v23, 0x7fffffff, v29, v28
	v_add3_u32 v6, v6, v30, v25
	v_mul_lo_u32 v24, v24, s6
	v_add_co_u32 v11, vcc_lo, s60, v11
	v_mul_f32_e32 v23, v26, v23
	v_lshlrev_b64 v[5:6], 1, v[5:6]
	v_add_co_ci_u32_e64 v12, null, s61, v12, vcc_lo
	v_add_co_u32 v11, vcc_lo, v11, v17
	v_bfe_u32 v17, v23, 16, 1
	v_add_co_ci_u32_e64 v12, null, v12, v18, vcc_lo
	v_add3_u32 v20, v20, v31, v24
	v_add_co_u32 v18, vcc_lo, s60, v5
	v_bfe_u32 v25, v28, 16, 1
	v_add_co_ci_u32_e64 v24, null, s61, v6, vcc_lo
	v_cmp_o_f32_e32 vcc_lo, v23, v23
	v_add3_u32 v17, v23, v17, 0x7fff
	v_cmp_o_f32_e64 s0, v28, v28
	v_lshlrev_b64 v[5:6], 1, v[19:20]
	v_add3_u32 v19, v28, v25, 0x7fff
	v_bfe_u32 v20, v10, 16, 1
	v_cndmask_b32_sdwa v17, v27, v17, vcc_lo dst_sel:DWORD dst_unused:UNUSED_PAD src0_sel:DWORD src1_sel:WORD_1
	s_mov_b32 vcc_lo, s0
	v_cmp_o_f32_e64 s0, v9, v9
	v_cndmask_b32_sdwa v19, v27, v19, vcc_lo dst_sel:DWORD dst_unused:UNUSED_PAD src0_sel:DWORD src1_sel:WORD_1
	v_add_co_u32 v5, vcc_lo, v18, v5
	global_store_short v[13:14], v17, off
	v_bfe_u32 v13, v9, 16, 1
	v_add_co_ci_u32_e64 v6, null, v24, v6, vcc_lo
	v_cmp_o_f32_e32 vcc_lo, v10, v10
	v_add3_u32 v10, v10, v20, 0x7fff
	v_add3_u32 v9, v9, v13, 0x7fff
	v_bfe_u32 v13, v2, 16, 1
	v_bfe_u32 v14, v26, 16, 1
	global_store_short v[21:22], v19, off
	v_cndmask_b32_sdwa v10, v27, v10, vcc_lo dst_sel:DWORD dst_unused:UNUSED_PAD src0_sel:DWORD src1_sel:WORD_1
	s_mov_b32 vcc_lo, s0
	v_add_co_u32 v3, s0, v3, s68
	v_add_co_ci_u32_e64 v4, null, 0, v4, s0
	v_cndmask_b32_sdwa v9, v27, v9, vcc_lo dst_sel:DWORD dst_unused:UNUSED_PAD src0_sel:DWORD src1_sel:WORD_1
	v_add3_u32 v13, v2, v13, 0x7fff
	v_cmp_o_f32_e32 vcc_lo, v2, v2
	v_cmp_o_f32_e64 s0, v26, v26
	v_add3_u32 v2, v26, v14, 0x7fff
	v_cmp_le_i64_e64 s1, s[10:11], v[3:4]
	global_store_short v[5:6], v10, off
	global_store_short v[11:12], v9, off
	v_cndmask_b32_sdwa v13, v27, v13, vcc_lo dst_sel:DWORD dst_unused:UNUSED_PAD src0_sel:DWORD src1_sel:WORD_1
	s_mov_b32 vcc_lo, s0
	v_cndmask_b32_sdwa v2, v27, v2, vcc_lo dst_sel:DWORD dst_unused:UNUSED_PAD src0_sel:DWORD src1_sel:WORD_1
	s_or_b32 s69, s1, s69
	global_store_short v[15:16], v13, off
	global_store_short v[7:8], v2, off
	s_andn2_b32 exec_lo, exec_lo, s69
	s_cbranch_execz .LBB15_78
.LBB15_3:                               ; =>This Inner Loop Header: Depth=1
	v_or_b32_e32 v2, s9, v4
	v_ashrrev_i32_e32 v28, 31, v4
                                        ; implicit-def: $vgpr9_vgpr10
	s_mov_b32 s0, exec_lo
	v_cmpx_ne_u64_e32 0, v[1:2]
	s_xor_b32 s1, exec_lo, s0
	s_cbranch_execz .LBB15_5
; %bb.4:                                ;   in Loop: Header=BB15_3 Depth=1
	s_ashr_i32 s64, s9, 31
	v_add_co_u32 v6, vcc_lo, v3, v28
	s_add_u32 s66, s8, s64
	s_mov_b32 s65, s64
	s_addc_u32 s67, s9, s64
	v_add_co_ci_u32_e64 v7, null, v4, v28, vcc_lo
	s_xor_b64 s[66:67], s[66:67], s[64:65]
	v_cvt_f32_u32_e32 v2, s66
	v_cvt_f32_u32_e32 v5, s67
	s_sub_u32 s81, 0, s66
	s_subb_u32 s82, 0, s67
	v_xor_b32_e32 v11, v7, v28
	v_fmac_f32_e32 v2, 0x4f800000, v5
	v_rcp_f32_e32 v2, v2
	v_mul_f32_e32 v2, 0x5f7ffffc, v2
	v_mul_f32_e32 v5, 0x2f800000, v2
	v_trunc_f32_e32 v5, v5
	v_fmac_f32_e32 v2, 0xcf800000, v5
	v_cvt_u32_f32_e32 v5, v5
	v_cvt_u32_f32_e32 v2, v2
	v_readfirstlane_b32 s0, v5
	v_readfirstlane_b32 s65, v2
	s_mul_i32 s83, s81, s0
	v_xor_b32_e32 v2, v6, v28
	s_mul_hi_u32 s85, s81, s65
	s_mul_i32 s84, s82, s65
	s_add_i32 s83, s85, s83
	s_mul_i32 s86, s81, s65
	s_add_i32 s83, s83, s84
	s_mul_hi_u32 s85, s65, s86
	s_mul_i32 s88, s65, s83
	s_mul_hi_u32 s87, s0, s86
	s_mul_i32 s84, s0, s86
	s_mul_hi_u32 s86, s65, s83
	s_add_u32 s85, s85, s88
	s_addc_u32 s86, 0, s86
	s_mul_hi_u32 s89, s0, s83
	s_add_u32 s84, s85, s84
	s_mul_i32 s83, s0, s83
	s_addc_u32 s84, s86, s87
	s_addc_u32 s85, s89, 0
	s_add_u32 s83, s84, s83
	s_addc_u32 s84, 0, s85
	s_add_u32 s65, s65, s83
	s_cselect_b32 s83, -1, 0
	s_mul_hi_u32 s85, s81, s65
	s_cmp_lg_u32 s83, 0
	s_mul_i32 s83, s81, s65
	s_addc_u32 s0, s0, s84
	s_mul_i32 s82, s82, s65
	s_mul_i32 s81, s81, s0
	s_mul_hi_u32 s84, s65, s83
	s_add_i32 s81, s85, s81
	s_mul_hi_u32 s85, s0, s83
	s_add_i32 s81, s81, s82
	s_mul_i32 s82, s0, s83
	s_mul_i32 s87, s65, s81
	s_mul_hi_u32 s86, s65, s81
	s_add_u32 s84, s84, s87
	s_addc_u32 s86, 0, s86
	s_mul_hi_u32 s83, s0, s81
	s_add_u32 s82, s84, s82
	s_mul_i32 s81, s0, s81
	s_addc_u32 s82, s86, s85
	s_addc_u32 s83, s83, 0
	s_add_u32 s81, s82, s81
	s_addc_u32 s82, 0, s83
	s_add_u32 s65, s65, s81
	s_cselect_b32 s81, -1, 0
	v_mul_hi_u32 v12, v2, s65
	s_cmp_lg_u32 s81, 0
	v_mad_u64_u32 v[7:8], null, v11, s65, 0
	s_addc_u32 s0, s0, s82
	v_mad_u64_u32 v[5:6], null, v2, s0, 0
	v_mad_u64_u32 v[9:10], null, v11, s0, 0
	v_add_co_u32 v5, vcc_lo, v12, v5
	v_add_co_ci_u32_e64 v6, null, 0, v6, vcc_lo
	v_add_co_u32 v5, vcc_lo, v5, v7
	v_add_co_ci_u32_e32 v5, vcc_lo, v6, v8, vcc_lo
	v_add_co_ci_u32_e32 v6, vcc_lo, 0, v10, vcc_lo
	v_add_co_u32 v7, vcc_lo, v5, v9
	v_add_co_ci_u32_e64 v8, null, 0, v6, vcc_lo
	v_mul_lo_u32 v9, s67, v7
	v_mad_u64_u32 v[5:6], null, s66, v7, 0
	v_mul_lo_u32 v10, s66, v8
	v_sub_co_u32 v2, vcc_lo, v2, v5
	v_add3_u32 v6, v6, v10, v9
	v_sub_nc_u32_e32 v9, v11, v6
	v_sub_co_ci_u32_e64 v6, null, v11, v6, vcc_lo
	v_subrev_co_ci_u32_e64 v5, null, s67, v9, vcc_lo
	v_add_co_u32 v9, s0, v7, 2
	v_add_co_ci_u32_e64 v10, null, 0, v8, s0
	v_sub_co_u32 v12, s0, v2, s66
	v_subrev_co_ci_u32_e64 v5, null, 0, v5, s0
	v_cmp_le_u32_e32 vcc_lo, s66, v12
	v_cndmask_b32_e64 v11, 0, -1, vcc_lo
	v_cmp_le_u32_e32 vcc_lo, s67, v5
	v_cndmask_b32_e64 v12, 0, -1, vcc_lo
	;; [unrolled: 2-line block ×4, first 2 shown]
	v_cmp_eq_u32_e32 vcc_lo, s67, v5
	v_cndmask_b32_e32 v5, v12, v11, vcc_lo
	v_add_co_u32 v11, vcc_lo, v7, 1
	v_add_co_ci_u32_e64 v12, null, 0, v8, vcc_lo
	v_cmp_eq_u32_e32 vcc_lo, s67, v6
	v_xor_b32_e32 v6, s64, v28
	v_cndmask_b32_e32 v2, v13, v2, vcc_lo
	v_cmp_ne_u32_e32 vcc_lo, 0, v5
	v_cmp_ne_u32_e64 s0, 0, v2
	v_cndmask_b32_e32 v2, v11, v9, vcc_lo
	v_cndmask_b32_e32 v5, v12, v10, vcc_lo
	v_cndmask_b32_e64 v2, v7, v2, s0
	v_cndmask_b32_e64 v5, v8, v5, s0
	v_xor_b32_e32 v2, v2, v6
	v_xor_b32_e32 v5, v5, v6
	v_sub_co_u32 v9, vcc_lo, v2, v6
	v_sub_co_ci_u32_e64 v10, null, v5, v6, vcc_lo
.LBB15_5:                               ;   in Loop: Header=BB15_3 Depth=1
	s_andn2_saveexec_b32 s0, s1
	s_cbranch_execz .LBB15_7
; %bb.6:                                ;   in Loop: Header=BB15_3 Depth=1
	s_sub_i32 s1, 0, s8
	v_mov_b32_e32 v10, v1
	v_mul_lo_u32 v2, s1, v0
	v_mul_hi_u32 v2, v0, v2
	v_add_nc_u32_e32 v2, v0, v2
	v_mul_hi_u32 v2, v3, v2
	v_mul_lo_u32 v5, v2, s8
	v_add_nc_u32_e32 v6, 1, v2
	v_sub_nc_u32_e32 v5, v3, v5
	v_subrev_nc_u32_e32 v7, s8, v5
	v_cmp_le_u32_e32 vcc_lo, s8, v5
	v_cndmask_b32_e32 v5, v5, v7, vcc_lo
	v_cndmask_b32_e32 v2, v2, v6, vcc_lo
	v_cmp_le_u32_e32 vcc_lo, s8, v5
	v_add_nc_u32_e32 v6, 1, v2
	v_cndmask_b32_e32 v9, v2, v6, vcc_lo
.LBB15_7:                               ;   in Loop: Header=BB15_3 Depth=1
	s_or_b32 exec_lo, exec_lo, s0
	v_mul_lo_u32 v2, s70, v9
	v_mul_lo_u32 v7, s71, v10
	v_mad_u64_u32 v[5:6], null, s71, v9, 0
	s_mov_b32 s0, exec_lo
	v_add3_u32 v6, v6, v7, v2
	v_add_co_u32 v18, vcc_lo, v3, v5
                                        ; implicit-def: $vgpr7_vgpr8
	v_add_co_ci_u32_e64 v20, null, v4, v6, vcc_lo
	v_or_b32_e32 v2, s35, v20
	v_ashrrev_i32_e32 v17, 31, v20
	v_cmpx_ne_u64_e32 0, v[1:2]
	s_xor_b32 s1, exec_lo, s0
	s_cbranch_execz .LBB15_9
; %bb.8:                                ;   in Loop: Header=BB15_3 Depth=1
	s_ashr_i32 s64, s35, 31
	v_add_co_u32 v8, vcc_lo, v18, v17
	s_add_u32 s66, s34, s64
	s_mov_b32 s65, s64
	s_addc_u32 s67, s35, s64
	v_add_co_ci_u32_e64 v11, null, v20, v17, vcc_lo
	s_xor_b64 s[66:67], s[66:67], s[64:65]
	v_cvt_f32_u32_e32 v2, s66
	v_cvt_f32_u32_e32 v7, s67
	s_sub_u32 s81, 0, s66
	s_subb_u32 s82, 0, s67
	v_xor_b32_e32 v15, v11, v17
	v_fmac_f32_e32 v2, 0x4f800000, v7
	v_rcp_f32_e32 v2, v2
	v_mul_f32_e32 v2, 0x5f7ffffc, v2
	v_mul_f32_e32 v7, 0x2f800000, v2
	v_trunc_f32_e32 v7, v7
	v_fmac_f32_e32 v2, 0xcf800000, v7
	v_cvt_u32_f32_e32 v7, v7
	v_cvt_u32_f32_e32 v2, v2
	v_readfirstlane_b32 s0, v7
	v_readfirstlane_b32 s65, v2
	s_mul_i32 s83, s81, s0
	v_xor_b32_e32 v2, v8, v17
	s_mul_hi_u32 s85, s81, s65
	s_mul_i32 s84, s82, s65
	s_add_i32 s83, s85, s83
	s_mul_i32 s86, s81, s65
	s_add_i32 s83, s83, s84
	s_mul_hi_u32 s85, s65, s86
	s_mul_i32 s88, s65, s83
	s_mul_hi_u32 s87, s0, s86
	s_mul_i32 s84, s0, s86
	s_mul_hi_u32 s86, s65, s83
	s_add_u32 s85, s85, s88
	s_addc_u32 s86, 0, s86
	s_mul_hi_u32 s89, s0, s83
	s_add_u32 s84, s85, s84
	s_mul_i32 s83, s0, s83
	s_addc_u32 s84, s86, s87
	s_addc_u32 s85, s89, 0
	s_add_u32 s83, s84, s83
	s_addc_u32 s84, 0, s85
	s_add_u32 s65, s65, s83
	s_cselect_b32 s83, -1, 0
	s_mul_hi_u32 s85, s81, s65
	s_cmp_lg_u32 s83, 0
	s_mul_i32 s83, s81, s65
	s_addc_u32 s0, s0, s84
	s_mul_i32 s82, s82, s65
	s_mul_i32 s81, s81, s0
	s_mul_hi_u32 s84, s65, s83
	s_add_i32 s81, s85, s81
	s_mul_hi_u32 s85, s0, s83
	s_add_i32 s81, s81, s82
	s_mul_i32 s82, s0, s83
	s_mul_i32 s87, s65, s81
	s_mul_hi_u32 s86, s65, s81
	s_add_u32 s84, s84, s87
	s_addc_u32 s86, 0, s86
	s_mul_hi_u32 s83, s0, s81
	s_add_u32 s82, s84, s82
	s_mul_i32 s81, s0, s81
	s_addc_u32 s82, s86, s85
	s_addc_u32 s83, s83, 0
	s_add_u32 s81, s82, s81
	s_addc_u32 s82, 0, s83
	s_add_u32 s65, s65, s81
	s_cselect_b32 s81, -1, 0
	v_mul_hi_u32 v16, v2, s65
	s_cmp_lg_u32 s81, 0
	v_mad_u64_u32 v[11:12], null, v15, s65, 0
	s_addc_u32 s0, s0, s82
	v_mad_u64_u32 v[7:8], null, v2, s0, 0
	v_mad_u64_u32 v[13:14], null, v15, s0, 0
	v_add_co_u32 v7, vcc_lo, v16, v7
	v_add_co_ci_u32_e64 v8, null, 0, v8, vcc_lo
	v_add_co_u32 v7, vcc_lo, v7, v11
	v_add_co_ci_u32_e32 v7, vcc_lo, v8, v12, vcc_lo
	v_add_co_ci_u32_e32 v8, vcc_lo, 0, v14, vcc_lo
	v_add_co_u32 v11, vcc_lo, v7, v13
	v_add_co_ci_u32_e64 v12, null, 0, v8, vcc_lo
	v_mul_lo_u32 v13, s67, v11
	v_mad_u64_u32 v[7:8], null, s66, v11, 0
	v_mul_lo_u32 v14, s66, v12
	v_sub_co_u32 v2, vcc_lo, v2, v7
	v_add3_u32 v8, v8, v14, v13
	v_sub_nc_u32_e32 v13, v15, v8
	v_sub_co_ci_u32_e64 v8, null, v15, v8, vcc_lo
	v_subrev_co_ci_u32_e64 v7, null, s67, v13, vcc_lo
	v_add_co_u32 v13, s0, v11, 2
	v_add_co_ci_u32_e64 v14, null, 0, v12, s0
	v_sub_co_u32 v16, s0, v2, s66
	v_subrev_co_ci_u32_e64 v7, null, 0, v7, s0
	v_cmp_le_u32_e32 vcc_lo, s66, v16
	v_cndmask_b32_e64 v15, 0, -1, vcc_lo
	v_cmp_le_u32_e32 vcc_lo, s67, v7
	v_cndmask_b32_e64 v16, 0, -1, vcc_lo
	;; [unrolled: 2-line block ×4, first 2 shown]
	v_cmp_eq_u32_e32 vcc_lo, s67, v7
	v_cndmask_b32_e32 v7, v16, v15, vcc_lo
	v_add_co_u32 v15, vcc_lo, v11, 1
	v_add_co_ci_u32_e64 v16, null, 0, v12, vcc_lo
	v_cmp_eq_u32_e32 vcc_lo, s67, v8
	v_xor_b32_e32 v8, s64, v17
	v_cndmask_b32_e32 v2, v19, v2, vcc_lo
	v_cmp_ne_u32_e32 vcc_lo, 0, v7
	v_cmp_ne_u32_e64 s0, 0, v2
	v_cndmask_b32_e32 v2, v15, v13, vcc_lo
	v_cndmask_b32_e32 v7, v16, v14, vcc_lo
	v_cndmask_b32_e64 v2, v11, v2, s0
	v_cndmask_b32_e64 v7, v12, v7, s0
	v_xor_b32_e32 v2, v2, v8
	v_xor_b32_e32 v11, v7, v8
	v_sub_co_u32 v7, vcc_lo, v2, v8
	v_sub_co_ci_u32_e64 v8, null, v11, v8, vcc_lo
.LBB15_9:                               ;   in Loop: Header=BB15_3 Depth=1
	s_or_saveexec_b32 s0, s1
	v_cvt_f32_u32_e32 v32, s34
	s_xor_b32 exec_lo, exec_lo, s0
	s_cbranch_execz .LBB15_11
; %bb.10:                               ;   in Loop: Header=BB15_3 Depth=1
	v_rcp_iflag_f32_e32 v2, v32
	s_sub_i32 s1, 0, s34
	v_mul_f32_e32 v2, 0x4f7ffffe, v2
	v_cvt_u32_f32_e32 v2, v2
	v_mul_lo_u32 v7, s1, v2
	v_mul_hi_u32 v7, v2, v7
	v_add_nc_u32_e32 v2, v2, v7
	v_mul_hi_u32 v2, v18, v2
	v_mul_lo_u32 v7, v2, s34
	v_add_nc_u32_e32 v8, 1, v2
	v_sub_nc_u32_e32 v7, v18, v7
	v_subrev_nc_u32_e32 v11, s34, v7
	v_cmp_le_u32_e32 vcc_lo, s34, v7
	v_cndmask_b32_e32 v7, v7, v11, vcc_lo
	v_cndmask_b32_e32 v2, v2, v8, vcc_lo
	v_cmp_le_u32_e32 vcc_lo, s34, v7
	v_add_nc_u32_e32 v8, 1, v2
	v_cndmask_b32_e32 v7, v2, v8, vcc_lo
	v_mov_b32_e32 v8, v1
.LBB15_11:                              ;   in Loop: Header=BB15_3 Depth=1
	s_or_b32 exec_lo, exec_lo, s0
	v_mul_lo_u32 v2, v8, s34
	v_mul_lo_u32 v13, v7, s35
	v_mad_u64_u32 v[11:12], null, v7, s34, 0
	v_mul_lo_u32 v14, v7, s13
	s_mov_b32 s0, exec_lo
	v_add3_u32 v2, v12, v13, v2
	v_mul_lo_u32 v13, v8, s12
	v_sub_co_u32 v8, vcc_lo, v5, v11
	v_sub_co_ci_u32_e64 v2, null, v6, v2, vcc_lo
	v_add_co_u32 v11, vcc_lo, v3, v8
	v_mad_u64_u32 v[7:8], null, v7, s12, 0
	v_add_co_ci_u32_e64 v2, null, v4, v2, vcc_lo
	v_mul_lo_u32 v15, v11, s15
	v_mad_u64_u32 v[11:12], null, v11, s14, 0
	v_mul_lo_u32 v2, v2, s14
	v_add3_u32 v8, v8, v14, v13
	v_mad_u64_u32 v[13:14], null, v9, 3, 0
	v_lshlrev_b64 v[7:8], 1, v[7:8]
	v_add3_u32 v12, v12, v15, v2
	v_add_co_u32 v2, vcc_lo, s2, v7
	v_lshlrev_b64 v[11:12], 1, v[11:12]
	v_add_co_ci_u32_e64 v8, null, s3, v8, vcc_lo
	v_add_co_u32 v7, vcc_lo, v2, v11
	v_add_co_ci_u32_e64 v8, null, v8, v12, vcc_lo
	v_mov_b32_e32 v2, v14
	global_load_ushort v29, v[7:8], off
	v_mad_u64_u32 v[7:8], null, s8, v13, s[8:9]
	v_mad_u64_u32 v[14:15], null, v10, 3, v[2:3]
	v_mul_lo_u32 v2, s9, v13
	v_add_co_u32 v22, vcc_lo, v3, v7
	v_mul_lo_u32 v11, s8, v14
	v_add3_u32 v8, v2, v8, v11
                                        ; implicit-def: $vgpr11_vgpr12
	v_add_co_ci_u32_e64 v24, null, v4, v8, vcc_lo
	v_or_b32_e32 v2, s35, v24
	v_ashrrev_i32_e32 v19, 31, v24
	v_cmpx_ne_u64_e32 0, v[1:2]
	s_xor_b32 s1, exec_lo, s0
	s_cbranch_execz .LBB15_13
; %bb.12:                               ;   in Loop: Header=BB15_3 Depth=1
	s_ashr_i32 s64, s35, 31
	v_add_co_u32 v12, vcc_lo, v22, v19
	s_add_u32 s66, s34, s64
	s_mov_b32 s65, s64
	s_addc_u32 s67, s35, s64
	v_add_co_ci_u32_e64 v15, null, v24, v19, vcc_lo
	s_xor_b64 s[66:67], s[66:67], s[64:65]
	v_cvt_f32_u32_e32 v2, s66
	v_cvt_f32_u32_e32 v11, s67
	s_sub_u32 s81, 0, s66
	s_subb_u32 s82, 0, s67
	v_xor_b32_e32 v21, v15, v19
	v_fmac_f32_e32 v2, 0x4f800000, v11
	v_rcp_f32_e32 v2, v2
	v_mul_f32_e32 v2, 0x5f7ffffc, v2
	v_mul_f32_e32 v11, 0x2f800000, v2
	v_trunc_f32_e32 v11, v11
	v_fmac_f32_e32 v2, 0xcf800000, v11
	v_cvt_u32_f32_e32 v11, v11
	v_cvt_u32_f32_e32 v2, v2
	v_readfirstlane_b32 s0, v11
	v_readfirstlane_b32 s65, v2
	s_mul_i32 s83, s81, s0
	v_xor_b32_e32 v2, v12, v19
	s_mul_hi_u32 s85, s81, s65
	s_mul_i32 s84, s82, s65
	s_add_i32 s83, s85, s83
	s_mul_i32 s86, s81, s65
	s_add_i32 s83, s83, s84
	s_mul_hi_u32 s85, s65, s86
	s_mul_i32 s88, s65, s83
	s_mul_hi_u32 s87, s0, s86
	s_mul_i32 s84, s0, s86
	s_mul_hi_u32 s86, s65, s83
	s_add_u32 s85, s85, s88
	s_addc_u32 s86, 0, s86
	s_mul_hi_u32 s89, s0, s83
	s_add_u32 s84, s85, s84
	s_mul_i32 s83, s0, s83
	s_addc_u32 s84, s86, s87
	s_addc_u32 s85, s89, 0
	s_add_u32 s83, s84, s83
	s_addc_u32 s84, 0, s85
	s_add_u32 s65, s65, s83
	s_cselect_b32 s83, -1, 0
	s_mul_hi_u32 s85, s81, s65
	s_cmp_lg_u32 s83, 0
	s_mul_i32 s83, s81, s65
	s_addc_u32 s0, s0, s84
	s_mul_i32 s82, s82, s65
	s_mul_i32 s81, s81, s0
	s_mul_hi_u32 s84, s65, s83
	s_add_i32 s81, s85, s81
	s_mul_hi_u32 s85, s0, s83
	s_add_i32 s81, s81, s82
	s_mul_i32 s82, s0, s83
	s_mul_i32 s87, s65, s81
	s_mul_hi_u32 s86, s65, s81
	s_add_u32 s84, s84, s87
	s_addc_u32 s86, 0, s86
	s_mul_hi_u32 s83, s0, s81
	s_add_u32 s82, s84, s82
	s_mul_i32 s81, s0, s81
	s_addc_u32 s82, s86, s85
	s_addc_u32 s83, s83, 0
	s_add_u32 s81, s82, s81
	s_addc_u32 s82, 0, s83
	s_add_u32 s65, s65, s81
	s_cselect_b32 s81, -1, 0
	v_mul_hi_u32 v23, v2, s65
	s_cmp_lg_u32 s81, 0
	v_mad_u64_u32 v[15:16], null, v21, s65, 0
	s_addc_u32 s0, s0, s82
	v_mad_u64_u32 v[11:12], null, v2, s0, 0
	v_mad_u64_u32 v[25:26], null, v21, s0, 0
	v_add_co_u32 v11, vcc_lo, v23, v11
	v_add_co_ci_u32_e64 v12, null, 0, v12, vcc_lo
	v_add_co_u32 v11, vcc_lo, v11, v15
	v_add_co_ci_u32_e32 v11, vcc_lo, v12, v16, vcc_lo
	v_add_co_ci_u32_e32 v12, vcc_lo, 0, v26, vcc_lo
	v_add_co_u32 v15, vcc_lo, v11, v25
	v_add_co_ci_u32_e64 v16, null, 0, v12, vcc_lo
	v_mul_lo_u32 v23, s67, v15
	v_mad_u64_u32 v[11:12], null, s66, v15, 0
	v_mul_lo_u32 v25, s66, v16
	v_sub_co_u32 v2, vcc_lo, v2, v11
	v_add3_u32 v12, v12, v25, v23
	v_sub_nc_u32_e32 v23, v21, v12
	v_sub_co_ci_u32_e64 v12, null, v21, v12, vcc_lo
	v_subrev_co_ci_u32_e64 v11, null, s67, v23, vcc_lo
	v_add_co_u32 v23, s0, v15, 2
	v_add_co_ci_u32_e64 v25, null, 0, v16, s0
	v_sub_co_u32 v26, s0, v2, s66
	v_subrev_co_ci_u32_e64 v11, null, 0, v11, s0
	v_cmp_le_u32_e32 vcc_lo, s66, v26
	v_cndmask_b32_e64 v21, 0, -1, vcc_lo
	v_cmp_le_u32_e32 vcc_lo, s67, v11
	v_cndmask_b32_e64 v26, 0, -1, vcc_lo
	;; [unrolled: 2-line block ×4, first 2 shown]
	v_cmp_eq_u32_e32 vcc_lo, s67, v11
	v_cndmask_b32_e32 v11, v26, v21, vcc_lo
	v_add_co_u32 v21, vcc_lo, v15, 1
	v_add_co_ci_u32_e64 v26, null, 0, v16, vcc_lo
	v_cmp_eq_u32_e32 vcc_lo, s67, v12
	v_xor_b32_e32 v12, s64, v19
	v_cndmask_b32_e32 v2, v30, v2, vcc_lo
	v_cmp_ne_u32_e32 vcc_lo, 0, v11
	v_cmp_ne_u32_e64 s0, 0, v2
	v_cndmask_b32_e32 v2, v21, v23, vcc_lo
	v_cndmask_b32_e32 v11, v26, v25, vcc_lo
	v_cndmask_b32_e64 v2, v15, v2, s0
	v_cndmask_b32_e64 v11, v16, v11, s0
	v_xor_b32_e32 v2, v2, v12
	v_xor_b32_e32 v15, v11, v12
	v_sub_co_u32 v11, vcc_lo, v2, v12
	v_sub_co_ci_u32_e64 v12, null, v15, v12, vcc_lo
.LBB15_13:                              ;   in Loop: Header=BB15_3 Depth=1
	s_andn2_saveexec_b32 s0, s1
	s_cbranch_execz .LBB15_15
; %bb.14:                               ;   in Loop: Header=BB15_3 Depth=1
	v_rcp_iflag_f32_e32 v2, v32
	s_sub_i32 s1, 0, s34
	v_mul_f32_e32 v2, 0x4f7ffffe, v2
	v_cvt_u32_f32_e32 v2, v2
	v_mul_lo_u32 v11, s1, v2
	v_mul_hi_u32 v11, v2, v11
	v_add_nc_u32_e32 v2, v2, v11
	v_mul_hi_u32 v2, v22, v2
	v_mul_lo_u32 v11, v2, s34
	v_add_nc_u32_e32 v12, 1, v2
	v_sub_nc_u32_e32 v11, v22, v11
	v_subrev_nc_u32_e32 v15, s34, v11
	v_cmp_le_u32_e32 vcc_lo, s34, v11
	v_cndmask_b32_e32 v11, v11, v15, vcc_lo
	v_cndmask_b32_e32 v2, v2, v12, vcc_lo
	v_cmp_le_u32_e32 vcc_lo, s34, v11
	v_add_nc_u32_e32 v12, 1, v2
	v_cndmask_b32_e32 v11, v2, v12, vcc_lo
	v_mov_b32_e32 v12, v1
.LBB15_15:                              ;   in Loop: Header=BB15_3 Depth=1
	s_or_b32 exec_lo, exec_lo, s0
	v_mul_lo_u32 v2, v12, s34
	v_mul_lo_u32 v21, v11, s35
	v_mad_u64_u32 v[15:16], null, v11, s34, 0
	v_mul_lo_u32 v23, v11, s13
	s_mov_b32 s0, exec_lo
	v_add3_u32 v2, v16, v21, v2
	v_mul_lo_u32 v21, v12, s12
	v_sub_co_u32 v12, vcc_lo, v7, v15
	v_sub_co_ci_u32_e64 v2, null, v8, v2, vcc_lo
	v_add_co_u32 v15, vcc_lo, v3, v12
	v_mad_u64_u32 v[11:12], null, v11, s12, 0
	v_add_co_ci_u32_e64 v2, null, v4, v2, vcc_lo
	v_mul_lo_u32 v25, v15, s15
	v_mad_u64_u32 v[15:16], null, v15, s14, 0
	v_mul_lo_u32 v2, v2, s14
	v_add3_u32 v12, v12, v23, v21
	v_lshlrev_b64 v[11:12], 1, v[11:12]
	v_add3_u32 v16, v16, v25, v2
	v_add_co_u32 v2, vcc_lo, s2, v11
	v_lshlrev_b64 v[15:16], 1, v[15:16]
	v_add_co_ci_u32_e64 v12, null, s3, v12, vcc_lo
	v_add_co_u32 v11, vcc_lo, v2, v15
	v_add_co_ci_u32_e64 v12, null, v12, v16, vcc_lo
	v_add_co_u32 v2, vcc_lo, v13, 2
	global_load_ushort v30, v[11:12], off
	v_add_co_ci_u32_e64 v11, null, 0, v14, vcc_lo
	v_mul_lo_u32 v15, s9, v2
	v_mul_lo_u32 v16, s8, v11
	v_mad_u64_u32 v[11:12], null, s8, v2, 0
	v_add3_u32 v12, v12, v16, v15
	v_add_co_u32 v25, vcc_lo, v3, v11
                                        ; implicit-def: $vgpr15_vgpr16
	v_add_co_ci_u32_e64 v26, null, v4, v12, vcc_lo
	v_or_b32_e32 v2, s35, v26
	v_ashrrev_i32_e32 v21, 31, v26
	v_cmpx_ne_u64_e32 0, v[1:2]
	s_xor_b32 s1, exec_lo, s0
	s_cbranch_execz .LBB15_17
; %bb.16:                               ;   in Loop: Header=BB15_3 Depth=1
	s_ashr_i32 s64, s35, 31
	v_add_co_u32 v16, vcc_lo, v25, v21
	s_add_u32 s66, s34, s64
	s_mov_b32 s65, s64
	s_addc_u32 s67, s35, s64
	v_add_co_ci_u32_e64 v23, null, v26, v21, vcc_lo
	s_xor_b64 s[66:67], s[66:67], s[64:65]
	v_cvt_f32_u32_e32 v2, s66
	v_cvt_f32_u32_e32 v15, s67
	s_sub_u32 s81, 0, s66
	s_subb_u32 s82, 0, s67
	v_xor_b32_e32 v23, v23, v21
	v_fmac_f32_e32 v2, 0x4f800000, v15
	v_rcp_f32_e32 v2, v2
	v_mul_f32_e32 v2, 0x5f7ffffc, v2
	v_mul_f32_e32 v15, 0x2f800000, v2
	v_trunc_f32_e32 v15, v15
	v_fmac_f32_e32 v2, 0xcf800000, v15
	v_cvt_u32_f32_e32 v15, v15
	v_cvt_u32_f32_e32 v2, v2
	v_readfirstlane_b32 s0, v15
	v_readfirstlane_b32 s65, v2
	s_mul_i32 s83, s81, s0
	v_xor_b32_e32 v2, v16, v21
	s_mul_hi_u32 s85, s81, s65
	s_mul_i32 s84, s82, s65
	s_add_i32 s83, s85, s83
	s_mul_i32 s86, s81, s65
	s_add_i32 s83, s83, s84
	s_mul_hi_u32 s85, s65, s86
	s_mul_i32 s88, s65, s83
	s_mul_hi_u32 s87, s0, s86
	s_mul_i32 s84, s0, s86
	s_mul_hi_u32 s86, s65, s83
	s_add_u32 s85, s85, s88
	s_addc_u32 s86, 0, s86
	s_mul_hi_u32 s89, s0, s83
	s_add_u32 s84, s85, s84
	s_mul_i32 s83, s0, s83
	s_addc_u32 s84, s86, s87
	s_addc_u32 s85, s89, 0
	s_add_u32 s83, s84, s83
	s_addc_u32 s84, 0, s85
	s_add_u32 s65, s65, s83
	s_cselect_b32 s83, -1, 0
	s_mul_hi_u32 s85, s81, s65
	s_cmp_lg_u32 s83, 0
	s_mul_i32 s83, s81, s65
	s_addc_u32 s0, s0, s84
	s_mul_i32 s82, s82, s65
	s_mul_i32 s81, s81, s0
	s_mul_hi_u32 s84, s65, s83
	s_add_i32 s81, s85, s81
	s_mul_hi_u32 s85, s0, s83
	s_add_i32 s81, s81, s82
	s_mul_i32 s82, s0, s83
	s_mul_i32 s87, s65, s81
	s_mul_hi_u32 s86, s65, s81
	s_add_u32 s84, s84, s87
	s_addc_u32 s86, 0, s86
	s_mul_hi_u32 s83, s0, s81
	s_add_u32 s82, s84, s82
	s_mul_i32 s81, s0, s81
	s_addc_u32 s82, s86, s85
	s_addc_u32 s83, s83, 0
	s_add_u32 s81, s82, s81
	s_addc_u32 s82, 0, s83
	s_add_u32 s65, s65, s81
	s_cselect_b32 s81, -1, 0
	v_mul_hi_u32 v31, v2, s65
	s_cmp_lg_u32 s81, 0
	v_mad_u64_u32 v[33:34], null, v23, s65, 0
	s_addc_u32 s0, s0, s82
	v_mad_u64_u32 v[15:16], null, v2, s0, 0
	v_mad_u64_u32 v[35:36], null, v23, s0, 0
	v_add_co_u32 v15, vcc_lo, v31, v15
	v_add_co_ci_u32_e64 v16, null, 0, v16, vcc_lo
	v_add_co_u32 v15, vcc_lo, v15, v33
	v_add_co_ci_u32_e32 v15, vcc_lo, v16, v34, vcc_lo
	v_add_co_ci_u32_e32 v16, vcc_lo, 0, v36, vcc_lo
	v_add_co_u32 v31, vcc_lo, v15, v35
	v_add_co_ci_u32_e64 v33, null, 0, v16, vcc_lo
	v_mul_lo_u32 v34, s67, v31
	v_mad_u64_u32 v[15:16], null, s66, v31, 0
	v_mul_lo_u32 v35, s66, v33
	v_sub_co_u32 v2, vcc_lo, v2, v15
	v_add3_u32 v16, v16, v35, v34
	v_sub_nc_u32_e32 v34, v23, v16
	v_sub_co_ci_u32_e64 v16, null, v23, v16, vcc_lo
	v_subrev_co_ci_u32_e64 v15, null, s67, v34, vcc_lo
	v_add_co_u32 v34, s0, v31, 2
	v_add_co_ci_u32_e64 v35, null, 0, v33, s0
	v_sub_co_u32 v36, s0, v2, s66
	v_subrev_co_ci_u32_e64 v15, null, 0, v15, s0
	v_cmp_le_u32_e32 vcc_lo, s66, v36
	v_cndmask_b32_e64 v23, 0, -1, vcc_lo
	v_cmp_le_u32_e32 vcc_lo, s67, v15
	v_cndmask_b32_e64 v36, 0, -1, vcc_lo
	;; [unrolled: 2-line block ×4, first 2 shown]
	v_cmp_eq_u32_e32 vcc_lo, s67, v15
	v_cndmask_b32_e32 v15, v36, v23, vcc_lo
	v_add_co_u32 v23, vcc_lo, v31, 1
	v_add_co_ci_u32_e64 v36, null, 0, v33, vcc_lo
	v_cmp_eq_u32_e32 vcc_lo, s67, v16
	v_xor_b32_e32 v16, s64, v21
	v_cndmask_b32_e32 v2, v37, v2, vcc_lo
	v_cmp_ne_u32_e32 vcc_lo, 0, v15
	v_cmp_ne_u32_e64 s0, 0, v2
	v_cndmask_b32_e32 v2, v23, v34, vcc_lo
	v_cndmask_b32_e32 v15, v36, v35, vcc_lo
	v_cndmask_b32_e64 v2, v31, v2, s0
	v_cndmask_b32_e64 v15, v33, v15, s0
	v_xor_b32_e32 v2, v2, v16
	v_xor_b32_e32 v23, v15, v16
	v_sub_co_u32 v15, vcc_lo, v2, v16
	v_sub_co_ci_u32_e64 v16, null, v23, v16, vcc_lo
.LBB15_17:                              ;   in Loop: Header=BB15_3 Depth=1
	s_andn2_saveexec_b32 s0, s1
	s_cbranch_execz .LBB15_19
; %bb.18:                               ;   in Loop: Header=BB15_3 Depth=1
	v_rcp_iflag_f32_e32 v2, v32
	s_sub_i32 s1, 0, s34
	v_mul_f32_e32 v2, 0x4f7ffffe, v2
	v_cvt_u32_f32_e32 v2, v2
	v_mul_lo_u32 v15, s1, v2
	v_mul_hi_u32 v15, v2, v15
	v_add_nc_u32_e32 v2, v2, v15
	v_mul_hi_u32 v2, v25, v2
	v_mul_lo_u32 v15, v2, s34
	v_add_nc_u32_e32 v16, 1, v2
	v_sub_nc_u32_e32 v15, v25, v15
	v_subrev_nc_u32_e32 v23, s34, v15
	v_cmp_le_u32_e32 vcc_lo, s34, v15
	v_cndmask_b32_e32 v15, v15, v23, vcc_lo
	v_cndmask_b32_e32 v2, v2, v16, vcc_lo
	v_cmp_le_u32_e32 vcc_lo, s34, v15
	v_add_nc_u32_e32 v16, 1, v2
	v_cndmask_b32_e32 v15, v2, v16, vcc_lo
	v_mov_b32_e32 v16, v1
.LBB15_19:                              ;   in Loop: Header=BB15_3 Depth=1
	s_or_b32 exec_lo, exec_lo, s0
	v_mul_lo_u32 v2, v16, s34
	v_mul_lo_u32 v23, v15, s35
	v_mad_u64_u32 v[33:34], null, v15, s34, 0
	v_mul_lo_u32 v31, v15, s13
	s_mov_b32 s0, exec_lo
	v_add3_u32 v2, v34, v23, v2
	v_mul_lo_u32 v23, v16, s12
	v_sub_co_u32 v16, vcc_lo, v11, v33
	v_sub_co_ci_u32_e64 v2, null, v12, v2, vcc_lo
	v_add_co_u32 v33, vcc_lo, v3, v16
	v_mad_u64_u32 v[15:16], null, v15, s12, 0
	v_add_co_ci_u32_e64 v2, null, v4, v2, vcc_lo
	v_mul_lo_u32 v35, v33, s15
	v_mad_u64_u32 v[33:34], null, v33, s14, 0
	v_mul_lo_u32 v2, v2, s14
	v_add3_u32 v16, v16, v31, v23
	v_lshlrev_b64 v[15:16], 1, v[15:16]
	v_add3_u32 v34, v34, v35, v2
	v_add_co_u32 v2, vcc_lo, s2, v15
	v_lshlrev_b64 v[33:34], 1, v[33:34]
	v_add_co_ci_u32_e64 v16, null, s3, v16, vcc_lo
	v_add_co_u32 v15, vcc_lo, v2, v33
	v_add_co_ci_u32_e64 v16, null, v16, v34, vcc_lo
	v_add_co_u32 v2, vcc_lo, v13, 3
	v_add_co_ci_u32_e64 v13, null, 0, v14, vcc_lo
	global_load_ushort v31, v[15:16], off
	v_mul_lo_u32 v15, s9, v2
	v_mul_lo_u32 v16, s8, v13
	v_mad_u64_u32 v[13:14], null, s8, v2, 0
	v_add3_u32 v14, v14, v16, v15
	v_add_co_u32 v35, vcc_lo, v3, v13
                                        ; implicit-def: $vgpr15_vgpr16
	v_add_co_ci_u32_e64 v37, null, v4, v14, vcc_lo
	v_or_b32_e32 v2, s35, v37
	v_ashrrev_i32_e32 v23, 31, v37
	v_cmpx_ne_u64_e32 0, v[1:2]
	s_xor_b32 s1, exec_lo, s0
	s_cbranch_execz .LBB15_21
; %bb.20:                               ;   in Loop: Header=BB15_3 Depth=1
	s_ashr_i32 s64, s35, 31
	v_add_co_u32 v16, vcc_lo, v35, v23
	s_add_u32 s66, s34, s64
	s_mov_b32 s65, s64
	s_addc_u32 s67, s35, s64
	v_add_co_ci_u32_e64 v32, null, v37, v23, vcc_lo
	s_xor_b64 s[66:67], s[66:67], s[64:65]
	v_cvt_f32_u32_e32 v2, s66
	v_cvt_f32_u32_e32 v15, s67
	s_sub_u32 s81, 0, s66
	s_subb_u32 s82, 0, s67
	v_xor_b32_e32 v34, v32, v23
	v_fmac_f32_e32 v2, 0x4f800000, v15
	v_rcp_f32_e32 v2, v2
	v_mul_f32_e32 v2, 0x5f7ffffc, v2
	v_mul_f32_e32 v15, 0x2f800000, v2
	v_trunc_f32_e32 v15, v15
	v_fmac_f32_e32 v2, 0xcf800000, v15
	v_cvt_u32_f32_e32 v15, v15
	v_cvt_u32_f32_e32 v2, v2
	v_readfirstlane_b32 s0, v15
	v_readfirstlane_b32 s65, v2
	s_mul_i32 s83, s81, s0
	v_xor_b32_e32 v2, v16, v23
	s_mul_hi_u32 s85, s81, s65
	s_mul_i32 s84, s82, s65
	s_add_i32 s83, s85, s83
	s_mul_i32 s86, s81, s65
	s_add_i32 s83, s83, s84
	s_mul_hi_u32 s85, s65, s86
	s_mul_i32 s88, s65, s83
	s_mul_hi_u32 s87, s0, s86
	s_mul_i32 s84, s0, s86
	s_mul_hi_u32 s86, s65, s83
	s_add_u32 s85, s85, s88
	s_addc_u32 s86, 0, s86
	s_mul_hi_u32 s89, s0, s83
	s_add_u32 s84, s85, s84
	s_mul_i32 s83, s0, s83
	s_addc_u32 s84, s86, s87
	s_addc_u32 s85, s89, 0
	s_add_u32 s83, s84, s83
	s_addc_u32 s84, 0, s85
	s_add_u32 s65, s65, s83
	s_cselect_b32 s83, -1, 0
	s_mul_hi_u32 s85, s81, s65
	s_cmp_lg_u32 s83, 0
	s_mul_i32 s83, s81, s65
	s_addc_u32 s0, s0, s84
	s_mul_i32 s82, s82, s65
	s_mul_i32 s81, s81, s0
	s_mul_hi_u32 s84, s65, s83
	s_add_i32 s81, s85, s81
	s_mul_hi_u32 s85, s0, s83
	s_add_i32 s81, s81, s82
	s_mul_i32 s82, s0, s83
	s_mul_i32 s87, s65, s81
	s_mul_hi_u32 s86, s65, s81
	s_add_u32 s84, s84, s87
	s_addc_u32 s86, 0, s86
	s_mul_hi_u32 s83, s0, s81
	s_add_u32 s82, s84, s82
	s_mul_i32 s81, s0, s81
	s_addc_u32 s82, s86, s85
	s_addc_u32 s83, s83, 0
	s_add_u32 s81, s82, s81
	s_addc_u32 s82, 0, s83
	s_add_u32 s65, s65, s81
	s_cselect_b32 s81, -1, 0
	v_mul_hi_u32 v36, v2, s65
	s_cmp_lg_u32 s81, 0
	v_mad_u64_u32 v[32:33], null, v34, s65, 0
	s_addc_u32 s0, s0, s82
	v_mad_u64_u32 v[15:16], null, v2, s0, 0
	v_mad_u64_u32 v[38:39], null, v34, s0, 0
	v_add_co_u32 v15, vcc_lo, v36, v15
	v_add_co_ci_u32_e64 v16, null, 0, v16, vcc_lo
	v_add_co_u32 v15, vcc_lo, v15, v32
	v_add_co_ci_u32_e32 v15, vcc_lo, v16, v33, vcc_lo
	v_add_co_ci_u32_e32 v16, vcc_lo, 0, v39, vcc_lo
	v_add_co_u32 v32, vcc_lo, v15, v38
	v_add_co_ci_u32_e64 v33, null, 0, v16, vcc_lo
	v_mul_lo_u32 v36, s67, v32
	v_mad_u64_u32 v[15:16], null, s66, v32, 0
	v_mul_lo_u32 v38, s66, v33
	v_sub_co_u32 v2, vcc_lo, v2, v15
	v_add3_u32 v16, v16, v38, v36
	v_sub_nc_u32_e32 v36, v34, v16
	v_sub_co_ci_u32_e64 v16, null, v34, v16, vcc_lo
	v_subrev_co_ci_u32_e64 v15, null, s67, v36, vcc_lo
	v_add_co_u32 v36, s0, v32, 2
	v_add_co_ci_u32_e64 v38, null, 0, v33, s0
	v_sub_co_u32 v39, s0, v2, s66
	v_subrev_co_ci_u32_e64 v15, null, 0, v15, s0
	v_cmp_le_u32_e32 vcc_lo, s66, v39
	v_cndmask_b32_e64 v34, 0, -1, vcc_lo
	v_cmp_le_u32_e32 vcc_lo, s67, v15
	v_cndmask_b32_e64 v39, 0, -1, vcc_lo
	;; [unrolled: 2-line block ×4, first 2 shown]
	v_cmp_eq_u32_e32 vcc_lo, s67, v15
	v_cndmask_b32_e32 v15, v39, v34, vcc_lo
	v_add_co_u32 v34, vcc_lo, v32, 1
	v_add_co_ci_u32_e64 v39, null, 0, v33, vcc_lo
	v_cmp_eq_u32_e32 vcc_lo, s67, v16
	v_xor_b32_e32 v16, s64, v23
	v_cndmask_b32_e32 v2, v40, v2, vcc_lo
	v_cmp_ne_u32_e32 vcc_lo, 0, v15
	v_cmp_ne_u32_e64 s0, 0, v2
	v_cndmask_b32_e32 v2, v34, v36, vcc_lo
	v_cndmask_b32_e32 v15, v39, v38, vcc_lo
	v_cndmask_b32_e64 v2, v32, v2, s0
	v_cndmask_b32_e64 v15, v33, v15, s0
	v_xor_b32_e32 v2, v2, v16
	v_xor_b32_e32 v32, v15, v16
	v_sub_co_u32 v15, vcc_lo, v2, v16
	v_sub_co_ci_u32_e64 v16, null, v32, v16, vcc_lo
                                        ; implicit-def: $vgpr32
.LBB15_21:                              ;   in Loop: Header=BB15_3 Depth=1
	s_andn2_saveexec_b32 s0, s1
	s_cbranch_execz .LBB15_23
; %bb.22:                               ;   in Loop: Header=BB15_3 Depth=1
	v_rcp_iflag_f32_e32 v2, v32
	s_sub_i32 s1, 0, s34
	v_mul_f32_e32 v2, 0x4f7ffffe, v2
	v_cvt_u32_f32_e32 v2, v2
	v_mul_lo_u32 v15, s1, v2
	v_mul_hi_u32 v15, v2, v15
	v_add_nc_u32_e32 v2, v2, v15
	v_mul_hi_u32 v2, v35, v2
	v_mul_lo_u32 v15, v2, s34
	v_add_nc_u32_e32 v16, 1, v2
	v_sub_nc_u32_e32 v15, v35, v15
	v_subrev_nc_u32_e32 v32, s34, v15
	v_cmp_le_u32_e32 vcc_lo, s34, v15
	v_cndmask_b32_e32 v15, v15, v32, vcc_lo
	v_cndmask_b32_e32 v2, v2, v16, vcc_lo
	v_cmp_le_u32_e32 vcc_lo, s34, v15
	v_add_nc_u32_e32 v16, 1, v2
	v_cndmask_b32_e32 v15, v2, v16, vcc_lo
	v_mov_b32_e32 v16, v1
.LBB15_23:                              ;   in Loop: Header=BB15_3 Depth=1
	s_or_b32 exec_lo, exec_lo, s0
	v_mul_lo_u32 v2, v16, s34
	v_mul_lo_u32 v34, v15, s35
	v_mad_u64_u32 v[32:33], null, v15, s34, 0
	v_mul_lo_u32 v36, v15, s13
	s_mov_b32 s0, exec_lo
	v_add3_u32 v2, v33, v34, v2
	v_mul_lo_u32 v34, v16, s12
	v_sub_co_u32 v16, vcc_lo, v13, v32
	v_sub_co_ci_u32_e64 v2, null, v14, v2, vcc_lo
	v_add_co_u32 v32, vcc_lo, v3, v16
	v_mad_u64_u32 v[15:16], null, v15, s12, 0
	v_add_co_ci_u32_e64 v2, null, v4, v2, vcc_lo
	v_mul_lo_u32 v38, v32, s15
	v_mad_u64_u32 v[32:33], null, v32, s14, 0
	v_mul_lo_u32 v2, v2, s14
	v_add3_u32 v16, v16, v36, v34
	v_lshlrev_b64 v[15:16], 1, v[15:16]
	v_add3_u32 v33, v33, v38, v2
	v_add_co_u32 v2, vcc_lo, s2, v15
	v_lshlrev_b64 v[32:33], 1, v[32:33]
	v_add_co_ci_u32_e64 v16, null, s3, v16, vcc_lo
	v_add_co_u32 v15, vcc_lo, v2, v32
	v_add_co_ci_u32_e64 v16, null, v16, v33, vcc_lo
	v_or_b32_e32 v2, s41, v20
	global_load_ushort v32, v[15:16], off
                                        ; implicit-def: $vgpr15_vgpr16
	v_cmpx_ne_u64_e32 0, v[1:2]
	s_xor_b32 s1, exec_lo, s0
	s_cbranch_execz .LBB15_25
; %bb.24:                               ;   in Loop: Header=BB15_3 Depth=1
	s_ashr_i32 s64, s41, 31
	v_add_co_u32 v16, vcc_lo, v18, v17
	s_add_u32 s66, s40, s64
	s_mov_b32 s65, s64
	s_addc_u32 s67, s41, s64
	v_add_co_ci_u32_e64 v33, null, v20, v17, vcc_lo
	s_xor_b64 s[66:67], s[66:67], s[64:65]
	v_cvt_f32_u32_e32 v2, s66
	v_cvt_f32_u32_e32 v15, s67
	s_sub_u32 s81, 0, s66
	s_subb_u32 s82, 0, s67
	v_xor_b32_e32 v36, v33, v17
	v_fmac_f32_e32 v2, 0x4f800000, v15
	v_rcp_f32_e32 v2, v2
	v_mul_f32_e32 v2, 0x5f7ffffc, v2
	v_mul_f32_e32 v15, 0x2f800000, v2
	v_trunc_f32_e32 v15, v15
	v_fmac_f32_e32 v2, 0xcf800000, v15
	v_cvt_u32_f32_e32 v15, v15
	v_cvt_u32_f32_e32 v2, v2
	v_readfirstlane_b32 s0, v15
	v_readfirstlane_b32 s65, v2
	s_mul_i32 s83, s81, s0
	v_xor_b32_e32 v2, v16, v17
	s_mul_hi_u32 s85, s81, s65
	s_mul_i32 s84, s82, s65
	s_add_i32 s83, s85, s83
	s_mul_i32 s86, s81, s65
	s_add_i32 s83, s83, s84
	s_mul_hi_u32 s85, s65, s86
	s_mul_i32 s88, s65, s83
	s_mul_hi_u32 s87, s0, s86
	s_mul_i32 s84, s0, s86
	s_mul_hi_u32 s86, s65, s83
	s_add_u32 s85, s85, s88
	s_addc_u32 s86, 0, s86
	s_mul_hi_u32 s89, s0, s83
	s_add_u32 s84, s85, s84
	s_mul_i32 s83, s0, s83
	s_addc_u32 s84, s86, s87
	s_addc_u32 s85, s89, 0
	s_add_u32 s83, s84, s83
	s_addc_u32 s84, 0, s85
	s_add_u32 s65, s65, s83
	s_cselect_b32 s83, -1, 0
	s_mul_hi_u32 s85, s81, s65
	s_cmp_lg_u32 s83, 0
	s_mul_i32 s83, s81, s65
	s_addc_u32 s0, s0, s84
	s_mul_i32 s82, s82, s65
	s_mul_i32 s81, s81, s0
	s_mul_hi_u32 s84, s65, s83
	s_add_i32 s81, s85, s81
	s_mul_hi_u32 s85, s0, s83
	s_add_i32 s81, s81, s82
	s_mul_i32 s82, s0, s83
	s_mul_i32 s87, s65, s81
	s_mul_hi_u32 s86, s65, s81
	s_add_u32 s84, s84, s87
	s_addc_u32 s86, 0, s86
	s_mul_hi_u32 s83, s0, s81
	s_add_u32 s82, s84, s82
	s_mul_i32 s81, s0, s81
	s_addc_u32 s82, s86, s85
	s_addc_u32 s83, s83, 0
	s_add_u32 s81, s82, s81
	s_addc_u32 s82, 0, s83
	s_add_u32 s65, s65, s81
	s_cselect_b32 s81, -1, 0
	v_mul_hi_u32 v40, v2, s65
	s_cmp_lg_u32 s81, 0
	v_mad_u64_u32 v[33:34], null, v36, s65, 0
	s_addc_u32 s0, s0, s82
	v_mad_u64_u32 v[15:16], null, v2, s0, 0
	v_mad_u64_u32 v[38:39], null, v36, s0, 0
	v_add_co_u32 v15, vcc_lo, v40, v15
	v_add_co_ci_u32_e64 v16, null, 0, v16, vcc_lo
	v_add_co_u32 v15, vcc_lo, v15, v33
	v_add_co_ci_u32_e32 v15, vcc_lo, v16, v34, vcc_lo
	v_add_co_ci_u32_e32 v16, vcc_lo, 0, v39, vcc_lo
	v_add_co_u32 v33, vcc_lo, v15, v38
	v_add_co_ci_u32_e64 v34, null, 0, v16, vcc_lo
	v_mul_lo_u32 v38, s67, v33
	v_mad_u64_u32 v[15:16], null, s66, v33, 0
	v_mul_lo_u32 v39, s66, v34
	v_sub_co_u32 v2, vcc_lo, v2, v15
	v_add3_u32 v16, v16, v39, v38
	v_sub_nc_u32_e32 v38, v36, v16
	v_sub_co_ci_u32_e64 v16, null, v36, v16, vcc_lo
	v_subrev_co_ci_u32_e64 v15, null, s67, v38, vcc_lo
	v_add_co_u32 v38, s0, v33, 2
	v_add_co_ci_u32_e64 v39, null, 0, v34, s0
	v_sub_co_u32 v40, s0, v2, s66
	v_subrev_co_ci_u32_e64 v15, null, 0, v15, s0
	v_cmp_le_u32_e32 vcc_lo, s66, v40
	v_cndmask_b32_e64 v36, 0, -1, vcc_lo
	v_cmp_le_u32_e32 vcc_lo, s67, v15
	v_cndmask_b32_e64 v40, 0, -1, vcc_lo
	;; [unrolled: 2-line block ×4, first 2 shown]
	v_cmp_eq_u32_e32 vcc_lo, s67, v15
	v_cndmask_b32_e32 v15, v40, v36, vcc_lo
	v_add_co_u32 v36, vcc_lo, v33, 1
	v_add_co_ci_u32_e64 v40, null, 0, v34, vcc_lo
	v_cmp_eq_u32_e32 vcc_lo, s67, v16
	v_xor_b32_e32 v16, s64, v17
	v_cndmask_b32_e32 v2, v41, v2, vcc_lo
	v_cmp_ne_u32_e32 vcc_lo, 0, v15
	v_cmp_ne_u32_e64 s0, 0, v2
	v_cndmask_b32_e32 v2, v36, v38, vcc_lo
	v_cndmask_b32_e32 v15, v40, v39, vcc_lo
	v_cndmask_b32_e64 v2, v33, v2, s0
	v_cndmask_b32_e64 v15, v34, v15, s0
	v_xor_b32_e32 v2, v2, v16
	v_xor_b32_e32 v33, v15, v16
	v_sub_co_u32 v15, vcc_lo, v2, v16
	v_sub_co_ci_u32_e64 v16, null, v33, v16, vcc_lo
.LBB15_25:                              ;   in Loop: Header=BB15_3 Depth=1
	s_or_saveexec_b32 s0, s1
	v_cvt_f32_u32_e32 v38, s40
	s_xor_b32 exec_lo, exec_lo, s0
	s_cbranch_execz .LBB15_27
; %bb.26:                               ;   in Loop: Header=BB15_3 Depth=1
	v_rcp_iflag_f32_e32 v2, v38
	s_sub_i32 s1, 0, s40
	v_mul_f32_e32 v2, 0x4f7ffffe, v2
	v_cvt_u32_f32_e32 v2, v2
	v_mul_lo_u32 v15, s1, v2
	v_mul_hi_u32 v15, v2, v15
	v_add_nc_u32_e32 v2, v2, v15
	v_mul_hi_u32 v2, v18, v2
	v_mul_lo_u32 v15, v2, s40
	v_add_nc_u32_e32 v16, 1, v2
	v_sub_nc_u32_e32 v15, v18, v15
	v_subrev_nc_u32_e32 v33, s40, v15
	v_cmp_le_u32_e32 vcc_lo, s40, v15
	v_cndmask_b32_e32 v15, v15, v33, vcc_lo
	v_cndmask_b32_e32 v2, v2, v16, vcc_lo
	v_cmp_le_u32_e32 vcc_lo, s40, v15
	v_add_nc_u32_e32 v16, 1, v2
	v_cndmask_b32_e32 v15, v2, v16, vcc_lo
	v_mov_b32_e32 v16, v1
.LBB15_27:                              ;   in Loop: Header=BB15_3 Depth=1
	s_or_b32 exec_lo, exec_lo, s0
	v_mul_lo_u32 v2, v16, s40
	v_mul_lo_u32 v36, v15, s41
	v_mad_u64_u32 v[33:34], null, v15, s40, 0
	v_mul_lo_u32 v39, v15, s17
	s_mov_b32 s0, exec_lo
	v_add3_u32 v2, v34, v36, v2
	v_mul_lo_u32 v36, v16, s16
	v_sub_co_u32 v16, vcc_lo, v5, v33
	v_sub_co_ci_u32_e64 v2, null, v6, v2, vcc_lo
	v_add_co_u32 v33, vcc_lo, v3, v16
	v_mad_u64_u32 v[15:16], null, v15, s16, 0
	v_add_co_ci_u32_e64 v2, null, v4, v2, vcc_lo
	v_mul_lo_u32 v40, v33, s19
	v_mad_u64_u32 v[33:34], null, v33, s18, 0
	v_mul_lo_u32 v2, v2, s18
	v_add3_u32 v16, v16, v39, v36
	v_lshlrev_b64 v[15:16], 1, v[15:16]
	v_add3_u32 v34, v34, v40, v2
	v_add_co_u32 v2, vcc_lo, s36, v15
	v_lshlrev_b64 v[33:34], 1, v[33:34]
	v_add_co_ci_u32_e64 v16, null, s37, v16, vcc_lo
	v_add_co_u32 v15, vcc_lo, v2, v33
	v_add_co_ci_u32_e64 v16, null, v16, v34, vcc_lo
	v_or_b32_e32 v2, s41, v24
	global_load_ushort v33, v[15:16], off
                                        ; implicit-def: $vgpr15_vgpr16
	v_cmpx_ne_u64_e32 0, v[1:2]
	s_xor_b32 s1, exec_lo, s0
	s_cbranch_execz .LBB15_29
; %bb.28:                               ;   in Loop: Header=BB15_3 Depth=1
	s_ashr_i32 s64, s41, 31
	v_add_co_u32 v16, vcc_lo, v22, v19
	s_add_u32 s66, s40, s64
	s_mov_b32 s65, s64
	s_addc_u32 s67, s41, s64
	v_add_co_ci_u32_e64 v34, null, v24, v19, vcc_lo
	s_xor_b64 s[66:67], s[66:67], s[64:65]
	v_cvt_f32_u32_e32 v2, s66
	v_cvt_f32_u32_e32 v15, s67
	s_sub_u32 s81, 0, s66
	s_subb_u32 s82, 0, s67
	v_xor_b32_e32 v34, v34, v19
	v_fmac_f32_e32 v2, 0x4f800000, v15
	v_rcp_f32_e32 v2, v2
	v_mul_f32_e32 v2, 0x5f7ffffc, v2
	v_mul_f32_e32 v15, 0x2f800000, v2
	v_trunc_f32_e32 v15, v15
	v_fmac_f32_e32 v2, 0xcf800000, v15
	v_cvt_u32_f32_e32 v15, v15
	v_cvt_u32_f32_e32 v2, v2
	v_readfirstlane_b32 s0, v15
	v_readfirstlane_b32 s65, v2
	s_mul_i32 s83, s81, s0
	v_xor_b32_e32 v2, v16, v19
	s_mul_hi_u32 s85, s81, s65
	s_mul_i32 s84, s82, s65
	s_add_i32 s83, s85, s83
	s_mul_i32 s86, s81, s65
	s_add_i32 s83, s83, s84
	s_mul_hi_u32 s85, s65, s86
	s_mul_i32 s88, s65, s83
	s_mul_hi_u32 s87, s0, s86
	s_mul_i32 s84, s0, s86
	s_mul_hi_u32 s86, s65, s83
	s_add_u32 s85, s85, s88
	s_addc_u32 s86, 0, s86
	s_mul_hi_u32 s89, s0, s83
	s_add_u32 s84, s85, s84
	s_mul_i32 s83, s0, s83
	s_addc_u32 s84, s86, s87
	s_addc_u32 s85, s89, 0
	s_add_u32 s83, s84, s83
	s_addc_u32 s84, 0, s85
	s_add_u32 s65, s65, s83
	s_cselect_b32 s83, -1, 0
	s_mul_hi_u32 s85, s81, s65
	s_cmp_lg_u32 s83, 0
	s_mul_i32 s83, s81, s65
	s_addc_u32 s0, s0, s84
	s_mul_i32 s82, s82, s65
	s_mul_i32 s81, s81, s0
	s_mul_hi_u32 s84, s65, s83
	s_add_i32 s81, s85, s81
	s_mul_hi_u32 s85, s0, s83
	s_add_i32 s81, s81, s82
	s_mul_i32 s82, s0, s83
	s_mul_i32 s87, s65, s81
	s_mul_hi_u32 s86, s65, s81
	s_add_u32 s84, s84, s87
	s_addc_u32 s86, 0, s86
	s_mul_hi_u32 s83, s0, s81
	s_add_u32 s82, s84, s82
	s_mul_i32 s81, s0, s81
	s_addc_u32 s82, s86, s85
	s_addc_u32 s83, s83, 0
	s_add_u32 s81, s82, s81
	s_addc_u32 s82, 0, s83
	s_add_u32 s65, s65, s81
	s_cselect_b32 s81, -1, 0
	v_mul_hi_u32 v36, v2, s65
	s_cmp_lg_u32 s81, 0
	v_mad_u64_u32 v[39:40], null, v34, s65, 0
	s_addc_u32 s0, s0, s82
	v_mad_u64_u32 v[15:16], null, v2, s0, 0
	v_mad_u64_u32 v[41:42], null, v34, s0, 0
	v_add_co_u32 v15, vcc_lo, v36, v15
	v_add_co_ci_u32_e64 v16, null, 0, v16, vcc_lo
	v_add_co_u32 v15, vcc_lo, v15, v39
	v_add_co_ci_u32_e32 v15, vcc_lo, v16, v40, vcc_lo
	v_add_co_ci_u32_e32 v16, vcc_lo, 0, v42, vcc_lo
	v_add_co_u32 v36, vcc_lo, v15, v41
	v_add_co_ci_u32_e64 v39, null, 0, v16, vcc_lo
	v_mul_lo_u32 v40, s67, v36
	v_mad_u64_u32 v[15:16], null, s66, v36, 0
	v_mul_lo_u32 v41, s66, v39
	v_sub_co_u32 v2, vcc_lo, v2, v15
	v_add3_u32 v16, v16, v41, v40
	v_sub_nc_u32_e32 v40, v34, v16
	v_sub_co_ci_u32_e64 v16, null, v34, v16, vcc_lo
	v_subrev_co_ci_u32_e64 v15, null, s67, v40, vcc_lo
	v_add_co_u32 v40, s0, v36, 2
	v_add_co_ci_u32_e64 v41, null, 0, v39, s0
	v_sub_co_u32 v42, s0, v2, s66
	v_subrev_co_ci_u32_e64 v15, null, 0, v15, s0
	v_cmp_le_u32_e32 vcc_lo, s66, v42
	v_cndmask_b32_e64 v34, 0, -1, vcc_lo
	v_cmp_le_u32_e32 vcc_lo, s67, v15
	v_cndmask_b32_e64 v42, 0, -1, vcc_lo
	;; [unrolled: 2-line block ×4, first 2 shown]
	v_cmp_eq_u32_e32 vcc_lo, s67, v15
	v_cndmask_b32_e32 v15, v42, v34, vcc_lo
	v_add_co_u32 v34, vcc_lo, v36, 1
	v_add_co_ci_u32_e64 v42, null, 0, v39, vcc_lo
	v_cmp_eq_u32_e32 vcc_lo, s67, v16
	v_xor_b32_e32 v16, s64, v19
	v_cndmask_b32_e32 v2, v43, v2, vcc_lo
	v_cmp_ne_u32_e32 vcc_lo, 0, v15
	v_cmp_ne_u32_e64 s0, 0, v2
	v_cndmask_b32_e32 v2, v34, v40, vcc_lo
	v_cndmask_b32_e32 v15, v42, v41, vcc_lo
	v_cndmask_b32_e64 v2, v36, v2, s0
	v_cndmask_b32_e64 v15, v39, v15, s0
	v_xor_b32_e32 v2, v2, v16
	v_xor_b32_e32 v34, v15, v16
	v_sub_co_u32 v15, vcc_lo, v2, v16
	v_sub_co_ci_u32_e64 v16, null, v34, v16, vcc_lo
.LBB15_29:                              ;   in Loop: Header=BB15_3 Depth=1
	s_andn2_saveexec_b32 s0, s1
	s_cbranch_execz .LBB15_31
; %bb.30:                               ;   in Loop: Header=BB15_3 Depth=1
	v_rcp_iflag_f32_e32 v2, v38
	s_sub_i32 s1, 0, s40
	v_mul_f32_e32 v2, 0x4f7ffffe, v2
	v_cvt_u32_f32_e32 v2, v2
	v_mul_lo_u32 v15, s1, v2
	v_mul_hi_u32 v15, v2, v15
	v_add_nc_u32_e32 v2, v2, v15
	v_mul_hi_u32 v2, v22, v2
	v_mul_lo_u32 v15, v2, s40
	v_add_nc_u32_e32 v16, 1, v2
	v_sub_nc_u32_e32 v15, v22, v15
	v_subrev_nc_u32_e32 v34, s40, v15
	v_cmp_le_u32_e32 vcc_lo, s40, v15
	v_cndmask_b32_e32 v15, v15, v34, vcc_lo
	v_cndmask_b32_e32 v2, v2, v16, vcc_lo
	v_cmp_le_u32_e32 vcc_lo, s40, v15
	v_add_nc_u32_e32 v16, 1, v2
	v_cndmask_b32_e32 v15, v2, v16, vcc_lo
	v_mov_b32_e32 v16, v1
.LBB15_31:                              ;   in Loop: Header=BB15_3 Depth=1
	s_or_b32 exec_lo, exec_lo, s0
	v_mul_lo_u32 v2, v16, s40
	v_mul_lo_u32 v34, v15, s41
	v_mad_u64_u32 v[39:40], null, v15, s40, 0
	v_mul_lo_u32 v36, v15, s17
	s_mov_b32 s0, exec_lo
	v_add3_u32 v2, v40, v34, v2
	v_mul_lo_u32 v34, v16, s16
	v_sub_co_u32 v16, vcc_lo, v7, v39
	v_sub_co_ci_u32_e64 v2, null, v8, v2, vcc_lo
	v_add_co_u32 v39, vcc_lo, v3, v16
	v_mad_u64_u32 v[15:16], null, v15, s16, 0
	v_add_co_ci_u32_e64 v2, null, v4, v2, vcc_lo
	v_mul_lo_u32 v41, v39, s19
	v_mad_u64_u32 v[39:40], null, v39, s18, 0
	v_mul_lo_u32 v2, v2, s18
	v_add3_u32 v16, v16, v36, v34
	v_lshlrev_b64 v[15:16], 1, v[15:16]
	v_add3_u32 v40, v40, v41, v2
	v_add_co_u32 v2, vcc_lo, s36, v15
	v_lshlrev_b64 v[39:40], 1, v[39:40]
	v_add_co_ci_u32_e64 v16, null, s37, v16, vcc_lo
	v_add_co_u32 v15, vcc_lo, v2, v39
	v_add_co_ci_u32_e64 v16, null, v16, v40, vcc_lo
	v_or_b32_e32 v2, s41, v26
	global_load_ushort v34, v[15:16], off
                                        ; implicit-def: $vgpr15_vgpr16
	v_cmpx_ne_u64_e32 0, v[1:2]
	s_xor_b32 s1, exec_lo, s0
	s_cbranch_execz .LBB15_33
; %bb.32:                               ;   in Loop: Header=BB15_3 Depth=1
	s_ashr_i32 s64, s41, 31
	v_add_co_u32 v16, vcc_lo, v25, v21
	s_add_u32 s66, s40, s64
	s_mov_b32 s65, s64
	s_addc_u32 s67, s41, s64
	v_add_co_ci_u32_e64 v36, null, v26, v21, vcc_lo
	s_xor_b64 s[66:67], s[66:67], s[64:65]
	v_cvt_f32_u32_e32 v2, s66
	v_cvt_f32_u32_e32 v15, s67
	s_sub_u32 s81, 0, s66
	s_subb_u32 s82, 0, s67
	v_xor_b32_e32 v36, v36, v21
	v_fmac_f32_e32 v2, 0x4f800000, v15
	v_rcp_f32_e32 v2, v2
	v_mul_f32_e32 v2, 0x5f7ffffc, v2
	v_mul_f32_e32 v15, 0x2f800000, v2
	v_trunc_f32_e32 v15, v15
	v_fmac_f32_e32 v2, 0xcf800000, v15
	v_cvt_u32_f32_e32 v15, v15
	v_cvt_u32_f32_e32 v2, v2
	v_readfirstlane_b32 s0, v15
	v_readfirstlane_b32 s65, v2
	s_mul_i32 s83, s81, s0
	v_xor_b32_e32 v2, v16, v21
	s_mul_hi_u32 s85, s81, s65
	s_mul_i32 s84, s82, s65
	s_add_i32 s83, s85, s83
	s_mul_i32 s86, s81, s65
	s_add_i32 s83, s83, s84
	s_mul_hi_u32 s85, s65, s86
	s_mul_i32 s88, s65, s83
	s_mul_hi_u32 s87, s0, s86
	s_mul_i32 s84, s0, s86
	s_mul_hi_u32 s86, s65, s83
	s_add_u32 s85, s85, s88
	s_addc_u32 s86, 0, s86
	s_mul_hi_u32 s89, s0, s83
	s_add_u32 s84, s85, s84
	s_mul_i32 s83, s0, s83
	s_addc_u32 s84, s86, s87
	s_addc_u32 s85, s89, 0
	s_add_u32 s83, s84, s83
	s_addc_u32 s84, 0, s85
	s_add_u32 s65, s65, s83
	s_cselect_b32 s83, -1, 0
	s_mul_hi_u32 s85, s81, s65
	s_cmp_lg_u32 s83, 0
	s_mul_i32 s83, s81, s65
	s_addc_u32 s0, s0, s84
	s_mul_i32 s82, s82, s65
	s_mul_i32 s81, s81, s0
	s_mul_hi_u32 s84, s65, s83
	s_add_i32 s81, s85, s81
	s_mul_hi_u32 s85, s0, s83
	s_add_i32 s81, s81, s82
	s_mul_i32 s82, s0, s83
	s_mul_i32 s87, s65, s81
	s_mul_hi_u32 s86, s65, s81
	s_add_u32 s84, s84, s87
	s_addc_u32 s86, 0, s86
	s_mul_hi_u32 s83, s0, s81
	s_add_u32 s82, s84, s82
	s_mul_i32 s81, s0, s81
	s_addc_u32 s82, s86, s85
	s_addc_u32 s83, s83, 0
	s_add_u32 s81, s82, s81
	s_addc_u32 s82, 0, s83
	s_add_u32 s65, s65, s81
	s_cselect_b32 s81, -1, 0
	v_mul_hi_u32 v43, v2, s65
	s_cmp_lg_u32 s81, 0
	v_mad_u64_u32 v[39:40], null, v36, s65, 0
	s_addc_u32 s0, s0, s82
	v_mad_u64_u32 v[15:16], null, v2, s0, 0
	v_mad_u64_u32 v[41:42], null, v36, s0, 0
	v_add_co_u32 v15, vcc_lo, v43, v15
	v_add_co_ci_u32_e64 v16, null, 0, v16, vcc_lo
	v_add_co_u32 v15, vcc_lo, v15, v39
	v_add_co_ci_u32_e32 v15, vcc_lo, v16, v40, vcc_lo
	v_add_co_ci_u32_e32 v16, vcc_lo, 0, v42, vcc_lo
	v_add_co_u32 v39, vcc_lo, v15, v41
	v_add_co_ci_u32_e64 v40, null, 0, v16, vcc_lo
	v_mul_lo_u32 v41, s67, v39
	v_mad_u64_u32 v[15:16], null, s66, v39, 0
	v_mul_lo_u32 v42, s66, v40
	v_sub_co_u32 v2, vcc_lo, v2, v15
	v_add3_u32 v16, v16, v42, v41
	v_sub_nc_u32_e32 v41, v36, v16
	v_sub_co_ci_u32_e64 v16, null, v36, v16, vcc_lo
	v_subrev_co_ci_u32_e64 v15, null, s67, v41, vcc_lo
	v_add_co_u32 v41, s0, v39, 2
	v_add_co_ci_u32_e64 v42, null, 0, v40, s0
	v_sub_co_u32 v43, s0, v2, s66
	v_subrev_co_ci_u32_e64 v15, null, 0, v15, s0
	v_cmp_le_u32_e32 vcc_lo, s66, v43
	v_cndmask_b32_e64 v36, 0, -1, vcc_lo
	v_cmp_le_u32_e32 vcc_lo, s67, v15
	v_cndmask_b32_e64 v43, 0, -1, vcc_lo
	;; [unrolled: 2-line block ×4, first 2 shown]
	v_cmp_eq_u32_e32 vcc_lo, s67, v15
	v_cndmask_b32_e32 v15, v43, v36, vcc_lo
	v_add_co_u32 v36, vcc_lo, v39, 1
	v_add_co_ci_u32_e64 v43, null, 0, v40, vcc_lo
	v_cmp_eq_u32_e32 vcc_lo, s67, v16
	v_xor_b32_e32 v16, s64, v21
	v_cndmask_b32_e32 v2, v44, v2, vcc_lo
	v_cmp_ne_u32_e32 vcc_lo, 0, v15
	v_cmp_ne_u32_e64 s0, 0, v2
	v_cndmask_b32_e32 v2, v36, v41, vcc_lo
	v_cndmask_b32_e32 v15, v43, v42, vcc_lo
	v_cndmask_b32_e64 v2, v39, v2, s0
	v_cndmask_b32_e64 v15, v40, v15, s0
	v_xor_b32_e32 v2, v2, v16
	v_xor_b32_e32 v36, v15, v16
	v_sub_co_u32 v15, vcc_lo, v2, v16
	v_sub_co_ci_u32_e64 v16, null, v36, v16, vcc_lo
.LBB15_33:                              ;   in Loop: Header=BB15_3 Depth=1
	s_andn2_saveexec_b32 s0, s1
	s_cbranch_execz .LBB15_35
; %bb.34:                               ;   in Loop: Header=BB15_3 Depth=1
	v_rcp_iflag_f32_e32 v2, v38
	s_sub_i32 s1, 0, s40
	v_mul_f32_e32 v2, 0x4f7ffffe, v2
	v_cvt_u32_f32_e32 v2, v2
	v_mul_lo_u32 v15, s1, v2
	v_mul_hi_u32 v15, v2, v15
	v_add_nc_u32_e32 v2, v2, v15
	v_mul_hi_u32 v2, v25, v2
	v_mul_lo_u32 v15, v2, s40
	v_add_nc_u32_e32 v16, 1, v2
	v_sub_nc_u32_e32 v15, v25, v15
	v_subrev_nc_u32_e32 v36, s40, v15
	v_cmp_le_u32_e32 vcc_lo, s40, v15
	v_cndmask_b32_e32 v15, v15, v36, vcc_lo
	v_cndmask_b32_e32 v2, v2, v16, vcc_lo
	v_cmp_le_u32_e32 vcc_lo, s40, v15
	v_add_nc_u32_e32 v16, 1, v2
	v_cndmask_b32_e32 v15, v2, v16, vcc_lo
	v_mov_b32_e32 v16, v1
.LBB15_35:                              ;   in Loop: Header=BB15_3 Depth=1
	s_or_b32 exec_lo, exec_lo, s0
	v_mul_lo_u32 v2, v16, s40
	v_mul_lo_u32 v36, v15, s41
	v_mad_u64_u32 v[39:40], null, v15, s40, 0
	v_mul_lo_u32 v41, v15, s17
	s_mov_b32 s0, exec_lo
	v_add3_u32 v2, v40, v36, v2
	v_mul_lo_u32 v36, v16, s16
	v_sub_co_u32 v16, vcc_lo, v11, v39
	v_sub_co_ci_u32_e64 v2, null, v12, v2, vcc_lo
	v_add_co_u32 v39, vcc_lo, v3, v16
	v_mad_u64_u32 v[15:16], null, v15, s16, 0
	v_add_co_ci_u32_e64 v2, null, v4, v2, vcc_lo
	v_mul_lo_u32 v42, v39, s19
	v_mad_u64_u32 v[39:40], null, v39, s18, 0
	v_mul_lo_u32 v2, v2, s18
	v_add3_u32 v16, v16, v41, v36
	v_lshlrev_b64 v[15:16], 1, v[15:16]
	v_add3_u32 v40, v40, v42, v2
	v_add_co_u32 v2, vcc_lo, s36, v15
	v_lshlrev_b64 v[39:40], 1, v[39:40]
	v_add_co_ci_u32_e64 v16, null, s37, v16, vcc_lo
	v_add_co_u32 v15, vcc_lo, v2, v39
	v_add_co_ci_u32_e64 v16, null, v16, v40, vcc_lo
	v_or_b32_e32 v2, s41, v37
	global_load_ushort v36, v[15:16], off
                                        ; implicit-def: $vgpr15_vgpr16
	v_cmpx_ne_u64_e32 0, v[1:2]
	s_xor_b32 s1, exec_lo, s0
	s_cbranch_execz .LBB15_37
; %bb.36:                               ;   in Loop: Header=BB15_3 Depth=1
	s_ashr_i32 s64, s41, 31
	v_add_co_u32 v16, vcc_lo, v35, v23
	s_add_u32 s66, s40, s64
	s_mov_b32 s65, s64
	s_addc_u32 s67, s41, s64
	v_add_co_ci_u32_e64 v38, null, v37, v23, vcc_lo
	s_xor_b64 s[66:67], s[66:67], s[64:65]
	v_cvt_f32_u32_e32 v2, s66
	v_cvt_f32_u32_e32 v15, s67
	s_sub_u32 s81, 0, s66
	s_subb_u32 s82, 0, s67
	v_xor_b32_e32 v42, v38, v23
	v_fmac_f32_e32 v2, 0x4f800000, v15
	v_rcp_f32_e32 v2, v2
	v_mul_f32_e32 v2, 0x5f7ffffc, v2
	v_mul_f32_e32 v15, 0x2f800000, v2
	v_trunc_f32_e32 v15, v15
	v_fmac_f32_e32 v2, 0xcf800000, v15
	v_cvt_u32_f32_e32 v15, v15
	v_cvt_u32_f32_e32 v2, v2
	v_readfirstlane_b32 s0, v15
	v_readfirstlane_b32 s65, v2
	s_mul_i32 s83, s81, s0
	v_xor_b32_e32 v2, v16, v23
	s_mul_hi_u32 s85, s81, s65
	s_mul_i32 s84, s82, s65
	s_add_i32 s83, s85, s83
	s_mul_i32 s86, s81, s65
	s_add_i32 s83, s83, s84
	s_mul_hi_u32 s85, s65, s86
	s_mul_i32 s88, s65, s83
	s_mul_hi_u32 s87, s0, s86
	s_mul_i32 s84, s0, s86
	s_mul_hi_u32 s86, s65, s83
	s_add_u32 s85, s85, s88
	s_addc_u32 s86, 0, s86
	s_mul_hi_u32 s89, s0, s83
	s_add_u32 s84, s85, s84
	s_mul_i32 s83, s0, s83
	s_addc_u32 s84, s86, s87
	s_addc_u32 s85, s89, 0
	s_add_u32 s83, s84, s83
	s_addc_u32 s84, 0, s85
	s_add_u32 s65, s65, s83
	s_cselect_b32 s83, -1, 0
	s_mul_hi_u32 s85, s81, s65
	s_cmp_lg_u32 s83, 0
	s_mul_i32 s83, s81, s65
	s_addc_u32 s0, s0, s84
	s_mul_i32 s82, s82, s65
	s_mul_i32 s81, s81, s0
	s_mul_hi_u32 s84, s65, s83
	s_add_i32 s81, s85, s81
	s_mul_hi_u32 s85, s0, s83
	s_add_i32 s81, s81, s82
	s_mul_i32 s82, s0, s83
	s_mul_i32 s87, s65, s81
	s_mul_hi_u32 s86, s65, s81
	s_add_u32 s84, s84, s87
	s_addc_u32 s86, 0, s86
	s_mul_hi_u32 s83, s0, s81
	s_add_u32 s82, s84, s82
	s_mul_i32 s81, s0, s81
	s_addc_u32 s82, s86, s85
	s_addc_u32 s83, s83, 0
	s_add_u32 s81, s82, s81
	s_addc_u32 s82, 0, s83
	s_add_u32 s65, s65, s81
	s_cselect_b32 s81, -1, 0
	v_mul_hi_u32 v43, v2, s65
	s_cmp_lg_u32 s81, 0
	v_mad_u64_u32 v[38:39], null, v42, s65, 0
	s_addc_u32 s0, s0, s82
	v_mad_u64_u32 v[15:16], null, v2, s0, 0
	v_mad_u64_u32 v[40:41], null, v42, s0, 0
	v_add_co_u32 v15, vcc_lo, v43, v15
	v_add_co_ci_u32_e64 v16, null, 0, v16, vcc_lo
	v_add_co_u32 v15, vcc_lo, v15, v38
	v_add_co_ci_u32_e32 v15, vcc_lo, v16, v39, vcc_lo
	v_add_co_ci_u32_e32 v16, vcc_lo, 0, v41, vcc_lo
	v_add_co_u32 v38, vcc_lo, v15, v40
	v_add_co_ci_u32_e64 v39, null, 0, v16, vcc_lo
	v_mul_lo_u32 v40, s67, v38
	v_mad_u64_u32 v[15:16], null, s66, v38, 0
	v_mul_lo_u32 v41, s66, v39
	v_sub_co_u32 v2, vcc_lo, v2, v15
	v_add3_u32 v16, v16, v41, v40
	v_sub_nc_u32_e32 v40, v42, v16
	v_sub_co_ci_u32_e64 v16, null, v42, v16, vcc_lo
	v_subrev_co_ci_u32_e64 v15, null, s67, v40, vcc_lo
	v_add_co_u32 v40, s0, v38, 2
	v_add_co_ci_u32_e64 v41, null, 0, v39, s0
	v_sub_co_u32 v43, s0, v2, s66
	v_subrev_co_ci_u32_e64 v15, null, 0, v15, s0
	v_cmp_le_u32_e32 vcc_lo, s66, v43
	v_cndmask_b32_e64 v42, 0, -1, vcc_lo
	v_cmp_le_u32_e32 vcc_lo, s67, v15
	v_cndmask_b32_e64 v43, 0, -1, vcc_lo
	;; [unrolled: 2-line block ×4, first 2 shown]
	v_cmp_eq_u32_e32 vcc_lo, s67, v15
	v_cndmask_b32_e32 v15, v43, v42, vcc_lo
	v_add_co_u32 v42, vcc_lo, v38, 1
	v_add_co_ci_u32_e64 v43, null, 0, v39, vcc_lo
	v_cmp_eq_u32_e32 vcc_lo, s67, v16
	v_xor_b32_e32 v16, s64, v23
	v_cndmask_b32_e32 v2, v44, v2, vcc_lo
	v_cmp_ne_u32_e32 vcc_lo, 0, v15
	v_cmp_ne_u32_e64 s0, 0, v2
	v_cndmask_b32_e32 v2, v42, v40, vcc_lo
	v_cndmask_b32_e32 v15, v43, v41, vcc_lo
	v_cndmask_b32_e64 v2, v38, v2, s0
	v_cndmask_b32_e64 v15, v39, v15, s0
	v_xor_b32_e32 v2, v2, v16
	v_xor_b32_e32 v38, v15, v16
	v_sub_co_u32 v15, vcc_lo, v2, v16
	v_sub_co_ci_u32_e64 v16, null, v38, v16, vcc_lo
                                        ; implicit-def: $vgpr38
.LBB15_37:                              ;   in Loop: Header=BB15_3 Depth=1
	s_andn2_saveexec_b32 s0, s1
	s_cbranch_execz .LBB15_39
; %bb.38:                               ;   in Loop: Header=BB15_3 Depth=1
	v_rcp_iflag_f32_e32 v2, v38
	s_sub_i32 s1, 0, s40
	v_mul_f32_e32 v2, 0x4f7ffffe, v2
	v_cvt_u32_f32_e32 v2, v2
	v_mul_lo_u32 v15, s1, v2
	v_mul_hi_u32 v15, v2, v15
	v_add_nc_u32_e32 v2, v2, v15
	v_mul_hi_u32 v2, v35, v2
	v_mul_lo_u32 v15, v2, s40
	v_add_nc_u32_e32 v16, 1, v2
	v_sub_nc_u32_e32 v15, v35, v15
	v_subrev_nc_u32_e32 v38, s40, v15
	v_cmp_le_u32_e32 vcc_lo, s40, v15
	v_cndmask_b32_e32 v15, v15, v38, vcc_lo
	v_cndmask_b32_e32 v2, v2, v16, vcc_lo
	v_cmp_le_u32_e32 vcc_lo, s40, v15
	v_add_nc_u32_e32 v16, 1, v2
	v_cndmask_b32_e32 v15, v2, v16, vcc_lo
	v_mov_b32_e32 v16, v1
.LBB15_39:                              ;   in Loop: Header=BB15_3 Depth=1
	s_or_b32 exec_lo, exec_lo, s0
	v_mul_lo_u32 v2, v16, s40
	v_mul_lo_u32 v40, v15, s41
	v_mad_u64_u32 v[38:39], null, v15, s40, 0
	v_mul_lo_u32 v41, v15, s17
	s_mov_b32 s0, exec_lo
	v_add3_u32 v2, v39, v40, v2
	v_mul_lo_u32 v40, v16, s16
	v_sub_co_u32 v16, vcc_lo, v13, v38
	v_sub_co_ci_u32_e64 v2, null, v14, v2, vcc_lo
	v_add_co_u32 v38, vcc_lo, v3, v16
	v_mad_u64_u32 v[15:16], null, v15, s16, 0
	v_add_co_ci_u32_e64 v2, null, v4, v2, vcc_lo
	v_mul_lo_u32 v42, v38, s19
	v_mad_u64_u32 v[38:39], null, v38, s18, 0
	v_mul_lo_u32 v2, v2, s18
	v_add3_u32 v16, v16, v41, v40
	v_lshlrev_b64 v[15:16], 1, v[15:16]
	v_add3_u32 v39, v39, v42, v2
	v_add_co_u32 v2, vcc_lo, s36, v15
	v_lshlrev_b64 v[38:39], 1, v[38:39]
	v_add_co_ci_u32_e64 v16, null, s37, v16, vcc_lo
	v_add_co_u32 v15, vcc_lo, v2, v38
	v_add_co_ci_u32_e64 v16, null, v16, v39, vcc_lo
	v_or_b32_e32 v2, s63, v20
	global_load_ushort v38, v[15:16], off
                                        ; implicit-def: $vgpr15_vgpr16
	v_cmpx_ne_u64_e32 0, v[1:2]
	s_xor_b32 s1, exec_lo, s0
	s_cbranch_execz .LBB15_41
; %bb.40:                               ;   in Loop: Header=BB15_3 Depth=1
	s_ashr_i32 s64, s63, 31
	v_add_co_u32 v16, vcc_lo, v18, v17
	s_add_u32 s66, s62, s64
	s_mov_b32 s65, s64
	s_addc_u32 s67, s63, s64
	v_add_co_ci_u32_e64 v18, null, v20, v17, vcc_lo
	s_xor_b64 s[66:67], s[66:67], s[64:65]
	v_cvt_f32_u32_e32 v2, s66
	v_cvt_f32_u32_e32 v15, s67
	s_sub_u32 s81, 0, s66
	s_subb_u32 s82, 0, s67
	v_xor_b32_e32 v18, v18, v17
	v_fmac_f32_e32 v2, 0x4f800000, v15
	v_rcp_f32_e32 v2, v2
	v_mul_f32_e32 v2, 0x5f7ffffc, v2
	v_mul_f32_e32 v15, 0x2f800000, v2
	v_trunc_f32_e32 v15, v15
	v_fmac_f32_e32 v2, 0xcf800000, v15
	v_cvt_u32_f32_e32 v15, v15
	v_cvt_u32_f32_e32 v2, v2
	v_readfirstlane_b32 s0, v15
	v_readfirstlane_b32 s65, v2
	s_mul_i32 s83, s81, s0
	v_xor_b32_e32 v2, v16, v17
	s_mul_hi_u32 s85, s81, s65
	s_mul_i32 s84, s82, s65
	s_add_i32 s83, s85, s83
	s_mul_i32 s86, s81, s65
	s_add_i32 s83, s83, s84
	s_mul_hi_u32 s85, s65, s86
	s_mul_i32 s88, s65, s83
	s_mul_hi_u32 s87, s0, s86
	s_mul_i32 s84, s0, s86
	s_mul_hi_u32 s86, s65, s83
	s_add_u32 s85, s85, s88
	s_addc_u32 s86, 0, s86
	s_mul_hi_u32 s89, s0, s83
	s_add_u32 s84, s85, s84
	s_mul_i32 s83, s0, s83
	s_addc_u32 s84, s86, s87
	s_addc_u32 s85, s89, 0
	s_add_u32 s83, s84, s83
	s_addc_u32 s84, 0, s85
	s_add_u32 s65, s65, s83
	s_cselect_b32 s83, -1, 0
	s_mul_hi_u32 s85, s81, s65
	s_cmp_lg_u32 s83, 0
	s_mul_i32 s83, s81, s65
	s_addc_u32 s0, s0, s84
	s_mul_i32 s82, s82, s65
	s_mul_i32 s81, s81, s0
	s_mul_hi_u32 s84, s65, s83
	s_add_i32 s81, s85, s81
	s_mul_hi_u32 s85, s0, s83
	s_add_i32 s81, s81, s82
	s_mul_i32 s82, s0, s83
	s_mul_i32 s87, s65, s81
	s_mul_hi_u32 s86, s65, s81
	s_add_u32 s84, s84, s87
	s_addc_u32 s86, 0, s86
	s_mul_hi_u32 s83, s0, s81
	s_add_u32 s82, s84, s82
	s_mul_i32 s81, s0, s81
	s_addc_u32 s82, s86, s85
	s_addc_u32 s83, s83, 0
	s_add_u32 s81, s82, s81
	s_addc_u32 s82, 0, s83
	s_add_u32 s65, s65, s81
	s_cselect_b32 s81, -1, 0
	v_mul_hi_u32 v20, v2, s65
	s_cmp_lg_u32 s81, 0
	v_mad_u64_u32 v[39:40], null, v18, s65, 0
	s_addc_u32 s0, s0, s82
	v_mad_u64_u32 v[15:16], null, v2, s0, 0
	v_mad_u64_u32 v[41:42], null, v18, s0, 0
	v_add_co_u32 v15, vcc_lo, v20, v15
	v_add_co_ci_u32_e64 v16, null, 0, v16, vcc_lo
	v_add_co_u32 v15, vcc_lo, v15, v39
	v_add_co_ci_u32_e32 v15, vcc_lo, v16, v40, vcc_lo
	v_add_co_ci_u32_e32 v16, vcc_lo, 0, v42, vcc_lo
	v_add_co_u32 v20, vcc_lo, v15, v41
	v_add_co_ci_u32_e64 v39, null, 0, v16, vcc_lo
	v_mul_lo_u32 v40, s67, v20
	v_mad_u64_u32 v[15:16], null, s66, v20, 0
	v_mul_lo_u32 v41, s66, v39
	v_sub_co_u32 v2, vcc_lo, v2, v15
	v_add3_u32 v16, v16, v41, v40
	v_sub_nc_u32_e32 v40, v18, v16
	v_sub_co_ci_u32_e64 v16, null, v18, v16, vcc_lo
	v_subrev_co_ci_u32_e64 v15, null, s67, v40, vcc_lo
	v_add_co_u32 v40, s0, v20, 2
	v_add_co_ci_u32_e64 v41, null, 0, v39, s0
	v_sub_co_u32 v42, s0, v2, s66
	v_subrev_co_ci_u32_e64 v15, null, 0, v15, s0
	v_cmp_le_u32_e32 vcc_lo, s66, v42
	v_cndmask_b32_e64 v18, 0, -1, vcc_lo
	v_cmp_le_u32_e32 vcc_lo, s67, v15
	v_cndmask_b32_e64 v42, 0, -1, vcc_lo
	;; [unrolled: 2-line block ×4, first 2 shown]
	v_cmp_eq_u32_e32 vcc_lo, s67, v15
	v_cndmask_b32_e32 v15, v42, v18, vcc_lo
	v_add_co_u32 v18, vcc_lo, v20, 1
	v_add_co_ci_u32_e64 v42, null, 0, v39, vcc_lo
	v_cmp_eq_u32_e32 vcc_lo, s67, v16
	v_xor_b32_e32 v16, s64, v17
	v_cndmask_b32_e32 v2, v43, v2, vcc_lo
	v_cmp_ne_u32_e32 vcc_lo, 0, v15
	v_cmp_ne_u32_e64 s0, 0, v2
	v_cndmask_b32_e32 v2, v18, v40, vcc_lo
	v_cndmask_b32_e32 v15, v42, v41, vcc_lo
                                        ; implicit-def: $vgpr18
	v_cndmask_b32_e64 v2, v20, v2, s0
	v_cndmask_b32_e64 v15, v39, v15, s0
	v_xor_b32_e32 v2, v2, v16
	v_xor_b32_e32 v17, v15, v16
	v_sub_co_u32 v15, vcc_lo, v2, v16
	v_sub_co_ci_u32_e64 v16, null, v17, v16, vcc_lo
.LBB15_41:                              ;   in Loop: Header=BB15_3 Depth=1
	s_or_saveexec_b32 s0, s1
	v_cvt_f32_u32_e32 v39, s62
	s_xor_b32 exec_lo, exec_lo, s0
	s_cbranch_execz .LBB15_43
; %bb.42:                               ;   in Loop: Header=BB15_3 Depth=1
	v_rcp_iflag_f32_e32 v2, v39
	s_sub_i32 s1, 0, s62
	v_mul_f32_e32 v2, 0x4f7ffffe, v2
	v_cvt_u32_f32_e32 v2, v2
	v_mul_lo_u32 v15, s1, v2
	v_mul_hi_u32 v15, v2, v15
	v_add_nc_u32_e32 v2, v2, v15
	v_mul_hi_u32 v2, v18, v2
	v_mul_lo_u32 v15, v2, s62
	v_add_nc_u32_e32 v16, 1, v2
	v_sub_nc_u32_e32 v15, v18, v15
	v_subrev_nc_u32_e32 v17, s62, v15
	v_cmp_le_u32_e32 vcc_lo, s62, v15
	v_cndmask_b32_e32 v15, v15, v17, vcc_lo
	v_cndmask_b32_e32 v2, v2, v16, vcc_lo
	v_cmp_le_u32_e32 vcc_lo, s62, v15
	v_add_nc_u32_e32 v16, 1, v2
	v_cndmask_b32_e32 v15, v2, v16, vcc_lo
	v_mov_b32_e32 v16, v1
.LBB15_43:                              ;   in Loop: Header=BB15_3 Depth=1
	s_or_b32 exec_lo, exec_lo, s0
	v_or_b32_e32 v2, s63, v24
                                        ; implicit-def: $vgpr17_vgpr18
	s_mov_b32 s0, exec_lo
	v_cmpx_ne_u64_e32 0, v[1:2]
	s_xor_b32 s1, exec_lo, s0
	s_cbranch_execz .LBB15_45
; %bb.44:                               ;   in Loop: Header=BB15_3 Depth=1
	s_ashr_i32 s64, s63, 31
	v_add_co_u32 v18, vcc_lo, v22, v19
	s_add_u32 s66, s62, s64
	s_mov_b32 s65, s64
	s_addc_u32 s67, s63, s64
	v_add_co_ci_u32_e64 v20, null, v24, v19, vcc_lo
	s_xor_b64 s[66:67], s[66:67], s[64:65]
	v_cvt_f32_u32_e32 v2, s66
	v_cvt_f32_u32_e32 v17, s67
	s_sub_u32 s81, 0, s66
	s_subb_u32 s82, 0, s67
	v_xor_b32_e32 v20, v20, v19
	v_fmac_f32_e32 v2, 0x4f800000, v17
	v_rcp_f32_e32 v2, v2
	v_mul_f32_e32 v2, 0x5f7ffffc, v2
	v_mul_f32_e32 v17, 0x2f800000, v2
	v_trunc_f32_e32 v17, v17
	v_fmac_f32_e32 v2, 0xcf800000, v17
	v_cvt_u32_f32_e32 v17, v17
	v_cvt_u32_f32_e32 v2, v2
	v_readfirstlane_b32 s0, v17
	v_readfirstlane_b32 s65, v2
	s_mul_i32 s83, s81, s0
	v_xor_b32_e32 v2, v18, v19
	s_mul_hi_u32 s85, s81, s65
	s_mul_i32 s84, s82, s65
	s_add_i32 s83, s85, s83
	s_mul_i32 s86, s81, s65
	s_add_i32 s83, s83, s84
	s_mul_hi_u32 s85, s65, s86
	s_mul_i32 s88, s65, s83
	s_mul_hi_u32 s87, s0, s86
	s_mul_i32 s84, s0, s86
	s_mul_hi_u32 s86, s65, s83
	s_add_u32 s85, s85, s88
	s_addc_u32 s86, 0, s86
	s_mul_hi_u32 s89, s0, s83
	s_add_u32 s84, s85, s84
	s_mul_i32 s83, s0, s83
	s_addc_u32 s84, s86, s87
	s_addc_u32 s85, s89, 0
	s_add_u32 s83, s84, s83
	s_addc_u32 s84, 0, s85
	s_add_u32 s65, s65, s83
	s_cselect_b32 s83, -1, 0
	s_mul_hi_u32 s85, s81, s65
	s_cmp_lg_u32 s83, 0
	s_mul_i32 s83, s81, s65
	s_addc_u32 s0, s0, s84
	s_mul_i32 s82, s82, s65
	s_mul_i32 s81, s81, s0
	s_mul_hi_u32 s84, s65, s83
	s_add_i32 s81, s85, s81
	s_mul_hi_u32 s85, s0, s83
	s_add_i32 s81, s81, s82
	s_mul_i32 s82, s0, s83
	s_mul_i32 s87, s65, s81
	s_mul_hi_u32 s86, s65, s81
	s_add_u32 s84, s84, s87
	s_addc_u32 s86, 0, s86
	s_mul_hi_u32 s83, s0, s81
	s_add_u32 s82, s84, s82
	s_mul_i32 s81, s0, s81
	s_addc_u32 s82, s86, s85
	s_addc_u32 s83, s83, 0
	s_add_u32 s81, s82, s81
	s_addc_u32 s82, 0, s83
	s_add_u32 s65, s65, s81
	s_cselect_b32 s81, -1, 0
	v_mul_hi_u32 v22, v2, s65
	s_cmp_lg_u32 s81, 0
	v_mad_u64_u32 v[40:41], null, v20, s65, 0
	s_addc_u32 s0, s0, s82
	v_mad_u64_u32 v[17:18], null, v2, s0, 0
	v_mad_u64_u32 v[42:43], null, v20, s0, 0
	v_add_co_u32 v17, vcc_lo, v22, v17
	v_add_co_ci_u32_e64 v18, null, 0, v18, vcc_lo
	v_add_co_u32 v17, vcc_lo, v17, v40
	v_add_co_ci_u32_e32 v17, vcc_lo, v18, v41, vcc_lo
	v_add_co_ci_u32_e32 v18, vcc_lo, 0, v43, vcc_lo
	v_add_co_u32 v22, vcc_lo, v17, v42
	v_add_co_ci_u32_e64 v24, null, 0, v18, vcc_lo
	v_mul_lo_u32 v40, s67, v22
	v_mad_u64_u32 v[17:18], null, s66, v22, 0
	v_mul_lo_u32 v41, s66, v24
	v_sub_co_u32 v2, vcc_lo, v2, v17
	v_add3_u32 v18, v18, v41, v40
	v_sub_nc_u32_e32 v40, v20, v18
	v_sub_co_ci_u32_e64 v18, null, v20, v18, vcc_lo
	v_subrev_co_ci_u32_e64 v17, null, s67, v40, vcc_lo
	v_add_co_u32 v40, s0, v22, 2
	v_add_co_ci_u32_e64 v41, null, 0, v24, s0
	v_sub_co_u32 v42, s0, v2, s66
	v_subrev_co_ci_u32_e64 v17, null, 0, v17, s0
	v_cmp_le_u32_e32 vcc_lo, s66, v42
	v_cndmask_b32_e64 v20, 0, -1, vcc_lo
	v_cmp_le_u32_e32 vcc_lo, s67, v17
	v_cndmask_b32_e64 v42, 0, -1, vcc_lo
	;; [unrolled: 2-line block ×4, first 2 shown]
	v_cmp_eq_u32_e32 vcc_lo, s67, v17
	v_cndmask_b32_e32 v17, v42, v20, vcc_lo
	v_add_co_u32 v20, vcc_lo, v22, 1
	v_add_co_ci_u32_e64 v42, null, 0, v24, vcc_lo
	v_cmp_eq_u32_e32 vcc_lo, s67, v18
	v_xor_b32_e32 v18, s64, v19
	v_cndmask_b32_e32 v2, v43, v2, vcc_lo
	v_cmp_ne_u32_e32 vcc_lo, 0, v17
	v_cmp_ne_u32_e64 s0, 0, v2
	v_cndmask_b32_e32 v2, v20, v40, vcc_lo
	v_cndmask_b32_e32 v17, v42, v41, vcc_lo
	v_cndmask_b32_e64 v2, v22, v2, s0
	v_cndmask_b32_e64 v17, v24, v17, s0
                                        ; implicit-def: $vgpr22
	v_xor_b32_e32 v2, v2, v18
	v_xor_b32_e32 v19, v17, v18
	v_sub_co_u32 v17, vcc_lo, v2, v18
	v_sub_co_ci_u32_e64 v18, null, v19, v18, vcc_lo
.LBB15_45:                              ;   in Loop: Header=BB15_3 Depth=1
	s_andn2_saveexec_b32 s0, s1
	s_cbranch_execz .LBB15_47
; %bb.46:                               ;   in Loop: Header=BB15_3 Depth=1
	v_rcp_iflag_f32_e32 v2, v39
	s_sub_i32 s1, 0, s62
	v_mul_f32_e32 v2, 0x4f7ffffe, v2
	v_cvt_u32_f32_e32 v2, v2
	v_mul_lo_u32 v17, s1, v2
	v_mul_hi_u32 v17, v2, v17
	v_add_nc_u32_e32 v2, v2, v17
	v_mul_hi_u32 v2, v22, v2
	v_mul_lo_u32 v17, v2, s62
	v_add_nc_u32_e32 v18, 1, v2
	v_sub_nc_u32_e32 v17, v22, v17
	v_subrev_nc_u32_e32 v19, s62, v17
	v_cmp_le_u32_e32 vcc_lo, s62, v17
	v_cndmask_b32_e32 v17, v17, v19, vcc_lo
	v_cndmask_b32_e32 v2, v2, v18, vcc_lo
	v_cmp_le_u32_e32 vcc_lo, s62, v17
	v_add_nc_u32_e32 v18, 1, v2
	v_cndmask_b32_e32 v17, v2, v18, vcc_lo
	v_mov_b32_e32 v18, v1
.LBB15_47:                              ;   in Loop: Header=BB15_3 Depth=1
	s_or_b32 exec_lo, exec_lo, s0
	v_or_b32_e32 v2, s63, v26
                                        ; implicit-def: $vgpr19_vgpr20
	s_mov_b32 s0, exec_lo
	v_cmpx_ne_u64_e32 0, v[1:2]
	s_xor_b32 s1, exec_lo, s0
	s_cbranch_execz .LBB15_49
; %bb.48:                               ;   in Loop: Header=BB15_3 Depth=1
	s_ashr_i32 s64, s63, 31
	v_add_co_u32 v20, vcc_lo, v25, v21
	s_add_u32 s66, s62, s64
	s_mov_b32 s65, s64
	s_addc_u32 s67, s63, s64
	v_add_co_ci_u32_e64 v22, null, v26, v21, vcc_lo
	s_xor_b64 s[66:67], s[66:67], s[64:65]
	v_cvt_f32_u32_e32 v2, s66
	v_cvt_f32_u32_e32 v19, s67
	s_sub_u32 s81, 0, s66
	s_subb_u32 s82, 0, s67
	v_xor_b32_e32 v22, v22, v21
	v_fmac_f32_e32 v2, 0x4f800000, v19
	v_rcp_f32_e32 v2, v2
	v_mul_f32_e32 v2, 0x5f7ffffc, v2
	v_mul_f32_e32 v19, 0x2f800000, v2
	v_trunc_f32_e32 v19, v19
	v_fmac_f32_e32 v2, 0xcf800000, v19
	v_cvt_u32_f32_e32 v19, v19
	v_cvt_u32_f32_e32 v2, v2
	v_readfirstlane_b32 s0, v19
	v_readfirstlane_b32 s65, v2
	s_mul_i32 s83, s81, s0
	v_xor_b32_e32 v2, v20, v21
	s_mul_hi_u32 s85, s81, s65
	s_mul_i32 s84, s82, s65
	s_add_i32 s83, s85, s83
	s_mul_i32 s86, s81, s65
	s_add_i32 s83, s83, s84
	s_mul_hi_u32 s85, s65, s86
	s_mul_i32 s88, s65, s83
	s_mul_hi_u32 s87, s0, s86
	s_mul_i32 s84, s0, s86
	s_mul_hi_u32 s86, s65, s83
	s_add_u32 s85, s85, s88
	s_addc_u32 s86, 0, s86
	s_mul_hi_u32 s89, s0, s83
	s_add_u32 s84, s85, s84
	s_mul_i32 s83, s0, s83
	s_addc_u32 s84, s86, s87
	s_addc_u32 s85, s89, 0
	s_add_u32 s83, s84, s83
	s_addc_u32 s84, 0, s85
	s_add_u32 s65, s65, s83
	s_cselect_b32 s83, -1, 0
	s_mul_hi_u32 s85, s81, s65
	s_cmp_lg_u32 s83, 0
	s_mul_i32 s83, s81, s65
	s_addc_u32 s0, s0, s84
	s_mul_i32 s82, s82, s65
	s_mul_i32 s81, s81, s0
	s_mul_hi_u32 s84, s65, s83
	s_add_i32 s81, s85, s81
	s_mul_hi_u32 s85, s0, s83
	s_add_i32 s81, s81, s82
	s_mul_i32 s82, s0, s83
	s_mul_i32 s87, s65, s81
	s_mul_hi_u32 s86, s65, s81
	s_add_u32 s84, s84, s87
	s_addc_u32 s86, 0, s86
	s_mul_hi_u32 s83, s0, s81
	s_add_u32 s82, s84, s82
	s_mul_i32 s81, s0, s81
	s_addc_u32 s82, s86, s85
	s_addc_u32 s83, s83, 0
	s_add_u32 s81, s82, s81
	s_addc_u32 s82, 0, s83
	s_add_u32 s65, s65, s81
	s_cselect_b32 s81, -1, 0
	v_mul_hi_u32 v26, v2, s65
	s_cmp_lg_u32 s81, 0
	v_mad_u64_u32 v[24:25], null, v22, s65, 0
	s_addc_u32 s0, s0, s82
	v_mad_u64_u32 v[19:20], null, v2, s0, 0
	v_mad_u64_u32 v[40:41], null, v22, s0, 0
	v_add_co_u32 v19, vcc_lo, v26, v19
	v_add_co_ci_u32_e64 v20, null, 0, v20, vcc_lo
	v_add_co_u32 v19, vcc_lo, v19, v24
	v_add_co_ci_u32_e32 v19, vcc_lo, v20, v25, vcc_lo
	v_add_co_ci_u32_e32 v20, vcc_lo, 0, v41, vcc_lo
	v_add_co_u32 v24, vcc_lo, v19, v40
	v_add_co_ci_u32_e64 v25, null, 0, v20, vcc_lo
	v_mul_lo_u32 v26, s67, v24
	v_mad_u64_u32 v[19:20], null, s66, v24, 0
	v_mul_lo_u32 v40, s66, v25
	v_sub_co_u32 v2, vcc_lo, v2, v19
	v_add3_u32 v20, v20, v40, v26
	v_sub_nc_u32_e32 v26, v22, v20
	v_sub_co_ci_u32_e64 v20, null, v22, v20, vcc_lo
	v_subrev_co_ci_u32_e64 v19, null, s67, v26, vcc_lo
	v_add_co_u32 v26, s0, v24, 2
	v_add_co_ci_u32_e64 v40, null, 0, v25, s0
	v_sub_co_u32 v41, s0, v2, s66
	v_subrev_co_ci_u32_e64 v19, null, 0, v19, s0
	v_cmp_le_u32_e32 vcc_lo, s66, v41
	v_cndmask_b32_e64 v22, 0, -1, vcc_lo
	v_cmp_le_u32_e32 vcc_lo, s67, v19
	v_cndmask_b32_e64 v41, 0, -1, vcc_lo
	;; [unrolled: 2-line block ×4, first 2 shown]
	v_cmp_eq_u32_e32 vcc_lo, s67, v19
	v_cndmask_b32_e32 v19, v41, v22, vcc_lo
	v_add_co_u32 v22, vcc_lo, v24, 1
	v_add_co_ci_u32_e64 v41, null, 0, v25, vcc_lo
	v_cmp_eq_u32_e32 vcc_lo, s67, v20
	v_xor_b32_e32 v20, s64, v21
	v_cndmask_b32_e32 v2, v42, v2, vcc_lo
	v_cmp_ne_u32_e32 vcc_lo, 0, v19
	v_cmp_ne_u32_e64 s0, 0, v2
	v_cndmask_b32_e32 v2, v22, v26, vcc_lo
	v_cndmask_b32_e32 v19, v41, v40, vcc_lo
	v_cndmask_b32_e64 v2, v24, v2, s0
	v_cndmask_b32_e64 v19, v25, v19, s0
                                        ; implicit-def: $vgpr25
	v_xor_b32_e32 v2, v2, v20
	v_xor_b32_e32 v21, v19, v20
	v_sub_co_u32 v19, vcc_lo, v2, v20
	v_sub_co_ci_u32_e64 v20, null, v21, v20, vcc_lo
.LBB15_49:                              ;   in Loop: Header=BB15_3 Depth=1
	s_andn2_saveexec_b32 s0, s1
	s_cbranch_execz .LBB15_51
; %bb.50:                               ;   in Loop: Header=BB15_3 Depth=1
	v_rcp_iflag_f32_e32 v2, v39
	s_sub_i32 s1, 0, s62
	v_mul_f32_e32 v2, 0x4f7ffffe, v2
	v_cvt_u32_f32_e32 v2, v2
	v_mul_lo_u32 v19, s1, v2
	v_mul_hi_u32 v19, v2, v19
	v_add_nc_u32_e32 v2, v2, v19
	v_mul_hi_u32 v2, v25, v2
	v_mul_lo_u32 v19, v2, s62
	v_add_nc_u32_e32 v20, 1, v2
	v_sub_nc_u32_e32 v19, v25, v19
	v_subrev_nc_u32_e32 v21, s62, v19
	v_cmp_le_u32_e32 vcc_lo, s62, v19
	v_cndmask_b32_e32 v19, v19, v21, vcc_lo
	v_cndmask_b32_e32 v2, v2, v20, vcc_lo
	v_cmp_le_u32_e32 vcc_lo, s62, v19
	v_add_nc_u32_e32 v20, 1, v2
	v_cndmask_b32_e32 v19, v2, v20, vcc_lo
	v_mov_b32_e32 v20, v1
.LBB15_51:                              ;   in Loop: Header=BB15_3 Depth=1
	s_or_b32 exec_lo, exec_lo, s0
	v_or_b32_e32 v2, s63, v37
                                        ; implicit-def: $vgpr21_vgpr22
	s_mov_b32 s0, exec_lo
	v_cmpx_ne_u64_e32 0, v[1:2]
	s_xor_b32 s1, exec_lo, s0
	s_cbranch_execz .LBB15_53
; %bb.52:                               ;   in Loop: Header=BB15_3 Depth=1
	s_ashr_i32 s64, s63, 31
	v_add_co_u32 v22, vcc_lo, v35, v23
	s_add_u32 s66, s62, s64
	s_mov_b32 s65, s64
	s_addc_u32 s67, s63, s64
	v_add_co_ci_u32_e64 v24, null, v37, v23, vcc_lo
	s_xor_b64 s[66:67], s[66:67], s[64:65]
	v_cvt_f32_u32_e32 v2, s66
	v_cvt_f32_u32_e32 v21, s67
	s_sub_u32 s81, 0, s66
	s_subb_u32 s82, 0, s67
	v_xor_b32_e32 v26, v24, v23
	v_fmac_f32_e32 v2, 0x4f800000, v21
	v_rcp_f32_e32 v2, v2
	v_mul_f32_e32 v2, 0x5f7ffffc, v2
	v_mul_f32_e32 v21, 0x2f800000, v2
	v_trunc_f32_e32 v21, v21
	v_fmac_f32_e32 v2, 0xcf800000, v21
	v_cvt_u32_f32_e32 v21, v21
	v_cvt_u32_f32_e32 v2, v2
	v_readfirstlane_b32 s0, v21
	v_readfirstlane_b32 s65, v2
	s_mul_i32 s83, s81, s0
	v_xor_b32_e32 v2, v22, v23
	s_mul_hi_u32 s85, s81, s65
	s_mul_i32 s84, s82, s65
	s_add_i32 s83, s85, s83
	s_mul_i32 s86, s81, s65
	s_add_i32 s83, s83, s84
	s_mul_hi_u32 s85, s65, s86
	s_mul_i32 s88, s65, s83
	s_mul_hi_u32 s87, s0, s86
	s_mul_i32 s84, s0, s86
	s_mul_hi_u32 s86, s65, s83
	s_add_u32 s85, s85, s88
	s_addc_u32 s86, 0, s86
	s_mul_hi_u32 s89, s0, s83
	s_add_u32 s84, s85, s84
	s_mul_i32 s83, s0, s83
	s_addc_u32 s84, s86, s87
	s_addc_u32 s85, s89, 0
	s_add_u32 s83, s84, s83
	s_addc_u32 s84, 0, s85
	s_add_u32 s65, s65, s83
	s_cselect_b32 s83, -1, 0
	s_mul_hi_u32 s85, s81, s65
	s_cmp_lg_u32 s83, 0
	s_mul_i32 s83, s81, s65
	s_addc_u32 s0, s0, s84
	s_mul_i32 s82, s82, s65
	s_mul_i32 s81, s81, s0
	s_mul_hi_u32 s84, s65, s83
	s_add_i32 s81, s85, s81
	s_mul_hi_u32 s85, s0, s83
	s_add_i32 s81, s81, s82
	s_mul_i32 s82, s0, s83
	s_mul_i32 s87, s65, s81
	s_mul_hi_u32 s86, s65, s81
	s_add_u32 s84, s84, s87
	s_addc_u32 s86, 0, s86
	s_mul_hi_u32 s83, s0, s81
	s_add_u32 s82, s84, s82
	s_mul_i32 s81, s0, s81
	s_addc_u32 s82, s86, s85
	s_addc_u32 s83, s83, 0
	s_add_u32 s81, s82, s81
	s_addc_u32 s82, 0, s83
	s_add_u32 s65, s65, s81
	s_cselect_b32 s81, -1, 0
	v_mul_hi_u32 v35, v2, s65
	s_cmp_lg_u32 s81, 0
	v_mad_u64_u32 v[24:25], null, v26, s65, 0
	s_addc_u32 s0, s0, s82
	v_mad_u64_u32 v[21:22], null, v2, s0, 0
	v_mad_u64_u32 v[39:40], null, v26, s0, 0
	v_add_co_u32 v21, vcc_lo, v35, v21
	v_add_co_ci_u32_e64 v22, null, 0, v22, vcc_lo
	v_add_co_u32 v21, vcc_lo, v21, v24
	v_add_co_ci_u32_e32 v21, vcc_lo, v22, v25, vcc_lo
	v_add_co_ci_u32_e32 v22, vcc_lo, 0, v40, vcc_lo
	v_add_co_u32 v24, vcc_lo, v21, v39
	v_add_co_ci_u32_e64 v25, null, 0, v22, vcc_lo
	v_mul_lo_u32 v35, s67, v24
	v_mad_u64_u32 v[21:22], null, s66, v24, 0
	v_mul_lo_u32 v37, s66, v25
	v_sub_co_u32 v2, vcc_lo, v2, v21
	v_add3_u32 v22, v22, v37, v35
	v_sub_nc_u32_e32 v35, v26, v22
	v_sub_co_ci_u32_e64 v22, null, v26, v22, vcc_lo
	v_subrev_co_ci_u32_e64 v21, null, s67, v35, vcc_lo
	v_add_co_u32 v35, s0, v24, 2
	v_add_co_ci_u32_e64 v37, null, 0, v25, s0
	v_sub_co_u32 v39, s0, v2, s66
	v_subrev_co_ci_u32_e64 v21, null, 0, v21, s0
	v_cmp_le_u32_e32 vcc_lo, s66, v39
	v_cndmask_b32_e64 v26, 0, -1, vcc_lo
	v_cmp_le_u32_e32 vcc_lo, s67, v21
	v_cndmask_b32_e64 v39, 0, -1, vcc_lo
	;; [unrolled: 2-line block ×4, first 2 shown]
	v_cmp_eq_u32_e32 vcc_lo, s67, v21
	v_cndmask_b32_e32 v21, v39, v26, vcc_lo
	v_add_co_u32 v26, vcc_lo, v24, 1
	v_add_co_ci_u32_e64 v39, null, 0, v25, vcc_lo
	v_cmp_eq_u32_e32 vcc_lo, s67, v22
	v_xor_b32_e32 v22, s64, v23
	v_cndmask_b32_e32 v2, v40, v2, vcc_lo
	v_cmp_ne_u32_e32 vcc_lo, 0, v21
	v_cmp_ne_u32_e64 s0, 0, v2
	v_cndmask_b32_e32 v2, v26, v35, vcc_lo
	v_cndmask_b32_e32 v21, v39, v37, vcc_lo
                                        ; implicit-def: $vgpr39
                                        ; implicit-def: $vgpr35
	v_cndmask_b32_e64 v2, v24, v2, s0
	v_cndmask_b32_e64 v21, v25, v21, s0
	v_xor_b32_e32 v2, v2, v22
	v_xor_b32_e32 v23, v21, v22
	v_sub_co_u32 v21, vcc_lo, v2, v22
	v_sub_co_ci_u32_e64 v22, null, v23, v22, vcc_lo
.LBB15_53:                              ;   in Loop: Header=BB15_3 Depth=1
	s_andn2_saveexec_b32 s0, s1
	s_cbranch_execz .LBB15_55
; %bb.54:                               ;   in Loop: Header=BB15_3 Depth=1
	v_rcp_iflag_f32_e32 v2, v39
	s_sub_i32 s1, 0, s62
	v_mul_f32_e32 v2, 0x4f7ffffe, v2
	v_cvt_u32_f32_e32 v2, v2
	v_mul_lo_u32 v21, s1, v2
	v_mul_hi_u32 v21, v2, v21
	v_add_nc_u32_e32 v2, v2, v21
	v_mul_hi_u32 v2, v35, v2
	v_mul_lo_u32 v21, v2, s62
	v_add_nc_u32_e32 v22, 1, v2
	v_sub_nc_u32_e32 v21, v35, v21
	v_subrev_nc_u32_e32 v23, s62, v21
	v_cmp_le_u32_e32 vcc_lo, s62, v21
	v_cndmask_b32_e32 v21, v21, v23, vcc_lo
	v_cndmask_b32_e32 v2, v2, v22, vcc_lo
	v_cmp_le_u32_e32 vcc_lo, s62, v21
	v_add_nc_u32_e32 v22, 1, v2
	v_cndmask_b32_e32 v21, v2, v22, vcc_lo
	v_mov_b32_e32 v22, v1
.LBB15_55:                              ;   in Loop: Header=BB15_3 Depth=1
	s_or_b32 exec_lo, exec_lo, s0
	v_or_b32_e32 v2, s51, v4
                                        ; implicit-def: $vgpr23_vgpr24
	s_mov_b32 s0, exec_lo
	v_cmpx_ne_u64_e32 0, v[1:2]
	s_xor_b32 s1, exec_lo, s0
	s_cbranch_execz .LBB15_57
; %bb.56:                               ;   in Loop: Header=BB15_3 Depth=1
	s_ashr_i32 s64, s51, 31
	v_add_co_u32 v24, vcc_lo, v3, v28
	s_add_u32 s66, s50, s64
	s_mov_b32 s65, s64
	s_addc_u32 s67, s51, s64
	v_add_co_ci_u32_e64 v25, null, v4, v28, vcc_lo
	s_xor_b64 s[66:67], s[66:67], s[64:65]
	v_cvt_f32_u32_e32 v2, s66
	v_cvt_f32_u32_e32 v23, s67
	s_sub_u32 s81, 0, s66
	s_subb_u32 s82, 0, s67
	v_xor_b32_e32 v35, v25, v28
	v_fmac_f32_e32 v2, 0x4f800000, v23
	v_rcp_f32_e32 v2, v2
	v_mul_f32_e32 v2, 0x5f7ffffc, v2
	v_mul_f32_e32 v23, 0x2f800000, v2
	v_trunc_f32_e32 v23, v23
	v_fmac_f32_e32 v2, 0xcf800000, v23
	v_cvt_u32_f32_e32 v23, v23
	v_cvt_u32_f32_e32 v2, v2
	v_readfirstlane_b32 s0, v23
	v_readfirstlane_b32 s65, v2
	s_mul_i32 s83, s81, s0
	v_xor_b32_e32 v2, v24, v28
	s_mul_hi_u32 s85, s81, s65
	s_mul_i32 s84, s82, s65
	s_add_i32 s83, s85, s83
	s_mul_i32 s86, s81, s65
	s_add_i32 s83, s83, s84
	s_mul_hi_u32 s85, s65, s86
	s_mul_i32 s88, s65, s83
	s_mul_hi_u32 s87, s0, s86
	s_mul_i32 s84, s0, s86
	s_mul_hi_u32 s86, s65, s83
	s_add_u32 s85, s85, s88
	s_addc_u32 s86, 0, s86
	s_mul_hi_u32 s89, s0, s83
	s_add_u32 s84, s85, s84
	s_mul_i32 s83, s0, s83
	s_addc_u32 s84, s86, s87
	s_addc_u32 s85, s89, 0
	s_add_u32 s83, s84, s83
	s_addc_u32 s84, 0, s85
	s_add_u32 s65, s65, s83
	s_cselect_b32 s83, -1, 0
	s_mul_hi_u32 s85, s81, s65
	s_cmp_lg_u32 s83, 0
	s_mul_i32 s83, s81, s65
	s_addc_u32 s0, s0, s84
	s_mul_i32 s82, s82, s65
	s_mul_i32 s81, s81, s0
	s_mul_hi_u32 s84, s65, s83
	s_add_i32 s81, s85, s81
	s_mul_hi_u32 s85, s0, s83
	s_add_i32 s81, s81, s82
	s_mul_i32 s82, s0, s83
	s_mul_i32 s87, s65, s81
	s_mul_hi_u32 s86, s65, s81
	s_add_u32 s84, s84, s87
	s_addc_u32 s86, 0, s86
	s_mul_hi_u32 s83, s0, s81
	s_add_u32 s82, s84, s82
	s_mul_i32 s81, s0, s81
	s_addc_u32 s82, s86, s85
	s_addc_u32 s83, s83, 0
	s_add_u32 s81, s82, s81
	s_addc_u32 s82, 0, s83
	s_add_u32 s65, s65, s81
	s_cselect_b32 s81, -1, 0
	v_mul_hi_u32 v37, v2, s65
	s_cmp_lg_u32 s81, 0
	v_mad_u64_u32 v[25:26], null, v35, s65, 0
	s_addc_u32 s0, s0, s82
	v_mad_u64_u32 v[23:24], null, v2, s0, 0
	v_mad_u64_u32 v[39:40], null, v35, s0, 0
	v_add_co_u32 v23, vcc_lo, v37, v23
	v_add_co_ci_u32_e64 v24, null, 0, v24, vcc_lo
	v_add_co_u32 v23, vcc_lo, v23, v25
	v_add_co_ci_u32_e32 v23, vcc_lo, v24, v26, vcc_lo
	v_add_co_ci_u32_e32 v24, vcc_lo, 0, v40, vcc_lo
	v_add_co_u32 v25, vcc_lo, v23, v39
	v_add_co_ci_u32_e64 v26, null, 0, v24, vcc_lo
	v_mul_lo_u32 v37, s67, v25
	v_mad_u64_u32 v[23:24], null, s66, v25, 0
	v_mul_lo_u32 v39, s66, v26
	v_sub_co_u32 v2, vcc_lo, v2, v23
	v_add3_u32 v24, v24, v39, v37
	v_sub_nc_u32_e32 v37, v35, v24
	v_sub_co_ci_u32_e64 v24, null, v35, v24, vcc_lo
	v_subrev_co_ci_u32_e64 v23, null, s67, v37, vcc_lo
	v_add_co_u32 v37, s0, v25, 2
	v_add_co_ci_u32_e64 v39, null, 0, v26, s0
	v_sub_co_u32 v40, s0, v2, s66
	v_subrev_co_ci_u32_e64 v23, null, 0, v23, s0
	v_cmp_le_u32_e32 vcc_lo, s66, v40
	v_cndmask_b32_e64 v35, 0, -1, vcc_lo
	v_cmp_le_u32_e32 vcc_lo, s67, v23
	v_cndmask_b32_e64 v40, 0, -1, vcc_lo
	;; [unrolled: 2-line block ×4, first 2 shown]
	v_cmp_eq_u32_e32 vcc_lo, s67, v23
	v_cndmask_b32_e32 v23, v40, v35, vcc_lo
	v_add_co_u32 v35, vcc_lo, v25, 1
	v_add_co_ci_u32_e64 v40, null, 0, v26, vcc_lo
	v_cmp_eq_u32_e32 vcc_lo, s67, v24
	v_xor_b32_e32 v24, s64, v28
	v_cndmask_b32_e32 v2, v41, v2, vcc_lo
	v_cmp_ne_u32_e32 vcc_lo, 0, v23
	v_cmp_ne_u32_e64 s0, 0, v2
	v_cndmask_b32_e32 v2, v35, v37, vcc_lo
	v_cndmask_b32_e32 v23, v40, v39, vcc_lo
	v_cndmask_b32_e64 v2, v25, v2, s0
	v_cndmask_b32_e64 v23, v26, v23, s0
	v_xor_b32_e32 v2, v2, v24
	v_xor_b32_e32 v25, v23, v24
	v_sub_co_u32 v23, vcc_lo, v2, v24
	v_sub_co_ci_u32_e64 v24, null, v25, v24, vcc_lo
.LBB15_57:                              ;   in Loop: Header=BB15_3 Depth=1
	s_andn2_saveexec_b32 s0, s1
	s_cbranch_execz .LBB15_59
; %bb.58:                               ;   in Loop: Header=BB15_3 Depth=1
	v_cvt_f32_u32_e32 v2, s50
	s_sub_i32 s1, 0, s50
	v_rcp_iflag_f32_e32 v2, v2
	v_mul_f32_e32 v2, 0x4f7ffffe, v2
	v_cvt_u32_f32_e32 v2, v2
	v_mul_lo_u32 v23, s1, v2
	v_mul_hi_u32 v23, v2, v23
	v_add_nc_u32_e32 v2, v2, v23
	v_mul_hi_u32 v2, v3, v2
	v_mul_lo_u32 v23, v2, s50
	v_add_nc_u32_e32 v24, 1, v2
	v_sub_nc_u32_e32 v23, v3, v23
	v_subrev_nc_u32_e32 v25, s50, v23
	v_cmp_le_u32_e32 vcc_lo, s50, v23
	v_cndmask_b32_e32 v23, v23, v25, vcc_lo
	v_cndmask_b32_e32 v2, v2, v24, vcc_lo
	v_cmp_le_u32_e32 vcc_lo, s50, v23
	v_add_nc_u32_e32 v24, 1, v2
	v_cndmask_b32_e32 v23, v2, v24, vcc_lo
	v_mov_b32_e32 v24, v1
.LBB15_59:                              ;   in Loop: Header=BB15_3 Depth=1
	s_or_b32 exec_lo, exec_lo, s0
	v_mad_u64_u32 v[25:26], null, s74, v23, v[3:4]
	v_mul_lo_u32 v2, s74, v24
	v_mul_lo_u32 v35, s75, v23
	v_mul_lo_u32 v37, v24, s20
	v_mul_lo_u32 v39, v23, s21
	v_mad_u64_u32 v[23:24], null, v23, s20, 0
	s_mov_b32 s0, exec_lo
	v_add3_u32 v2, v35, v26, v2
	v_mul_lo_u32 v35, v25, s23
	v_mad_u64_u32 v[25:26], null, v25, s22, 0
	v_add3_u32 v24, v24, v39, v37
	v_mul_lo_u32 v2, v2, s22
	v_lshlrev_b64 v[23:24], 1, v[23:24]
	v_add3_u32 v26, v26, v35, v2
	v_add_co_u32 v2, vcc_lo, s48, v23
	v_add_co_ci_u32_e64 v24, null, s49, v24, vcc_lo
	v_lshlrev_b64 v[25:26], 1, v[25:26]
	v_add_co_u32 v23, vcc_lo, v2, v25
	v_add_co_ci_u32_e64 v24, null, v24, v26, vcc_lo
	v_or_b32_e32 v2, s55, v4
	global_load_ushort v35, v[23:24], off
                                        ; implicit-def: $vgpr23_vgpr24
	v_cmpx_ne_u64_e32 0, v[1:2]
	s_xor_b32 s1, exec_lo, s0
	s_cbranch_execz .LBB15_61
; %bb.60:                               ;   in Loop: Header=BB15_3 Depth=1
	s_ashr_i32 s64, s55, 31
	v_add_co_u32 v24, vcc_lo, v3, v28
	s_add_u32 s66, s54, s64
	s_mov_b32 s65, s64
	s_addc_u32 s67, s55, s64
	v_add_co_ci_u32_e64 v25, null, v4, v28, vcc_lo
	s_xor_b64 s[66:67], s[66:67], s[64:65]
	v_cvt_f32_u32_e32 v2, s66
	v_cvt_f32_u32_e32 v23, s67
	s_sub_u32 s81, 0, s66
	s_subb_u32 s82, 0, s67
	v_xor_b32_e32 v37, v25, v28
	v_fmac_f32_e32 v2, 0x4f800000, v23
	v_rcp_f32_e32 v2, v2
	v_mul_f32_e32 v2, 0x5f7ffffc, v2
	v_mul_f32_e32 v23, 0x2f800000, v2
	v_trunc_f32_e32 v23, v23
	v_fmac_f32_e32 v2, 0xcf800000, v23
	v_cvt_u32_f32_e32 v23, v23
	v_cvt_u32_f32_e32 v2, v2
	v_readfirstlane_b32 s0, v23
	v_readfirstlane_b32 s65, v2
	s_mul_i32 s83, s81, s0
	v_xor_b32_e32 v2, v24, v28
	s_mul_hi_u32 s85, s81, s65
	s_mul_i32 s84, s82, s65
	s_add_i32 s83, s85, s83
	s_mul_i32 s86, s81, s65
	s_add_i32 s83, s83, s84
	s_mul_hi_u32 s85, s65, s86
	s_mul_i32 s88, s65, s83
	s_mul_hi_u32 s87, s0, s86
	s_mul_i32 s84, s0, s86
	s_mul_hi_u32 s86, s65, s83
	s_add_u32 s85, s85, s88
	s_addc_u32 s86, 0, s86
	s_mul_hi_u32 s89, s0, s83
	s_add_u32 s84, s85, s84
	s_mul_i32 s83, s0, s83
	s_addc_u32 s84, s86, s87
	s_addc_u32 s85, s89, 0
	s_add_u32 s83, s84, s83
	s_addc_u32 s84, 0, s85
	s_add_u32 s65, s65, s83
	s_cselect_b32 s83, -1, 0
	s_mul_hi_u32 s85, s81, s65
	s_cmp_lg_u32 s83, 0
	s_mul_i32 s83, s81, s65
	s_addc_u32 s0, s0, s84
	s_mul_i32 s82, s82, s65
	s_mul_i32 s81, s81, s0
	s_mul_hi_u32 s84, s65, s83
	s_add_i32 s81, s85, s81
	s_mul_hi_u32 s85, s0, s83
	s_add_i32 s81, s81, s82
	s_mul_i32 s82, s0, s83
	s_mul_i32 s87, s65, s81
	s_mul_hi_u32 s86, s65, s81
	s_add_u32 s84, s84, s87
	s_addc_u32 s86, 0, s86
	s_mul_hi_u32 s83, s0, s81
	s_add_u32 s82, s84, s82
	s_mul_i32 s81, s0, s81
	s_addc_u32 s82, s86, s85
	s_addc_u32 s83, s83, 0
	s_add_u32 s81, s82, s81
	s_addc_u32 s82, 0, s83
	s_add_u32 s65, s65, s81
	s_cselect_b32 s81, -1, 0
	v_mul_hi_u32 v41, v2, s65
	s_cmp_lg_u32 s81, 0
	v_mad_u64_u32 v[25:26], null, v37, s65, 0
	s_addc_u32 s0, s0, s82
	v_mad_u64_u32 v[23:24], null, v2, s0, 0
	v_mad_u64_u32 v[39:40], null, v37, s0, 0
	v_add_co_u32 v23, vcc_lo, v41, v23
	v_add_co_ci_u32_e64 v24, null, 0, v24, vcc_lo
	v_add_co_u32 v23, vcc_lo, v23, v25
	v_add_co_ci_u32_e32 v23, vcc_lo, v24, v26, vcc_lo
	v_add_co_ci_u32_e32 v24, vcc_lo, 0, v40, vcc_lo
	v_add_co_u32 v25, vcc_lo, v23, v39
	v_add_co_ci_u32_e64 v26, null, 0, v24, vcc_lo
	v_mul_lo_u32 v39, s67, v25
	v_mad_u64_u32 v[23:24], null, s66, v25, 0
	v_mul_lo_u32 v40, s66, v26
	v_sub_co_u32 v2, vcc_lo, v2, v23
	v_add3_u32 v24, v24, v40, v39
	v_sub_nc_u32_e32 v39, v37, v24
	v_sub_co_ci_u32_e64 v24, null, v37, v24, vcc_lo
	v_subrev_co_ci_u32_e64 v23, null, s67, v39, vcc_lo
	v_add_co_u32 v39, s0, v25, 2
	v_add_co_ci_u32_e64 v40, null, 0, v26, s0
	v_sub_co_u32 v41, s0, v2, s66
	v_subrev_co_ci_u32_e64 v23, null, 0, v23, s0
	v_cmp_le_u32_e32 vcc_lo, s66, v41
	v_cndmask_b32_e64 v37, 0, -1, vcc_lo
	v_cmp_le_u32_e32 vcc_lo, s67, v23
	v_cndmask_b32_e64 v41, 0, -1, vcc_lo
	v_cmp_le_u32_e32 vcc_lo, s66, v2
	v_cndmask_b32_e64 v2, 0, -1, vcc_lo
	v_cmp_le_u32_e32 vcc_lo, s67, v24
	v_cndmask_b32_e64 v42, 0, -1, vcc_lo
	v_cmp_eq_u32_e32 vcc_lo, s67, v23
	v_cndmask_b32_e32 v23, v41, v37, vcc_lo
	v_add_co_u32 v37, vcc_lo, v25, 1
	v_add_co_ci_u32_e64 v41, null, 0, v26, vcc_lo
	v_cmp_eq_u32_e32 vcc_lo, s67, v24
	v_xor_b32_e32 v24, s64, v28
	v_cndmask_b32_e32 v2, v42, v2, vcc_lo
	v_cmp_ne_u32_e32 vcc_lo, 0, v23
	v_cmp_ne_u32_e64 s0, 0, v2
	v_cndmask_b32_e32 v2, v37, v39, vcc_lo
	v_cndmask_b32_e32 v23, v41, v40, vcc_lo
	v_cndmask_b32_e64 v2, v25, v2, s0
	v_cndmask_b32_e64 v23, v26, v23, s0
	v_xor_b32_e32 v2, v2, v24
	v_xor_b32_e32 v25, v23, v24
	v_sub_co_u32 v23, vcc_lo, v2, v24
	v_sub_co_ci_u32_e64 v24, null, v25, v24, vcc_lo
.LBB15_61:                              ;   in Loop: Header=BB15_3 Depth=1
	s_andn2_saveexec_b32 s0, s1
	s_cbranch_execz .LBB15_63
; %bb.62:                               ;   in Loop: Header=BB15_3 Depth=1
	v_cvt_f32_u32_e32 v2, s54
	s_sub_i32 s1, 0, s54
	v_rcp_iflag_f32_e32 v2, v2
	v_mul_f32_e32 v2, 0x4f7ffffe, v2
	v_cvt_u32_f32_e32 v2, v2
	v_mul_lo_u32 v23, s1, v2
	v_mul_hi_u32 v23, v2, v23
	v_add_nc_u32_e32 v2, v2, v23
	v_mul_hi_u32 v2, v3, v2
	v_mul_lo_u32 v23, v2, s54
	v_add_nc_u32_e32 v24, 1, v2
	v_sub_nc_u32_e32 v23, v3, v23
	v_subrev_nc_u32_e32 v25, s54, v23
	v_cmp_le_u32_e32 vcc_lo, s54, v23
	v_cndmask_b32_e32 v23, v23, v25, vcc_lo
	v_cndmask_b32_e32 v2, v2, v24, vcc_lo
	v_cmp_le_u32_e32 vcc_lo, s54, v23
	v_add_nc_u32_e32 v24, 1, v2
	v_cndmask_b32_e32 v23, v2, v24, vcc_lo
	v_mov_b32_e32 v24, v1
.LBB15_63:                              ;   in Loop: Header=BB15_3 Depth=1
	s_or_b32 exec_lo, exec_lo, s0
	v_or_b32_e32 v2, s59, v4
                                        ; implicit-def: $vgpr25_vgpr26
	s_mov_b32 s0, exec_lo
	v_cmpx_ne_u64_e32 0, v[1:2]
	s_xor_b32 s1, exec_lo, s0
	s_cbranch_execnz .LBB15_67
; %bb.64:                               ;   in Loop: Header=BB15_3 Depth=1
	s_andn2_saveexec_b32 s0, s1
	s_cbranch_execnz .LBB15_68
.LBB15_65:                              ;   in Loop: Header=BB15_3 Depth=1
	s_or_b32 exec_lo, exec_lo, s0
	s_andn2_b32 vcc_lo, exec_lo, s33
	s_cbranch_vccnz .LBB15_69
.LBB15_66:                              ;   in Loop: Header=BB15_3 Depth=1
	v_sub_co_u32 v2, vcc_lo, 1, v9
	v_sub_co_ci_u32_e64 v28, null, 0, v10, vcc_lo
	v_mad_u64_u32 v[39:40], null, s72, v9, v[3:4]
	v_mul_lo_u32 v37, s72, v10
	v_mul_lo_u32 v43, s73, v9
	;; [unrolled: 1-line block ×4, first 2 shown]
	v_mad_u64_u32 v[41:42], null, s8, v2, v[3:4]
	v_add3_u32 v2, v43, v40, v37
	v_sub_co_u32 v40, vcc_lo, 2, v9
	v_add3_u32 v28, v44, v42, v28
	v_sub_co_ci_u32_e64 v44, null, 0, v10, vcc_lo
	v_mul_lo_u32 v47, s9, v40
	v_mul_lo_u32 v37, v39, s43
	;; [unrolled: 1-line block ×4, first 2 shown]
	v_mad_u64_u32 v[44:45], null, s8, v40, v[3:4]
	v_sub_co_u32 v40, vcc_lo, 3, v9
	v_sub_co_ci_u32_e64 v48, null, 0, v10, vcc_lo
	v_mad_u64_u32 v[42:43], null, v39, s42, 0
	v_add3_u32 v52, v47, v45, v46
	v_mul_lo_u32 v53, s8, v48
	v_mul_lo_u32 v54, s9, v40
	v_mad_u64_u32 v[45:46], null, s8, v40, v[3:4]
	v_mul_lo_u32 v50, v28, s42
	v_mul_lo_u32 v51, v41, s43
	v_mad_u64_u32 v[9:10], null, v41, s42, 0
	;; [unrolled: 3-line block ×3, first 2 shown]
	v_add3_u32 v43, v43, v37, v49
	v_add3_u32 v37, v54, v46, v53
	v_add3_u32 v10, v10, v51, v50
	v_mul_lo_u32 v51, v45, s43
	v_mad_u64_u32 v[49:50], null, v45, s42, 0
	v_add3_u32 v48, v48, v55, v40
	v_mul_lo_u32 v40, v37, s42
	v_mul_lo_u32 v53, v39, s47
	;; [unrolled: 1-line block ×4, first 2 shown]
	v_lshlrev_b64 v[46:47], 1, v[47:48]
	v_mul_lo_u32 v54, v41, s47
	v_lshlrev_b64 v[42:43], 1, v[42:43]
	v_lshlrev_b64 v[9:10], 1, v[9:10]
	v_add3_u32 v50, v50, v51, v40
	v_mad_u64_u32 v[39:40], null, v39, s46, 0
	v_add_co_u32 v42, vcc_lo, s38, v42
	v_lshlrev_b64 v[48:49], 1, v[49:50]
	v_mad_u64_u32 v[50:51], null, v41, s46, 0
	v_add3_u32 v40, v40, v53, v2
	v_mul_lo_u32 v2, v52, s46
	v_mul_lo_u32 v41, v44, s47
	v_mad_u64_u32 v[52:53], null, v44, s46, 0
	v_add_co_ci_u32_e64 v43, null, s39, v43, vcc_lo
	v_add3_u32 v51, v51, v54, v28
	v_mul_lo_u32 v28, v37, s46
	v_mul_lo_u32 v37, v45, s47
	v_mad_u64_u32 v[44:45], null, v45, s46, 0
	v_add3_u32 v53, v53, v41, v2
	v_add_co_u32 v9, vcc_lo, s38, v9
	v_lshlrev_b64 v[39:40], 1, v[39:40]
	v_add_co_ci_u32_e64 v10, null, s39, v10, vcc_lo
	v_add3_u32 v45, v45, v37, v28
	v_add_co_u32 v46, vcc_lo, s38, v46
	v_lshlrev_b64 v[50:51], 1, v[50:51]
	v_add_co_ci_u32_e64 v47, null, s39, v47, vcc_lo
	v_add_co_u32 v48, vcc_lo, s38, v48
	v_lshlrev_b64 v[52:53], 1, v[52:53]
	v_add_co_ci_u32_e64 v49, null, s39, v49, vcc_lo
	;; [unrolled: 3-line block ×3, first 2 shown]
	v_add_co_u32 v50, vcc_lo, s44, v50
	v_add_co_ci_u32_e64 v51, null, s45, v51, vcc_lo
	v_add_co_u32 v52, vcc_lo, s44, v52
	v_add_co_ci_u32_e64 v53, null, s45, v53, vcc_lo
	;; [unrolled: 2-line block ×3, first 2 shown]
	global_load_ushort v2, v[42:43], off
	global_load_ushort v28, v[39:40], off
	;; [unrolled: 1-line block ×4, first 2 shown]
	s_clause 0x1
	global_load_ushort v39, v[46:47], off
	global_load_ushort v42, v[48:49], off
	s_clause 0x1
	global_load_ushort v43, v[52:53], off
	global_load_ushort v44, v[44:45], off
	s_waitcnt vmcnt(7)
	v_lshlrev_b32_e32 v41, 16, v2
	s_waitcnt vmcnt(6)
	v_lshlrev_b32_e32 v10, 16, v28
	s_waitcnt vmcnt(5)
	v_lshlrev_b32_e32 v40, 16, v9
	s_waitcnt vmcnt(4)
	v_lshlrev_b32_e32 v9, 16, v37
	s_waitcnt vmcnt(3)
	v_lshlrev_b32_e32 v28, 16, v39
	s_waitcnt vmcnt(2)
	v_lshlrev_b32_e32 v39, 16, v42
	s_waitcnt vmcnt(1)
	v_lshlrev_b32_e32 v2, 16, v43
	s_waitcnt vmcnt(0)
	v_lshlrev_b32_e32 v37, 16, v44
	s_branch .LBB15_70
.LBB15_67:                              ;   in Loop: Header=BB15_3 Depth=1
	s_ashr_i32 s64, s59, 31
	v_add_co_u32 v26, vcc_lo, v3, v28
	s_add_u32 s66, s58, s64
	s_mov_b32 s65, s64
	s_addc_u32 s67, s59, s64
	v_add_co_ci_u32_e64 v37, null, v4, v28, vcc_lo
	s_xor_b64 s[66:67], s[66:67], s[64:65]
	v_cvt_f32_u32_e32 v2, s66
	v_cvt_f32_u32_e32 v25, s67
	s_sub_u32 s81, 0, s66
	s_subb_u32 s82, 0, s67
	v_xor_b32_e32 v37, v37, v28
	v_fmac_f32_e32 v2, 0x4f800000, v25
	v_rcp_f32_e32 v2, v2
	v_mul_f32_e32 v2, 0x5f7ffffc, v2
	v_mul_f32_e32 v25, 0x2f800000, v2
	v_trunc_f32_e32 v25, v25
	v_fmac_f32_e32 v2, 0xcf800000, v25
	v_cvt_u32_f32_e32 v25, v25
	v_cvt_u32_f32_e32 v2, v2
	v_readfirstlane_b32 s0, v25
	v_readfirstlane_b32 s65, v2
	s_mul_i32 s83, s81, s0
	v_xor_b32_e32 v2, v26, v28
	s_mul_hi_u32 s85, s81, s65
	s_mul_i32 s84, s82, s65
	s_add_i32 s83, s85, s83
	s_mul_i32 s86, s81, s65
	s_add_i32 s83, s83, s84
	s_mul_hi_u32 s85, s65, s86
	s_mul_i32 s88, s65, s83
	s_mul_hi_u32 s87, s0, s86
	s_mul_i32 s84, s0, s86
	s_mul_hi_u32 s86, s65, s83
	s_add_u32 s85, s85, s88
	s_addc_u32 s86, 0, s86
	s_mul_hi_u32 s89, s0, s83
	s_add_u32 s84, s85, s84
	s_mul_i32 s83, s0, s83
	s_addc_u32 s84, s86, s87
	s_addc_u32 s85, s89, 0
	s_add_u32 s83, s84, s83
	s_addc_u32 s84, 0, s85
	s_add_u32 s65, s65, s83
	s_cselect_b32 s83, -1, 0
	s_mul_hi_u32 s85, s81, s65
	s_cmp_lg_u32 s83, 0
	s_mul_i32 s83, s81, s65
	s_addc_u32 s0, s0, s84
	s_mul_i32 s82, s82, s65
	s_mul_i32 s81, s81, s0
	s_mul_hi_u32 s84, s65, s83
	s_add_i32 s81, s85, s81
	s_mul_hi_u32 s85, s0, s83
	s_add_i32 s81, s81, s82
	s_mul_i32 s82, s0, s83
	s_mul_i32 s87, s65, s81
	s_mul_hi_u32 s86, s65, s81
	s_add_u32 s84, s84, s87
	s_addc_u32 s86, 0, s86
	s_mul_hi_u32 s83, s0, s81
	s_add_u32 s82, s84, s82
	s_mul_i32 s81, s0, s81
	s_addc_u32 s82, s86, s85
	s_addc_u32 s83, s83, 0
	s_add_u32 s81, s82, s81
	s_addc_u32 s82, 0, s83
	s_add_u32 s65, s65, s81
	s_cselect_b32 s81, -1, 0
	v_mul_hi_u32 v43, v2, s65
	s_cmp_lg_u32 s81, 0
	v_mad_u64_u32 v[39:40], null, v37, s65, 0
	s_addc_u32 s0, s0, s82
	v_mad_u64_u32 v[25:26], null, v2, s0, 0
	v_mad_u64_u32 v[41:42], null, v37, s0, 0
	v_add_co_u32 v25, vcc_lo, v43, v25
	v_add_co_ci_u32_e64 v26, null, 0, v26, vcc_lo
	v_add_co_u32 v25, vcc_lo, v25, v39
	v_add_co_ci_u32_e32 v25, vcc_lo, v26, v40, vcc_lo
	v_add_co_ci_u32_e32 v26, vcc_lo, 0, v42, vcc_lo
	v_add_co_u32 v39, vcc_lo, v25, v41
	v_add_co_ci_u32_e64 v40, null, 0, v26, vcc_lo
	v_mul_lo_u32 v41, s67, v39
	v_mad_u64_u32 v[25:26], null, s66, v39, 0
	v_mul_lo_u32 v42, s66, v40
	v_sub_co_u32 v2, vcc_lo, v2, v25
	v_add3_u32 v26, v26, v42, v41
	v_sub_nc_u32_e32 v41, v37, v26
	v_sub_co_ci_u32_e64 v26, null, v37, v26, vcc_lo
	v_subrev_co_ci_u32_e64 v25, null, s67, v41, vcc_lo
	v_add_co_u32 v41, s0, v39, 2
	v_add_co_ci_u32_e64 v42, null, 0, v40, s0
	v_sub_co_u32 v43, s0, v2, s66
	v_subrev_co_ci_u32_e64 v25, null, 0, v25, s0
	v_cmp_le_u32_e32 vcc_lo, s66, v43
	v_cndmask_b32_e64 v37, 0, -1, vcc_lo
	v_cmp_le_u32_e32 vcc_lo, s67, v25
	v_cndmask_b32_e64 v43, 0, -1, vcc_lo
	;; [unrolled: 2-line block ×4, first 2 shown]
	v_cmp_eq_u32_e32 vcc_lo, s67, v25
	v_cndmask_b32_e32 v25, v43, v37, vcc_lo
	v_add_co_u32 v37, vcc_lo, v39, 1
	v_add_co_ci_u32_e64 v43, null, 0, v40, vcc_lo
	v_cmp_eq_u32_e32 vcc_lo, s67, v26
	v_xor_b32_e32 v26, s64, v28
	v_cndmask_b32_e32 v2, v44, v2, vcc_lo
	v_cmp_ne_u32_e32 vcc_lo, 0, v25
	v_cmp_ne_u32_e64 s0, 0, v2
	v_cndmask_b32_e32 v2, v37, v41, vcc_lo
	v_cndmask_b32_e32 v25, v43, v42, vcc_lo
	v_cndmask_b32_e64 v2, v39, v2, s0
	v_cndmask_b32_e64 v25, v40, v25, s0
	v_xor_b32_e32 v2, v2, v26
	v_xor_b32_e32 v28, v25, v26
	v_sub_co_u32 v25, vcc_lo, v2, v26
	v_sub_co_ci_u32_e64 v26, null, v28, v26, vcc_lo
	s_andn2_saveexec_b32 s0, s1
	s_cbranch_execz .LBB15_65
.LBB15_68:                              ;   in Loop: Header=BB15_3 Depth=1
	v_cvt_f32_u32_e32 v2, s58
	s_sub_i32 s1, 0, s58
	v_rcp_iflag_f32_e32 v2, v2
	v_mul_f32_e32 v2, 0x4f7ffffe, v2
	v_cvt_u32_f32_e32 v2, v2
	v_mul_lo_u32 v25, s1, v2
	v_mul_hi_u32 v25, v2, v25
	v_add_nc_u32_e32 v2, v2, v25
	v_mul_hi_u32 v2, v3, v2
	v_mul_lo_u32 v25, v2, s58
	v_add_nc_u32_e32 v26, 1, v2
	v_sub_nc_u32_e32 v25, v3, v25
	v_subrev_nc_u32_e32 v28, s58, v25
	v_cmp_le_u32_e32 vcc_lo, s58, v25
	v_cndmask_b32_e32 v25, v25, v28, vcc_lo
	v_cndmask_b32_e32 v2, v2, v26, vcc_lo
	v_cmp_le_u32_e32 vcc_lo, s58, v25
	v_add_nc_u32_e32 v26, 1, v2
	v_cndmask_b32_e32 v25, v2, v26, vcc_lo
	v_mov_b32_e32 v26, v1
	s_or_b32 exec_lo, exec_lo, s0
	s_andn2_b32 vcc_lo, exec_lo, s33
	s_cbranch_vccz .LBB15_66
.LBB15_69:                              ;   in Loop: Header=BB15_3 Depth=1
	v_mov_b32_e32 v2, 0
	v_mov_b32_e32 v37, 0
	;; [unrolled: 1-line block ×8, first 2 shown]
.LBB15_70:                              ;   in Loop: Header=BB15_3 Depth=1
	s_waitcnt vmcnt(6)
	v_lshlrev_b32_e32 v31, 16, v31
	s_waitcnt vmcnt(2)
	v_lshlrev_b32_e32 v36, 16, v36
	v_add_f32_e32 v31, v31, v36
	v_add_f32_e32 v28, v31, v28
	;; [unrolled: 1-line block ×3, first 2 shown]
                                        ; implicit-def: $vgpr28
	v_cmp_ngt_f32_e64 s0, 0x3f200000, |v2|
	s_and_saveexec_b32 s1, s0
	s_xor_b32 s0, exec_lo, s1
	s_cbranch_execz .LBB15_72
; %bb.71:                               ;   in Loop: Header=BB15_3 Depth=1
	v_add_f32_e64 v28, |v2|, |v2|
	v_mul_f32_e32 v31, 0x3fb8aa3b, v28
	v_cmp_ngt_f32_e32 vcc_lo, 0xc2ce8ed0, v28
	v_rndne_f32_e32 v36, v31
	v_fma_f32 v42, 0x3fb8aa3b, v28, -v31
	v_sub_f32_e32 v31, v31, v36
	v_fmac_f32_e32 v42, 0x32a5705f, v28
	v_cvt_i32_f32_e32 v36, v36
	v_add_f32_e32 v31, v31, v42
	v_exp_f32_e32 v31, v31
	v_ldexp_f32 v31, v31, v36
	v_cndmask_b32_e32 v31, 0, v31, vcc_lo
	v_cmp_nlt_f32_e32 vcc_lo, 0x42b17218, v28
	v_cndmask_b32_e32 v28, 0x7f800000, v31, vcc_lo
	v_add_f32_e32 v28, 1.0, v28
	v_rcp_f32_e32 v28, v28
	v_fma_f32 v28, v28, -2.0, 1.0
.LBB15_72:                              ;   in Loop: Header=BB15_3 Depth=1
	s_andn2_saveexec_b32 s0, s0
	s_cbranch_execz .LBB15_74
; %bb.73:                               ;   in Loop: Header=BB15_3 Depth=1
	v_mul_f32_e32 v28, v2, v2
	v_fmaak_f32 v31, s80, v28, 0x3ca908c9
	v_fmaak_f32 v31, v28, v31, 0xbd5c1c4e
	;; [unrolled: 1-line block ×4, first 2 shown]
	v_mul_f32_e64 v31, |v2|, v31
	v_fma_f32 v28, v28, v31, |v2|
.LBB15_74:                              ;   in Loop: Header=BB15_3 Depth=1
	s_or_b32 exec_lo, exec_lo, s0
	v_lshlrev_b32_e32 v29, 16, v29
	v_lshlrev_b32_e32 v31, 16, v33
	;; [unrolled: 1-line block ×4, first 2 shown]
	v_bfi_b32 v2, 0x7fffffff, v28, v2
	v_add_f32_e32 v29, v29, v31
	v_add_f32_e32 v30, v30, v33
	;; [unrolled: 1-line block ×6, first 2 shown]
	v_mul_f32_e32 v29, 0xbfb8aa3b, v10
	v_cmp_nlt_f32_e32 vcc_lo, 0x42ce8ed0, v10
	v_mul_f32_e32 v30, 0xbfb8aa3b, v9
	v_fma_f32 v31, 0xbfb8aa3b, v10, -v29
	v_rndne_f32_e32 v33, v29
	v_fma_f32 v34, 0xbfb8aa3b, v9, -v30
	v_rndne_f32_e32 v36, v30
	v_fmac_f32_e32 v31, 0xb2a5705f, v10
	v_sub_f32_e32 v29, v29, v33
	v_fmac_f32_e32 v34, 0xb2a5705f, v9
	v_sub_f32_e32 v30, v30, v36
	v_add_f32_e32 v29, v29, v31
	v_cvt_i32_f32_e32 v31, v33
	v_add_f32_e32 v30, v30, v34
	v_cvt_i32_f32_e32 v33, v36
	v_exp_f32_e32 v29, v29
	v_exp_f32_e32 v30, v30
	v_ldexp_f32 v29, v29, v31
	v_ldexp_f32 v30, v30, v33
	v_cndmask_b32_e32 v29, 0, v29, vcc_lo
	v_cmp_nlt_f32_e32 vcc_lo, 0x42ce8ed0, v9
	v_cndmask_b32_e32 v30, 0, v30, vcc_lo
	v_cmp_ngt_f32_e32 vcc_lo, 0xc2b17218, v10
	v_cndmask_b32_e32 v10, 0x7f800000, v29, vcc_lo
	v_cmp_ngt_f32_e32 vcc_lo, 0xc2b17218, v9
	v_add_f32_e32 v10, 1.0, v10
	v_cndmask_b32_e32 v9, 0x7f800000, v30, vcc_lo
	v_div_scale_f32 v29, null, v10, v10, 1.0
	v_add_f32_e32 v9, 1.0, v9
	v_div_scale_f32 v40, vcc_lo, 1.0, v10, 1.0
	v_rcp_f32_e32 v31, v29
	v_div_scale_f32 v30, null, v9, v9, 1.0
	v_rcp_f32_e32 v33, v30
	v_fma_f32 v34, -v29, v31, 1.0
	v_fmac_f32_e32 v31, v34, v31
	v_div_scale_f32 v34, s0, 1.0, v9, 1.0
	v_fma_f32 v36, -v30, v33, 1.0
	v_fmac_f32_e32 v33, v36, v33
	v_mul_f32_e32 v36, v40, v31
	v_mul_f32_e32 v41, v34, v33
	v_fma_f32 v42, -v29, v36, v40
	v_fma_f32 v43, -v30, v41, v34
	v_fmac_f32_e32 v36, v42, v31
	v_fmac_f32_e32 v41, v43, v33
	v_fma_f32 v29, -v29, v36, v40
	v_fma_f32 v30, -v30, v41, v34
	v_div_fmas_f32 v29, v29, v31, v36
	s_mov_b32 vcc_lo, s0
	v_div_fmas_f32 v30, v30, v33, v41
	v_div_fixup_f32 v10, v29, v10, 1.0
	s_waitcnt vmcnt(0)
	v_lshlrev_b32_e32 v29, 16, v35
	v_div_fixup_f32 v9, v30, v9, 1.0
	v_mul_f32_e32 v28, v10, v2
	v_fmac_f32_e32 v28, v9, v29
                                        ; implicit-def: $vgpr29
	v_cmp_ngt_f32_e64 s0, 0x3f200000, |v28|
	s_and_saveexec_b32 s1, s0
	s_xor_b32 s0, exec_lo, s1
	s_cbranch_execz .LBB15_76
; %bb.75:                               ;   in Loop: Header=BB15_3 Depth=1
	v_add_f32_e64 v29, |v28|, |v28|
	v_mul_f32_e32 v30, 0x3fb8aa3b, v29
	v_cmp_ngt_f32_e32 vcc_lo, 0xc2ce8ed0, v29
	v_rndne_f32_e32 v31, v30
	v_fma_f32 v33, 0x3fb8aa3b, v29, -v30
	v_sub_f32_e32 v30, v30, v31
	v_fmac_f32_e32 v33, 0x32a5705f, v29
	v_cvt_i32_f32_e32 v31, v31
	v_add_f32_e32 v30, v30, v33
	v_exp_f32_e32 v30, v30
	v_ldexp_f32 v30, v30, v31
	v_cndmask_b32_e32 v30, 0, v30, vcc_lo
	v_cmp_nlt_f32_e32 vcc_lo, 0x42b17218, v29
	v_cndmask_b32_e32 v29, 0x7f800000, v30, vcc_lo
	v_add_f32_e32 v29, 1.0, v29
	v_rcp_f32_e32 v29, v29
	v_fma_f32 v29, v29, -2.0, 1.0
.LBB15_76:                              ;   in Loop: Header=BB15_3 Depth=1
	s_andn2_saveexec_b32 s0, s0
	s_cbranch_execz .LBB15_2
; %bb.77:                               ;   in Loop: Header=BB15_3 Depth=1
	v_mul_f32_e32 v29, v28, v28
	v_fmaak_f32 v30, s80, v29, 0x3ca908c9
	v_fmaak_f32 v30, v29, v30, 0xbd5c1c4e
	;; [unrolled: 1-line block ×4, first 2 shown]
	v_mul_f32_e64 v30, |v28|, v30
	v_fma_f32 v29, v29, v30, |v28|
	s_branch .LBB15_2
.LBB15_78:
	s_endpgm
	.section	.rodata,"a",@progbits
	.p2align	6, 0x0
	.amdhsa_kernel _ZN2at6native12_GLOBAL__N_16kernel17lstm_cell_forwardIN3c108BFloat16EflLi2EEEvNS_4cuda6detail10TensorInfoIT_T1_EESB_SB_SB_SB_SB_SB_SB_SA_SA_
		.amdhsa_group_segment_fixed_size 0
		.amdhsa_private_segment_fixed_size 0
		.amdhsa_kernarg_size 3600
		.amdhsa_user_sgpr_count 6
		.amdhsa_user_sgpr_private_segment_buffer 1
		.amdhsa_user_sgpr_dispatch_ptr 0
		.amdhsa_user_sgpr_queue_ptr 0
		.amdhsa_user_sgpr_kernarg_segment_ptr 1
		.amdhsa_user_sgpr_dispatch_id 0
		.amdhsa_user_sgpr_flat_scratch_init 0
		.amdhsa_user_sgpr_private_segment_size 0
		.amdhsa_wavefront_size32 1
		.amdhsa_uses_dynamic_stack 0
		.amdhsa_system_sgpr_private_segment_wavefront_offset 0
		.amdhsa_system_sgpr_workgroup_id_x 1
		.amdhsa_system_sgpr_workgroup_id_y 0
		.amdhsa_system_sgpr_workgroup_id_z 0
		.amdhsa_system_sgpr_workgroup_info 0
		.amdhsa_system_vgpr_workitem_id 0
		.amdhsa_next_free_vgpr 56
		.amdhsa_next_free_sgpr 90
		.amdhsa_reserve_vcc 1
		.amdhsa_reserve_flat_scratch 0
		.amdhsa_float_round_mode_32 0
		.amdhsa_float_round_mode_16_64 0
		.amdhsa_float_denorm_mode_32 3
		.amdhsa_float_denorm_mode_16_64 3
		.amdhsa_dx10_clamp 1
		.amdhsa_ieee_mode 1
		.amdhsa_fp16_overflow 0
		.amdhsa_workgroup_processor_mode 1
		.amdhsa_memory_ordered 1
		.amdhsa_forward_progress 1
		.amdhsa_shared_vgpr_count 0
		.amdhsa_exception_fp_ieee_invalid_op 0
		.amdhsa_exception_fp_denorm_src 0
		.amdhsa_exception_fp_ieee_div_zero 0
		.amdhsa_exception_fp_ieee_overflow 0
		.amdhsa_exception_fp_ieee_underflow 0
		.amdhsa_exception_fp_ieee_inexact 0
		.amdhsa_exception_int_div_zero 0
	.end_amdhsa_kernel
	.section	.text._ZN2at6native12_GLOBAL__N_16kernel17lstm_cell_forwardIN3c108BFloat16EflLi2EEEvNS_4cuda6detail10TensorInfoIT_T1_EESB_SB_SB_SB_SB_SB_SB_SA_SA_,"axG",@progbits,_ZN2at6native12_GLOBAL__N_16kernel17lstm_cell_forwardIN3c108BFloat16EflLi2EEEvNS_4cuda6detail10TensorInfoIT_T1_EESB_SB_SB_SB_SB_SB_SB_SA_SA_,comdat
.Lfunc_end15:
	.size	_ZN2at6native12_GLOBAL__N_16kernel17lstm_cell_forwardIN3c108BFloat16EflLi2EEEvNS_4cuda6detail10TensorInfoIT_T1_EESB_SB_SB_SB_SB_SB_SB_SA_SA_, .Lfunc_end15-_ZN2at6native12_GLOBAL__N_16kernel17lstm_cell_forwardIN3c108BFloat16EflLi2EEEvNS_4cuda6detail10TensorInfoIT_T1_EESB_SB_SB_SB_SB_SB_SB_SA_SA_
                                        ; -- End function
	.set _ZN2at6native12_GLOBAL__N_16kernel17lstm_cell_forwardIN3c108BFloat16EflLi2EEEvNS_4cuda6detail10TensorInfoIT_T1_EESB_SB_SB_SB_SB_SB_SB_SA_SA_.num_vgpr, 56
	.set _ZN2at6native12_GLOBAL__N_16kernel17lstm_cell_forwardIN3c108BFloat16EflLi2EEEvNS_4cuda6detail10TensorInfoIT_T1_EESB_SB_SB_SB_SB_SB_SB_SA_SA_.num_agpr, 0
	.set _ZN2at6native12_GLOBAL__N_16kernel17lstm_cell_forwardIN3c108BFloat16EflLi2EEEvNS_4cuda6detail10TensorInfoIT_T1_EESB_SB_SB_SB_SB_SB_SB_SA_SA_.numbered_sgpr, 90
	.set _ZN2at6native12_GLOBAL__N_16kernel17lstm_cell_forwardIN3c108BFloat16EflLi2EEEvNS_4cuda6detail10TensorInfoIT_T1_EESB_SB_SB_SB_SB_SB_SB_SA_SA_.num_named_barrier, 0
	.set _ZN2at6native12_GLOBAL__N_16kernel17lstm_cell_forwardIN3c108BFloat16EflLi2EEEvNS_4cuda6detail10TensorInfoIT_T1_EESB_SB_SB_SB_SB_SB_SB_SA_SA_.private_seg_size, 0
	.set _ZN2at6native12_GLOBAL__N_16kernel17lstm_cell_forwardIN3c108BFloat16EflLi2EEEvNS_4cuda6detail10TensorInfoIT_T1_EESB_SB_SB_SB_SB_SB_SB_SA_SA_.uses_vcc, 1
	.set _ZN2at6native12_GLOBAL__N_16kernel17lstm_cell_forwardIN3c108BFloat16EflLi2EEEvNS_4cuda6detail10TensorInfoIT_T1_EESB_SB_SB_SB_SB_SB_SB_SA_SA_.uses_flat_scratch, 0
	.set _ZN2at6native12_GLOBAL__N_16kernel17lstm_cell_forwardIN3c108BFloat16EflLi2EEEvNS_4cuda6detail10TensorInfoIT_T1_EESB_SB_SB_SB_SB_SB_SB_SA_SA_.has_dyn_sized_stack, 0
	.set _ZN2at6native12_GLOBAL__N_16kernel17lstm_cell_forwardIN3c108BFloat16EflLi2EEEvNS_4cuda6detail10TensorInfoIT_T1_EESB_SB_SB_SB_SB_SB_SB_SA_SA_.has_recursion, 0
	.set _ZN2at6native12_GLOBAL__N_16kernel17lstm_cell_forwardIN3c108BFloat16EflLi2EEEvNS_4cuda6detail10TensorInfoIT_T1_EESB_SB_SB_SB_SB_SB_SB_SA_SA_.has_indirect_call, 0
	.section	.AMDGPU.csdata,"",@progbits
; Kernel info:
; codeLenInByte = 17452
; TotalNumSgprs: 92
; NumVgprs: 56
; ScratchSize: 0
; MemoryBound: 0
; FloatMode: 240
; IeeeMode: 1
; LDSByteSize: 0 bytes/workgroup (compile time only)
; SGPRBlocks: 0
; VGPRBlocks: 6
; NumSGPRsForWavesPerEU: 92
; NumVGPRsForWavesPerEU: 56
; Occupancy: 16
; WaveLimiterHint : 1
; COMPUTE_PGM_RSRC2:SCRATCH_EN: 0
; COMPUTE_PGM_RSRC2:USER_SGPR: 6
; COMPUTE_PGM_RSRC2:TRAP_HANDLER: 0
; COMPUTE_PGM_RSRC2:TGID_X_EN: 1
; COMPUTE_PGM_RSRC2:TGID_Y_EN: 0
; COMPUTE_PGM_RSRC2:TGID_Z_EN: 0
; COMPUTE_PGM_RSRC2:TIDIG_COMP_CNT: 0
	.section	.text._ZN2at6native12_GLOBAL__N_16kernel18lstm_cell_backwardIddiLi1EEEvNS_4cuda6detail10TensorInfoIT_T1_EES9_S9_S9_S9_S9_S9_S8_S8_,"axG",@progbits,_ZN2at6native12_GLOBAL__N_16kernel18lstm_cell_backwardIddiLi1EEEvNS_4cuda6detail10TensorInfoIT_T1_EES9_S9_S9_S9_S9_S9_S8_S8_,comdat
	.globl	_ZN2at6native12_GLOBAL__N_16kernel18lstm_cell_backwardIddiLi1EEEvNS_4cuda6detail10TensorInfoIT_T1_EES9_S9_S9_S9_S9_S9_S8_S8_ ; -- Begin function _ZN2at6native12_GLOBAL__N_16kernel18lstm_cell_backwardIddiLi1EEEvNS_4cuda6detail10TensorInfoIT_T1_EES9_S9_S9_S9_S9_S9_S8_S8_
	.p2align	8
	.type	_ZN2at6native12_GLOBAL__N_16kernel18lstm_cell_backwardIddiLi1EEEvNS_4cuda6detail10TensorInfoIT_T1_EES9_S9_S9_S9_S9_S9_S8_S8_,@function
_ZN2at6native12_GLOBAL__N_16kernel18lstm_cell_backwardIddiLi1EEEvNS_4cuda6detail10TensorInfoIT_T1_EES9_S9_S9_S9_S9_S9_S8_S8_: ; @_ZN2at6native12_GLOBAL__N_16kernel18lstm_cell_backwardIddiLi1EEEvNS_4cuda6detail10TensorInfoIT_T1_EES9_S9_S9_S9_S9_S9_S8_S8_
; %bb.0:
	s_clause 0x1
	s_load_dword s2, s[4:5], 0x5fc
	s_load_dwordx2 s[0:1], s[4:5], 0x5e8
	s_add_u32 s18, s4, 0x5f0
	s_addc_u32 s19, s5, 0
	s_waitcnt lgkmcnt(0)
	s_and_b32 s42, s2, 0xffff
	s_mov_b32 s2, exec_lo
	v_mad_u64_u32 v[0:1], null, s6, s42, v[0:1]
	v_cmpx_gt_i32_e64 s1, v0
	s_cbranch_execz .LBB16_7
; %bb.1:
	s_clause 0xd
	s_load_dwordx2 s[2:3], s[4:5], 0x360
	s_load_dwordx2 s[6:7], s[4:5], 0x438
	;; [unrolled: 1-line block ×3, first 2 shown]
	s_load_dword s33, s[4:5], 0x6c
	s_load_dwordx2 s[10:11], s[4:5], 0xd8
	s_load_dword s46, s[4:5], 0x144
	s_load_dwordx2 s[12:13], s[4:5], 0x1b0
	;; [unrolled: 2-line block ×3, first 2 shown]
	s_load_dword s44, s[4:5], 0x2f4
	s_load_dword s45, s[4:5], 0x3cc
	s_load_dword s57, s[4:5], 0x4a4
	s_load_dwordx2 s[16:17], s[4:5], 0x510
	s_load_dword s55, s[4:5], 0x57c
	s_load_dword s52, s[18:19], 0x0
	s_mov_b32 s4, 0x652b82fe
	s_mov_b32 s18, 0xfefa3000
	;; [unrolled: 1-line block ×5, first 2 shown]
	s_waitcnt lgkmcnt(0)
	s_cmp_lg_u64 s[2:3], 0
	s_mov_b32 s26, 0x6a5dcb37
	s_cselect_b32 s49, -1, 0
	s_cmp_lg_u64 s[6:7], 0
	s_mov_b32 s28, 0x623fde64
	s_cselect_b32 s50, -1, 0
	s_abs_i32 s51, s0
	s_mov_b32 s30, 0x7c89e6b0
	v_cvt_f32_u32_e32 v1, s51
	s_sub_i32 s53, 0, s51
	v_mul_lo_u32 v3, v0, s44
	v_mul_lo_u32 v7, v0, s45
	;; [unrolled: 1-line block ×3, first 2 shown]
	v_rcp_iflag_f32_e32 v1, v1
	v_mul_lo_u32 v5, v0, s55
	s_mul_i32 s52, s52, s42
	s_mov_b32 s34, 0x14761f6e
	s_mov_b32 s36, 0x1852b7b0
	;; [unrolled: 1-line block ×4, first 2 shown]
	s_mul_i32 s54, s52, s44
	s_mul_i32 s56, s52, s45
	s_mov_b32 s44, 11
	v_mul_f32_e32 v1, 0x4f7ffffe, v1
	s_mov_b32 s47, 0
	s_mul_i32 s48, s0, 3
	s_mov_b32 s5, 0x3ff71547
	s_mov_b32 s19, 0xbfe62e42
	v_cvt_u32_f32_e32 v2, v1
	v_mul_lo_u32 v1, v0, s43
	s_mov_b32 s21, 0xbd53de6a
	s_mov_b32 s23, 0xbac9cc01
	;; [unrolled: 1-line block ×3, first 2 shown]
	v_mul_lo_u32 v4, s53, v2
	s_mul_i32 s53, s52, s43
	s_mov_b32 s42, 0x55555511
	s_mov_b32 s27, 0x3e5ade15
	;; [unrolled: 1-line block ×6, first 2 shown]
	v_mul_hi_u32 v4, v2, v4
	s_mov_b32 s39, 0x3f811111
	s_mov_b32 s41, 0x3fa55555
	s_mul_i32 s55, s52, s55
	s_mul_i32 s57, s52, s57
	s_ashr_i32 s58, s0, 31
	s_mov_b32 s43, 0x3fc55555
	s_mov_b32 s45, 0x3fe00000
	v_add_nc_u32_e32 v30, v2, v4
	s_branch .LBB16_3
.LBB16_2:                               ;   in Loop: Header=BB16_3 Depth=1
	s_waitcnt vmcnt(0)
	v_mul_f64 v[31:32], |v[26:27]|, s[4:5]
	v_cmp_nlt_f64_e64 vcc_lo, 0x40331000, |v[26:27]|
	v_and_b32_e32 v8, 0x7fffffff, v27
	v_mul_lo_u32 v10, v11, s46
	v_mul_lo_u32 v18, v18, s46
	v_add_nc_u32_e32 v0, s52, v0
	v_add_nc_u32_e32 v1, s53, v1
	;; [unrolled: 1-line block ×5, first 2 shown]
	v_ashrrev_i32_e32 v11, 31, v10
	v_lshlrev_b64 v[10:11], 3, v[10:11]
	v_rndne_f64_e32 v[31:32], v[31:32]
	v_fma_f64 v[33:34], v[31:32], s[18:19], |v[26:27]|
	v_mul_f64 v[35:36], v[31:32], s[20:21]
	v_cvt_i32_f64_e32 v4, v[31:32]
	v_add_f64 v[37:38], v[33:34], 0
	v_add_f64 v[39:40], v[37:38], v[35:36]
	v_add_f64 v[33:34], v[33:34], -v[37:38]
	v_add_f64 v[37:38], v[37:38], -v[39:40]
	v_add_f64 v[33:34], v[33:34], 0
	v_add_f64 v[35:36], v[37:38], v[35:36]
	;; [unrolled: 1-line block ×3, first 2 shown]
	v_mul_f64 v[35:36], v[31:32], s[22:23]
	v_add_f64 v[37:38], v[39:40], v[33:34]
	v_add_f64 v[41:42], v[37:38], v[35:36]
	v_add_f64 v[39:40], v[39:40], -v[37:38]
	v_add_f64 v[37:38], v[37:38], -v[41:42]
	v_add_f64 v[33:34], v[33:34], v[39:40]
	v_add_f64 v[35:36], v[37:38], v[35:36]
	;; [unrolled: 1-line block ×4, first 2 shown]
	v_fma_f64 v[37:38], v[35:36], s[26:27], s[24:25]
	v_add_f64 v[39:40], v[41:42], -v[35:36]
	v_mul_f64 v[41:42], v[35:36], v[35:36]
	v_fma_f64 v[37:38], v[35:36], v[37:38], s[28:29]
	v_add_f64 v[33:34], v[33:34], v[39:40]
	v_fma_f64 v[39:40], v[35:36], v[35:36], -v[41:42]
	v_fma_f64 v[37:38], v[35:36], v[37:38], s[30:31]
	v_add_f64 v[43:44], v[33:34], v[33:34]
	v_fma_f64 v[37:38], v[35:36], v[37:38], s[34:35]
	v_fma_f64 v[39:40], v[35:36], v[43:44], v[39:40]
	;; [unrolled: 1-line block ×3, first 2 shown]
	v_add_f64 v[43:44], v[41:42], v[39:40]
	v_fma_f64 v[37:38], v[35:36], v[37:38], s[38:39]
	v_add_f64 v[41:42], v[43:44], -v[41:42]
	v_fma_f64 v[37:38], v[35:36], v[37:38], s[40:41]
	v_add_f64 v[39:40], v[39:40], -v[41:42]
	v_fma_f64 v[37:38], v[35:36], v[37:38], s[42:43]
	v_fma_f64 v[37:38], v[35:36], v[37:38], s[44:45]
	v_mul_f64 v[45:46], v[43:44], v[37:38]
	v_fma_f64 v[41:42], v[43:44], v[37:38], -v[45:46]
	v_fma_f64 v[37:38], v[39:40], v[37:38], v[41:42]
	v_add_f64 v[39:40], v[45:46], v[37:38]
	v_add_f64 v[41:42], v[35:36], v[39:40]
	v_add_f64 v[43:44], v[39:40], -v[45:46]
	v_add_f64 v[35:36], v[41:42], -v[35:36]
	;; [unrolled: 1-line block ×4, first 2 shown]
	v_add_f64 v[33:34], v[33:34], v[37:38]
	v_add_f64 v[33:34], v[33:34], v[35:36]
	;; [unrolled: 1-line block ×3, first 2 shown]
	v_add_f64 v[37:38], v[35:36], 1.0
	v_add_f64 v[39:40], v[35:36], -v[41:42]
	v_add_f64 v[41:42], v[37:38], -1.0
	v_add_f64 v[33:34], v[33:34], -v[39:40]
	v_add_f64 v[35:36], v[35:36], -v[41:42]
	v_add_f64 v[33:34], v[33:34], v[35:36]
	v_add_f64 v[31:32], v[37:38], v[33:34]
	v_ldexp_f64 v[35:36], v[31:32], v4
	v_add_f64 v[31:32], v[31:32], -v[37:38]
	v_rcp_f64_e32 v[39:40], v[35:36]
	v_add_f64 v[31:32], v[33:34], -v[31:32]
	v_ldexp_f64 v[31:32], v[31:32], v4
	v_fma_f64 v[41:42], -v[35:36], v[39:40], 1.0
	v_fma_f64 v[39:40], v[41:42], v[39:40], v[39:40]
	v_fma_f64 v[41:42], -v[35:36], v[39:40], 1.0
	v_fma_f64 v[37:38], v[41:42], v[39:40], v[39:40]
	v_mul_f64 v[33:34], v[35:36], v[37:38]
	v_fma_f64 v[39:40], v[37:38], v[35:36], -v[33:34]
	v_fma_f64 v[39:40], v[37:38], v[31:32], v[39:40]
	v_add_f64 v[41:42], v[33:34], v[39:40]
	v_add_f64 v[43:44], -v[41:42], 1.0
	v_add_f64 v[33:34], v[41:42], -v[33:34]
	v_add_f64 v[45:46], -v[43:44], 1.0
	v_add_f64 v[33:34], v[33:34], -v[39:40]
	v_add_f64 v[39:40], v[45:46], -v[41:42]
	v_add_f64 v[33:34], v[33:34], v[39:40]
	v_add_f64 v[39:40], v[43:44], v[33:34]
	v_mul_f64 v[41:42], v[37:38], v[39:40]
	v_add_f64 v[43:44], v[43:44], -v[39:40]
	v_mul_f64 v[45:46], v[35:36], v[41:42]
	v_add_f64 v[33:34], v[33:34], v[43:44]
	v_fma_f64 v[47:48], v[41:42], v[35:36], -v[45:46]
	v_fma_f64 v[47:48], v[41:42], v[31:32], v[47:48]
	v_add_f64 v[49:50], v[45:46], v[47:48]
	v_add_f64 v[51:52], v[39:40], -v[49:50]
	v_add_f64 v[43:44], v[49:50], -v[45:46]
	;; [unrolled: 1-line block ×5, first 2 shown]
	v_add_f64 v[33:34], v[33:34], v[39:40]
	v_add_f64 v[39:40], v[37:38], v[41:42]
	;; [unrolled: 1-line block ×3, first 2 shown]
	v_add_f64 v[43:44], v[39:40], -v[37:38]
	v_add_f64 v[33:34], v[51:52], v[33:34]
	v_add_f64 v[41:42], v[41:42], -v[43:44]
	v_mul_f64 v[33:34], v[37:38], v[33:34]
	v_add_f64 v[33:34], v[41:42], v[33:34]
	v_add_f64 v[37:38], v[39:40], v[33:34]
	;; [unrolled: 1-line block ×3, first 2 shown]
	v_add_f64 v[39:40], v[37:38], -v[39:40]
	v_add_f64 v[45:46], v[35:36], -v[37:38]
	;; [unrolled: 1-line block ×6, first 2 shown]
	v_add_f64 v[43:44], v[31:32], v[33:34]
	v_add_f64 v[35:36], v[35:36], -v[37:38]
	v_add_f64 v[39:40], v[43:44], v[39:40]
	v_add_f64 v[31:32], v[31:32], v[35:36]
	;; [unrolled: 1-line block ×3, first 2 shown]
	v_add_f64 v[31:32], v[31:32], -v[33:34]
	v_rcp_f64_e32 v[47:48], v[43:44]
	v_add_f64 v[41:42], v[43:44], -v[41:42]
	v_add_f64 v[39:40], v[39:40], -v[41:42]
	v_fma_f64 v[37:38], -v[43:44], v[47:48], 1.0
	v_fma_f64 v[35:36], v[37:38], v[47:48], v[47:48]
	v_add_f64 v[37:38], v[45:46], v[31:32]
	v_fma_f64 v[33:34], -v[43:44], v[35:36], 1.0
	v_fma_f64 v[33:34], v[33:34], v[35:36], v[35:36]
	v_mul_f64 v[35:36], v[37:38], v[33:34]
	v_mul_f64 v[47:48], v[43:44], v[35:36]
	v_fma_f64 v[41:42], v[35:36], v[43:44], -v[47:48]
	v_fma_f64 v[39:40], v[35:36], v[39:40], v[41:42]
	v_add_f64 v[41:42], v[47:48], v[39:40]
	v_add_f64 v[43:44], v[37:38], -v[41:42]
	v_add_f64 v[47:48], v[41:42], -v[47:48]
	;; [unrolled: 1-line block ×8, first 2 shown]
	v_mul_lo_u32 v39, v19, s46
	v_ashrrev_i32_e32 v19, 31, v18
	v_lshlrev_b64 v[18:19], 3, v[18:19]
	v_ashrrev_i32_e32 v40, 31, v39
	v_add_f64 v[31:32], v[31:32], v[37:38]
	v_mul_lo_u32 v37, v2, s46
	v_ashrrev_i32_e32 v38, 31, v37
	v_add_f64 v[31:32], v[43:44], v[31:32]
	v_mul_f64 v[31:32], v[33:34], v[31:32]
	v_add_f64 v[31:32], v[35:36], v[31:32]
	v_cndmask_b32_e32 v4, 0x3ff00000, v32, vcc_lo
	v_cndmask_b32_e32 v6, 0, v31, vcc_lo
	v_cmp_gt_f64_e64 vcc_lo, 0x3e400000, |v[26:27]|
	v_mul_f64 v[31:32], v[16:17], v[24:25]
	v_cndmask_b32_e32 v4, v4, v8, vcc_lo
	v_cndmask_b32_e32 v26, v6, v26, vcc_lo
	v_cmp_le_i32_e32 vcc_lo, s1, v0
	v_ashrrev_i32_e32 v6, 31, v5
	v_bfi_b32 v27, 0x7fffffff, v4, v27
	s_or_b32 s47, vcc_lo, s47
	v_add_co_u32 v10, vcc_lo, s10, v10
	v_fma_f64 v[33:34], -v[26:27], v[26:27], 1.0
	v_mul_f64 v[24:25], v[26:27], v[24:25]
	v_add_f64 v[26:27], -v[14:15], 1.0
	v_add_co_ci_u32_e64 v11, null, s11, v11, vcc_lo
	v_fma_f64 v[28:29], v[33:34], v[31:32], v[28:29]
	v_add_f64 v[31:32], -v[12:13], 1.0
	v_add_f64 v[33:34], -v[16:17], 1.0
	v_mul_f64 v[35:36], v[20:21], v[28:29]
	v_mul_f64 v[22:23], v[22:23], v[28:29]
	v_fma_f64 v[20:21], -v[20:21], v[20:21], 1.0
	v_mul_f64 v[24:25], v[33:34], v[24:25]
	v_mul_f64 v[33:34], v[12:13], v[28:29]
	v_mul_f64 v[28:29], v[14:15], v[28:29]
	v_mul_f64 v[31:32], v[31:32], v[35:36]
	v_mul_f64 v[22:23], v[26:27], v[22:23]
	v_lshlrev_b64 v[35:36], 3, v[37:38]
	v_mul_f64 v[16:17], v[16:17], v[24:25]
	v_mul_f64 v[20:21], v[20:21], v[33:34]
	v_lshlrev_b64 v[37:38], 3, v[39:40]
	v_lshlrev_b64 v[26:27], 3, v[5:6]
	v_add_nc_u32_e32 v5, s55, v5
	v_mul_f64 v[12:13], v[12:13], v[31:32]
	v_mul_f64 v[14:15], v[14:15], v[22:23]
	v_add_co_u32 v22, vcc_lo, s10, v35
	v_add_co_ci_u32_e64 v23, null, s11, v36, vcc_lo
	v_add_co_u32 v18, vcc_lo, s10, v18
	v_add_co_ci_u32_e64 v19, null, s11, v19, vcc_lo
	v_add_co_u32 v24, vcc_lo, s10, v37
	v_add_co_ci_u32_e64 v25, null, s11, v38, vcc_lo
	v_add_co_u32 v26, vcc_lo, s16, v26
	v_add_co_ci_u32_e64 v27, null, s17, v27, vcc_lo
	global_store_dwordx2 v[10:11], v[12:13], off
	global_store_dwordx2 v[22:23], v[14:15], off
	;; [unrolled: 1-line block ×5, first 2 shown]
	s_andn2_b32 exec_lo, exec_lo, s47
	s_cbranch_execz .LBB16_7
.LBB16_3:                               ; =>This Inner Loop Header: Depth=1
	v_sub_nc_u32_e32 v2, 0, v0
	v_mov_b32_e32 v28, 0
	v_mov_b32_e32 v29, 0
	v_max_i32_e32 v2, v0, v2
	v_mul_hi_u32 v4, v2, v30
	v_mul_lo_u32 v6, v4, s51
	v_sub_nc_u32_e32 v2, v2, v6
	v_add_nc_u32_e32 v6, 1, v4
	v_subrev_nc_u32_e32 v8, s51, v2
	v_cmp_le_u32_e32 vcc_lo, s51, v2
	v_cndmask_b32_e32 v4, v4, v6, vcc_lo
	v_cndmask_b32_e32 v2, v2, v8, vcc_lo
	v_ashrrev_i32_e32 v6, 31, v0
	v_add_nc_u32_e32 v8, 1, v4
	v_cmp_le_u32_e32 vcc_lo, s51, v2
	v_xor_b32_e32 v6, s58, v6
	v_cndmask_b32_e32 v2, v4, v8, vcc_lo
	v_mul_i32_i24_e32 v4, 3, v6
	v_xor_b32_e32 v2, v2, v6
	v_lshl_add_u32 v8, v2, 1, v2
	v_sub_nc_u32_e32 v2, v2, v6
	v_sub_nc_u32_e32 v6, v8, v4
	v_ashrrev_i32_e32 v4, 31, v3
	v_mad_u64_u32 v[11:12], null, s48, v2, v[0:1]
	v_ashrrev_i32_e32 v2, 31, v1
	v_mul_lo_u32 v8, s0, v6
	v_add_nc_u32_e32 v10, 2, v6
	v_lshlrev_b64 v[16:17], 3, v[3:4]
	v_add_nc_u32_e32 v4, 3, v6
	v_lshlrev_b64 v[12:13], 3, v[1:2]
	v_mul_lo_u32 v14, v11, s33
	v_mad_u64_u32 v[18:19], null, s0, v10, v[0:1]
	v_add3_u32 v2, v8, s0, v0
	v_mad_u64_u32 v[19:20], null, s0, v4, v[0:1]
	v_add_co_u32 v12, vcc_lo, s12, v12
	v_mul_lo_u32 v20, v2, s33
	v_mul_lo_u32 v22, v18, s33
	v_ashrrev_i32_e32 v15, 31, v14
	v_add_co_ci_u32_e64 v13, null, s13, v13, vcc_lo
	v_mul_lo_u32 v24, v19, s33
	v_add_co_u32 v26, vcc_lo, s14, v16
	v_ashrrev_i32_e32 v21, 31, v20
	v_ashrrev_i32_e32 v23, 31, v22
	v_lshlrev_b64 v[14:15], 3, v[14:15]
	v_add_co_ci_u32_e64 v27, null, s15, v17, vcc_lo
	v_ashrrev_i32_e32 v25, 31, v24
	v_lshlrev_b64 v[16:17], 3, v[20:21]
	v_lshlrev_b64 v[20:21], 3, v[22:23]
	v_add_co_u32 v14, vcc_lo, s8, v14
	v_lshlrev_b64 v[22:23], 3, v[24:25]
	v_add_co_ci_u32_e64 v15, null, s9, v15, vcc_lo
	v_add_co_u32 v16, vcc_lo, s8, v16
	v_add_co_ci_u32_e64 v17, null, s9, v17, vcc_lo
	v_add_co_u32 v20, vcc_lo, s8, v20
	v_add_co_ci_u32_e64 v21, null, s9, v21, vcc_lo
	v_add_co_u32 v24, vcc_lo, s8, v22
	v_add_co_ci_u32_e64 v25, null, s9, v23, vcc_lo
	global_load_dwordx2 v[22:23], v[12:13], off
	s_clause 0x3
	global_load_dwordx2 v[12:13], v[14:15], off
	global_load_dwordx2 v[14:15], v[16:17], off
	;; [unrolled: 1-line block ×5, first 2 shown]
	v_mov_b32_e32 v24, 0
	v_mov_b32_e32 v25, 0
	s_andn2_b32 vcc_lo, exec_lo, s49
	s_cbranch_vccnz .LBB16_5
; %bb.4:                                ;   in Loop: Header=BB16_3 Depth=1
	v_ashrrev_i32_e32 v8, 31, v7
	v_lshlrev_b64 v[24:25], 3, v[7:8]
	v_add_co_u32 v24, vcc_lo, s2, v24
	v_add_co_ci_u32_e64 v25, null, s3, v25, vcc_lo
	global_load_dwordx2 v[24:25], v[24:25], off
.LBB16_5:                               ;   in Loop: Header=BB16_3 Depth=1
	s_andn2_b32 vcc_lo, exec_lo, s50
	s_cbranch_vccnz .LBB16_2
; %bb.6:                                ;   in Loop: Header=BB16_3 Depth=1
	v_ashrrev_i32_e32 v10, 31, v9
	v_lshlrev_b64 v[28:29], 3, v[9:10]
	v_add_co_u32 v28, vcc_lo, s6, v28
	v_add_co_ci_u32_e64 v29, null, s7, v29, vcc_lo
	global_load_dwordx2 v[28:29], v[28:29], off
	s_branch .LBB16_2
.LBB16_7:
	s_endpgm
	.section	.rodata,"a",@progbits
	.p2align	6, 0x0
	.amdhsa_kernel _ZN2at6native12_GLOBAL__N_16kernel18lstm_cell_backwardIddiLi1EEEvNS_4cuda6detail10TensorInfoIT_T1_EES9_S9_S9_S9_S9_S9_S8_S8_
		.amdhsa_group_segment_fixed_size 0
		.amdhsa_private_segment_fixed_size 0
		.amdhsa_kernarg_size 1776
		.amdhsa_user_sgpr_count 6
		.amdhsa_user_sgpr_private_segment_buffer 1
		.amdhsa_user_sgpr_dispatch_ptr 0
		.amdhsa_user_sgpr_queue_ptr 0
		.amdhsa_user_sgpr_kernarg_segment_ptr 1
		.amdhsa_user_sgpr_dispatch_id 0
		.amdhsa_user_sgpr_flat_scratch_init 0
		.amdhsa_user_sgpr_private_segment_size 0
		.amdhsa_wavefront_size32 1
		.amdhsa_uses_dynamic_stack 0
		.amdhsa_system_sgpr_private_segment_wavefront_offset 0
		.amdhsa_system_sgpr_workgroup_id_x 1
		.amdhsa_system_sgpr_workgroup_id_y 0
		.amdhsa_system_sgpr_workgroup_id_z 0
		.amdhsa_system_sgpr_workgroup_info 0
		.amdhsa_system_vgpr_workitem_id 0
		.amdhsa_next_free_vgpr 53
		.amdhsa_next_free_sgpr 59
		.amdhsa_reserve_vcc 1
		.amdhsa_reserve_flat_scratch 0
		.amdhsa_float_round_mode_32 0
		.amdhsa_float_round_mode_16_64 0
		.amdhsa_float_denorm_mode_32 3
		.amdhsa_float_denorm_mode_16_64 3
		.amdhsa_dx10_clamp 1
		.amdhsa_ieee_mode 1
		.amdhsa_fp16_overflow 0
		.amdhsa_workgroup_processor_mode 1
		.amdhsa_memory_ordered 1
		.amdhsa_forward_progress 1
		.amdhsa_shared_vgpr_count 0
		.amdhsa_exception_fp_ieee_invalid_op 0
		.amdhsa_exception_fp_denorm_src 0
		.amdhsa_exception_fp_ieee_div_zero 0
		.amdhsa_exception_fp_ieee_overflow 0
		.amdhsa_exception_fp_ieee_underflow 0
		.amdhsa_exception_fp_ieee_inexact 0
		.amdhsa_exception_int_div_zero 0
	.end_amdhsa_kernel
	.section	.text._ZN2at6native12_GLOBAL__N_16kernel18lstm_cell_backwardIddiLi1EEEvNS_4cuda6detail10TensorInfoIT_T1_EES9_S9_S9_S9_S9_S9_S8_S8_,"axG",@progbits,_ZN2at6native12_GLOBAL__N_16kernel18lstm_cell_backwardIddiLi1EEEvNS_4cuda6detail10TensorInfoIT_T1_EES9_S9_S9_S9_S9_S9_S8_S8_,comdat
.Lfunc_end16:
	.size	_ZN2at6native12_GLOBAL__N_16kernel18lstm_cell_backwardIddiLi1EEEvNS_4cuda6detail10TensorInfoIT_T1_EES9_S9_S9_S9_S9_S9_S8_S8_, .Lfunc_end16-_ZN2at6native12_GLOBAL__N_16kernel18lstm_cell_backwardIddiLi1EEEvNS_4cuda6detail10TensorInfoIT_T1_EES9_S9_S9_S9_S9_S9_S8_S8_
                                        ; -- End function
	.set _ZN2at6native12_GLOBAL__N_16kernel18lstm_cell_backwardIddiLi1EEEvNS_4cuda6detail10TensorInfoIT_T1_EES9_S9_S9_S9_S9_S9_S8_S8_.num_vgpr, 53
	.set _ZN2at6native12_GLOBAL__N_16kernel18lstm_cell_backwardIddiLi1EEEvNS_4cuda6detail10TensorInfoIT_T1_EES9_S9_S9_S9_S9_S9_S8_S8_.num_agpr, 0
	.set _ZN2at6native12_GLOBAL__N_16kernel18lstm_cell_backwardIddiLi1EEEvNS_4cuda6detail10TensorInfoIT_T1_EES9_S9_S9_S9_S9_S9_S8_S8_.numbered_sgpr, 59
	.set _ZN2at6native12_GLOBAL__N_16kernel18lstm_cell_backwardIddiLi1EEEvNS_4cuda6detail10TensorInfoIT_T1_EES9_S9_S9_S9_S9_S9_S8_S8_.num_named_barrier, 0
	.set _ZN2at6native12_GLOBAL__N_16kernel18lstm_cell_backwardIddiLi1EEEvNS_4cuda6detail10TensorInfoIT_T1_EES9_S9_S9_S9_S9_S9_S8_S8_.private_seg_size, 0
	.set _ZN2at6native12_GLOBAL__N_16kernel18lstm_cell_backwardIddiLi1EEEvNS_4cuda6detail10TensorInfoIT_T1_EES9_S9_S9_S9_S9_S9_S8_S8_.uses_vcc, 1
	.set _ZN2at6native12_GLOBAL__N_16kernel18lstm_cell_backwardIddiLi1EEEvNS_4cuda6detail10TensorInfoIT_T1_EES9_S9_S9_S9_S9_S9_S8_S8_.uses_flat_scratch, 0
	.set _ZN2at6native12_GLOBAL__N_16kernel18lstm_cell_backwardIddiLi1EEEvNS_4cuda6detail10TensorInfoIT_T1_EES9_S9_S9_S9_S9_S9_S8_S8_.has_dyn_sized_stack, 0
	.set _ZN2at6native12_GLOBAL__N_16kernel18lstm_cell_backwardIddiLi1EEEvNS_4cuda6detail10TensorInfoIT_T1_EES9_S9_S9_S9_S9_S9_S8_S8_.has_recursion, 0
	.set _ZN2at6native12_GLOBAL__N_16kernel18lstm_cell_backwardIddiLi1EEEvNS_4cuda6detail10TensorInfoIT_T1_EES9_S9_S9_S9_S9_S9_S8_S8_.has_indirect_call, 0
	.section	.AMDGPU.csdata,"",@progbits
; Kernel info:
; codeLenInByte = 2616
; TotalNumSgprs: 61
; NumVgprs: 53
; ScratchSize: 0
; MemoryBound: 0
; FloatMode: 240
; IeeeMode: 1
; LDSByteSize: 0 bytes/workgroup (compile time only)
; SGPRBlocks: 0
; VGPRBlocks: 6
; NumSGPRsForWavesPerEU: 61
; NumVGPRsForWavesPerEU: 53
; Occupancy: 16
; WaveLimiterHint : 1
; COMPUTE_PGM_RSRC2:SCRATCH_EN: 0
; COMPUTE_PGM_RSRC2:USER_SGPR: 6
; COMPUTE_PGM_RSRC2:TRAP_HANDLER: 0
; COMPUTE_PGM_RSRC2:TGID_X_EN: 1
; COMPUTE_PGM_RSRC2:TGID_Y_EN: 0
; COMPUTE_PGM_RSRC2:TGID_Z_EN: 0
; COMPUTE_PGM_RSRC2:TIDIG_COMP_CNT: 0
	.section	.text._ZN2at6native12_GLOBAL__N_16kernel18lstm_cell_backwardIddiLi2EEEvNS_4cuda6detail10TensorInfoIT_T1_EES9_S9_S9_S9_S9_S9_S8_S8_,"axG",@progbits,_ZN2at6native12_GLOBAL__N_16kernel18lstm_cell_backwardIddiLi2EEEvNS_4cuda6detail10TensorInfoIT_T1_EES9_S9_S9_S9_S9_S9_S8_S8_,comdat
	.globl	_ZN2at6native12_GLOBAL__N_16kernel18lstm_cell_backwardIddiLi2EEEvNS_4cuda6detail10TensorInfoIT_T1_EES9_S9_S9_S9_S9_S9_S8_S8_ ; -- Begin function _ZN2at6native12_GLOBAL__N_16kernel18lstm_cell_backwardIddiLi2EEEvNS_4cuda6detail10TensorInfoIT_T1_EES9_S9_S9_S9_S9_S9_S8_S8_
	.p2align	8
	.type	_ZN2at6native12_GLOBAL__N_16kernel18lstm_cell_backwardIddiLi2EEEvNS_4cuda6detail10TensorInfoIT_T1_EES9_S9_S9_S9_S9_S9_S8_S8_,@function
_ZN2at6native12_GLOBAL__N_16kernel18lstm_cell_backwardIddiLi2EEEvNS_4cuda6detail10TensorInfoIT_T1_EES9_S9_S9_S9_S9_S9_S8_S8_: ; @_ZN2at6native12_GLOBAL__N_16kernel18lstm_cell_backwardIddiLi2EEEvNS_4cuda6detail10TensorInfoIT_T1_EES9_S9_S9_S9_S9_S9_S8_S8_
; %bb.0:
	s_clause 0x1
	s_load_dword s2, s[4:5], 0x5fc
	s_load_dwordx2 s[8:9], s[4:5], 0x5e8
	s_add_u32 s0, s4, 0x5f0
	s_addc_u32 s1, s5, 0
	s_mov_b32 s3, exec_lo
	s_waitcnt lgkmcnt(0)
	s_and_b32 s2, s2, 0xffff
	v_mad_u64_u32 v[0:1], null, s6, s2, v[0:1]
	v_cmpx_gt_i32_e64 s9, v0
	s_cbranch_execz .LBB17_7
; %bb.1:
	s_clause 0xb
	s_load_dwordx2 s[6:7], s[4:5], 0x360
	s_load_dwordx2 s[10:11], s[4:5], 0x438
	s_load_dword s33, s[4:5], 0xc
	s_load_dword s3, s[4:5], 0x36c
	s_load_dwordx2 s[12:13], s[4:5], 0x3cc
	s_load_dwordx2 s[14:15], s[4:5], 0x0
	;; [unrolled: 1-line block ×4, first 2 shown]
	s_load_dword s64, s[4:5], 0xe4
	s_load_dwordx2 s[20:21], s[4:5], 0x144
	s_load_dwordx2 s[22:23], s[4:5], 0x1b0
	s_load_dword s36, s[4:5], 0x1bc
	s_load_dword s70, s[0:1], 0x0
	s_clause 0x8
	s_load_dword s0, s[4:5], 0x294
	s_load_dword s1, s[4:5], 0x444
	s_load_dwordx2 s[24:25], s[4:5], 0x4a4
	s_load_dwordx2 s[26:27], s[4:5], 0x510
	s_load_dword s37, s[4:5], 0x51c
	s_load_dwordx2 s[28:29], s[4:5], 0x21c
	s_load_dwordx2 s[30:31], s[4:5], 0x288
	;; [unrolled: 1-line block ×4, first 2 shown]
	s_mov_b32 s40, 0xf278e000
	s_mov_b32 s42, 0xf97b57a0
	;; [unrolled: 1-line block ×3, first 2 shown]
	s_waitcnt lgkmcnt(0)
	s_cmp_lg_u64 s[6:7], 0
	s_mov_b32 s46, 0x6a5dcb37
	s_cselect_b32 s65, -1, 0
	s_cmp_lg_u64 s[10:11], 0
	s_mov_b32 s48, 0x623fde64
	s_cselect_b32 s66, -1, 0
	s_abs_i32 s67, s8
	s_abs_i32 s68, s33
	v_cvt_f32_u32_e32 v1, s67
	v_cvt_f32_u32_e32 v2, s68
	s_abs_i32 s72, s64
	s_abs_i32 s74, s36
	s_mul_i32 s70, s70, s2
	v_rcp_iflag_f32_e32 v1, v1
	v_rcp_iflag_f32_e32 v2, v2
	s_sub_i32 s2, 0, s67
	v_cvt_f32_u32_e32 v3, s72
	v_cvt_f32_u32_e32 v4, s74
	s_sub_i32 s38, 0, s68
	s_abs_i32 s75, s0
	s_abs_i32 s76, s37
	v_rcp_iflag_f32_e32 v3, v3
	v_rcp_iflag_f32_e32 v4, v4
	v_mul_f32_e32 v1, 0x4f7ffffe, v1
	v_mul_f32_e32 v2, 0x4f7ffffe, v2
	s_abs_i32 s77, s3
	s_abs_i32 s78, s1
	v_cvt_f32_u32_e32 v7, s75
	v_cvt_u32_f32_e32 v1, v1
	v_cvt_u32_f32_e32 v2, v2
	v_cvt_f32_u32_e32 v8, s76
	v_cvt_f32_u32_e32 v9, s77
	;; [unrolled: 1-line block ×3, first 2 shown]
	v_mul_lo_u32 v5, s2, v1
	v_mul_lo_u32 v6, s38, v2
	v_rcp_iflag_f32_e32 v7, v7
	v_rcp_iflag_f32_e32 v8, v8
	v_mul_f32_e32 v3, 0x4f7ffffe, v3
	v_mul_f32_e32 v4, 0x4f7ffffe, v4
	s_sub_i32 s2, 0, s72
	s_sub_i32 s38, 0, s75
	v_mul_hi_u32 v5, v1, v5
	v_mul_hi_u32 v6, v2, v6
	v_cvt_u32_f32_e32 v3, v3
	v_cvt_u32_f32_e32 v4, v4
	s_ashr_i32 s80, s36, 31
	s_ashr_i32 s82, s37, 31
	s_sub_i32 s86, 0, s36
	v_mul_lo_u32 v11, s2, v3
	v_add_nc_u32_e32 v18, v1, v5
	v_rcp_iflag_f32_e32 v1, v9
	v_rcp_iflag_f32_e32 v5, v10
	v_add_nc_u32_e32 v19, v2, v6
	v_mul_f32_e32 v2, 0x4f7ffffe, v7
	v_mul_f32_e32 v7, 0x4f7ffffe, v8
	s_sub_i32 s2, 0, s74
	v_mul_hi_u32 v6, v3, v11
	v_mul_lo_u32 v8, s2, v4
	v_cvt_u32_f32_e32 v2, v2
	v_cvt_u32_f32_e32 v7, v7
	v_mul_f32_e32 v1, 0x4f7ffffe, v1
	v_mul_f32_e32 v5, 0x4f7ffffe, v5
	s_sub_i32 s2, 0, s76
	v_mul_lo_u32 v9, s38, v2
	s_sub_i32 s38, 0, s77
	v_cvt_u32_f32_e32 v1, v1
	v_cvt_u32_f32_e32 v5, v5
	v_mul_lo_u32 v10, s2, v7
	s_sub_i32 s2, 0, s78
	v_mul_hi_u32 v8, v4, v8
	v_mul_lo_u32 v11, s38, v1
	v_mul_lo_u32 v12, s2, v5
	v_mul_hi_u32 v9, v2, v9
	v_add_nc_u32_e32 v20, v3, v6
	s_sub_i32 s88, 0, s37
	v_mul_hi_u32 v3, v7, v10
	s_mov_b32 s36, 0x652b82fe
	v_add_nc_u32_e32 v21, v4, v8
	v_mul_hi_u32 v6, v1, v11
	v_mul_hi_u32 v4, v5, v12
	v_add_nc_u32_e32 v22, v2, v9
	s_mov_b32 s38, 0xfefa3000
	s_mov_b32 s50, 0x7c89e6b0
	v_add_nc_u32_e32 v23, v7, v3
	s_mov_b32 s52, 0x14761f6e
	s_mov_b32 s54, 0x1852b7b0
	v_add_nc_u32_e32 v24, v1, v6
	v_add_nc_u32_e32 v25, v5, v4
	s_mov_b32 s56, 0x11122322
	s_mov_b32 s58, 0x555502a1
	s_mov_b32 s60, 0x55555511
	s_mov_b32 s62, 11
	s_mov_b32 s69, 0
	s_ashr_i32 s71, s8, 31
	s_ashr_i32 s73, s33, 31
	;; [unrolled: 1-line block ×6, first 2 shown]
	s_mul_i32 s85, s8, 3
	s_sub_i32 s87, 0, s0
	s_sub_i32 s89, 0, s3
	;; [unrolled: 1-line block ×3, first 2 shown]
	s_mov_b32 s37, 0x3ff71547
	s_mov_b32 s39, 0xbfe62e42
	s_mov_b32 s41, 0xbd53de6a
	s_mov_b32 s43, 0xbac9cc01
	s_mov_b32 s45, 0x3e928af3
	s_mov_b32 s47, 0x3e5ade15
	s_mov_b32 s49, 0x3ec71dee
	s_mov_b32 s51, 0x3efa0199
	s_mov_b32 s53, 0x3f2a01a0
	s_mov_b32 s55, 0x3f56c16c
	s_mov_b32 s57, 0x3f811111
	s_mov_b32 s59, 0x3fa55555
	s_mov_b32 s61, 0x3fc55555
	s_mov_b32 s63, 0x3fe00000
	s_branch .LBB17_3
.LBB17_2:                               ;   in Loop: Header=BB17_3 Depth=1
	s_waitcnt vmcnt(0)
	v_mul_f64 v[39:40], |v[14:15]|, s[36:37]
	v_cmp_nlt_f64_e64 vcc_lo, 0x40331000, |v[14:15]|
	v_cmp_gt_f64_e64 s0, 0x3e400000, |v[14:15]|
	v_rndne_f64_e32 v[39:40], v[39:40]
	v_fma_f64 v[41:42], v[39:40], s[38:39], |v[14:15]|
	v_mul_f64 v[43:44], v[39:40], s[40:41]
	v_add_f64 v[45:46], v[41:42], 0
	v_add_f64 v[47:48], v[45:46], v[43:44]
	v_add_f64 v[41:42], v[41:42], -v[45:46]
	v_add_f64 v[45:46], v[45:46], -v[47:48]
	v_add_f64 v[41:42], v[41:42], 0
	v_add_f64 v[43:44], v[45:46], v[43:44]
	;; [unrolled: 1-line block ×3, first 2 shown]
	v_mul_f64 v[43:44], v[39:40], s[42:43]
	v_add_f64 v[45:46], v[47:48], v[41:42]
	v_add_f64 v[49:50], v[45:46], v[43:44]
	v_add_f64 v[47:48], v[47:48], -v[45:46]
	v_add_f64 v[45:46], v[45:46], -v[49:50]
	v_add_f64 v[41:42], v[41:42], v[47:48]
	v_add_f64 v[43:44], v[45:46], v[43:44]
	;; [unrolled: 1-line block ×4, first 2 shown]
	v_fma_f64 v[45:46], v[43:44], s[46:47], s[44:45]
	v_add_f64 v[47:48], v[49:50], -v[43:44]
	v_mul_f64 v[49:50], v[43:44], v[43:44]
	v_fma_f64 v[45:46], v[43:44], v[45:46], s[48:49]
	v_add_f64 v[41:42], v[41:42], v[47:48]
	v_fma_f64 v[47:48], v[43:44], v[43:44], -v[49:50]
	v_fma_f64 v[45:46], v[43:44], v[45:46], s[50:51]
	v_add_f64 v[51:52], v[41:42], v[41:42]
	v_fma_f64 v[45:46], v[43:44], v[45:46], s[52:53]
	v_fma_f64 v[47:48], v[43:44], v[51:52], v[47:48]
	;; [unrolled: 1-line block ×3, first 2 shown]
	v_add_f64 v[51:52], v[49:50], v[47:48]
	v_fma_f64 v[45:46], v[43:44], v[45:46], s[56:57]
	v_add_f64 v[49:50], v[51:52], -v[49:50]
	v_fma_f64 v[45:46], v[43:44], v[45:46], s[58:59]
	v_add_f64 v[47:48], v[47:48], -v[49:50]
	v_fma_f64 v[45:46], v[43:44], v[45:46], s[60:61]
	v_fma_f64 v[45:46], v[43:44], v[45:46], s[62:63]
	v_mul_f64 v[53:54], v[51:52], v[45:46]
	v_fma_f64 v[49:50], v[51:52], v[45:46], -v[53:54]
	v_fma_f64 v[45:46], v[47:48], v[45:46], v[49:50]
	v_add_f64 v[47:48], v[53:54], v[45:46]
	v_add_f64 v[49:50], v[43:44], v[47:48]
	v_add_f64 v[51:52], v[47:48], -v[53:54]
	v_add_f64 v[43:44], v[49:50], -v[43:44]
	;; [unrolled: 1-line block ×3, first 2 shown]
	v_cvt_i32_f64_e32 v51, v[39:40]
	v_add_f64 v[43:44], v[47:48], -v[43:44]
	v_add_f64 v[41:42], v[41:42], v[45:46]
	v_add_f64 v[41:42], v[41:42], v[43:44]
	v_add_f64 v[43:44], v[49:50], v[41:42]
	v_add_f64 v[45:46], v[43:44], 1.0
	v_add_f64 v[47:48], v[43:44], -v[49:50]
	v_add_f64 v[49:50], v[45:46], -1.0
	v_add_f64 v[41:42], v[41:42], -v[47:48]
	v_add_f64 v[43:44], v[43:44], -v[49:50]
	v_add_f64 v[41:42], v[41:42], v[43:44]
	v_add_f64 v[39:40], v[45:46], v[41:42]
	v_ldexp_f64 v[43:44], v[39:40], v51
	v_add_f64 v[39:40], v[39:40], -v[45:46]
	v_rcp_f64_e32 v[47:48], v[43:44]
	v_add_f64 v[39:40], v[41:42], -v[39:40]
	v_ldexp_f64 v[39:40], v[39:40], v51
	v_fma_f64 v[49:50], -v[43:44], v[47:48], 1.0
	v_fma_f64 v[47:48], v[49:50], v[47:48], v[47:48]
	v_fma_f64 v[49:50], -v[43:44], v[47:48], 1.0
	v_fma_f64 v[45:46], v[49:50], v[47:48], v[47:48]
	v_mul_f64 v[41:42], v[43:44], v[45:46]
	v_fma_f64 v[47:48], v[45:46], v[43:44], -v[41:42]
	v_fma_f64 v[47:48], v[45:46], v[39:40], v[47:48]
	v_add_f64 v[49:50], v[41:42], v[47:48]
	v_add_f64 v[51:52], -v[49:50], 1.0
	v_add_f64 v[41:42], v[49:50], -v[41:42]
	v_add_f64 v[53:54], -v[51:52], 1.0
	v_add_f64 v[41:42], v[41:42], -v[47:48]
	v_add_f64 v[47:48], v[53:54], -v[49:50]
	v_add_f64 v[41:42], v[41:42], v[47:48]
	v_add_f64 v[47:48], v[51:52], v[41:42]
	v_mul_f64 v[49:50], v[45:46], v[47:48]
	v_add_f64 v[51:52], v[51:52], -v[47:48]
	v_mul_f64 v[53:54], v[43:44], v[49:50]
	v_add_f64 v[41:42], v[41:42], v[51:52]
	v_fma_f64 v[55:56], v[49:50], v[43:44], -v[53:54]
	v_fma_f64 v[55:56], v[49:50], v[39:40], v[55:56]
	v_add_f64 v[57:58], v[53:54], v[55:56]
	v_add_f64 v[59:60], v[47:48], -v[57:58]
	v_add_f64 v[51:52], v[57:58], -v[53:54]
	;; [unrolled: 1-line block ×5, first 2 shown]
	v_add_f64 v[41:42], v[41:42], v[47:48]
	v_add_f64 v[47:48], v[45:46], v[49:50]
	;; [unrolled: 1-line block ×3, first 2 shown]
	v_add_f64 v[51:52], v[47:48], -v[45:46]
	v_add_f64 v[41:42], v[59:60], v[41:42]
	v_add_f64 v[49:50], v[49:50], -v[51:52]
	v_mul_f64 v[41:42], v[45:46], v[41:42]
	v_add_f64 v[41:42], v[49:50], v[41:42]
	v_add_f64 v[45:46], v[47:48], v[41:42]
	;; [unrolled: 1-line block ×3, first 2 shown]
	v_add_f64 v[47:48], v[45:46], -v[47:48]
	v_add_f64 v[53:54], v[43:44], -v[45:46]
	v_add_f64 v[51:52], v[49:50], -v[43:44]
	v_add_f64 v[41:42], v[41:42], -v[47:48]
	v_add_f64 v[43:44], v[43:44], -v[53:54]
	v_add_f64 v[47:48], v[45:46], -v[51:52]
	v_add_f64 v[51:52], v[39:40], v[41:42]
	v_add_f64 v[43:44], v[43:44], -v[45:46]
	v_add_f64 v[47:48], v[51:52], v[47:48]
	v_add_f64 v[39:40], v[39:40], v[43:44]
	;; [unrolled: 1-line block ×3, first 2 shown]
	v_add_f64 v[39:40], v[39:40], -v[41:42]
	v_rcp_f64_e32 v[55:56], v[51:52]
	v_add_f64 v[49:50], v[51:52], -v[49:50]
	v_add_f64 v[47:48], v[47:48], -v[49:50]
	v_fma_f64 v[45:46], -v[51:52], v[55:56], 1.0
	v_fma_f64 v[43:44], v[45:46], v[55:56], v[55:56]
	v_add_f64 v[45:46], v[53:54], v[39:40]
	v_fma_f64 v[41:42], -v[51:52], v[43:44], 1.0
	v_fma_f64 v[41:42], v[41:42], v[43:44], v[43:44]
	v_mul_f64 v[43:44], v[45:46], v[41:42]
	v_mul_f64 v[55:56], v[51:52], v[43:44]
	v_fma_f64 v[49:50], v[43:44], v[51:52], -v[55:56]
	v_fma_f64 v[47:48], v[43:44], v[47:48], v[49:50]
	v_add_f64 v[49:50], v[55:56], v[47:48]
	v_add_f64 v[51:52], v[45:46], -v[49:50]
	v_add_f64 v[55:56], v[49:50], -v[55:56]
	;; [unrolled: 1-line block ×5, first 2 shown]
	v_mul_hi_u32 v53, v26, v23
	v_and_b32_e32 v54, 0x7fffffff, v15
	v_mul_lo_u32 v61, v53, s76
	v_add_nc_u32_e32 v63, 1, v53
	v_sub_nc_u32_e32 v26, v26, v61
	v_add_f64 v[49:50], v[57:58], -v[49:50]
	v_add_f64 v[39:40], v[39:40], -v[45:46]
	v_cmp_le_u32_e64 s3, s76, v26
	v_add_f64 v[45:46], v[49:50], -v[47:48]
	v_mul_hi_u32 v47, v31, v20
	v_mul_hi_u32 v49, v32, v20
	v_xor_b32_e32 v48, s79, v36
	v_xor_b32_e32 v50, s79, v37
	v_add_f64 v[36:37], -v[2:3], 1.0
	v_mul_lo_u32 v57, v47, s72
	v_mul_lo_u32 v59, v49, s72
	v_add_nc_u32_e32 v62, 1, v49
	v_add_nc_u32_e32 v58, 1, v47
	v_sub_nc_u32_e32 v57, v31, v57
	v_sub_nc_u32_e32 v32, v32, v59
	v_add_f64 v[39:40], v[39:40], v[45:46]
	v_xor_b32_e32 v45, s79, v38
	v_xor_b32_e32 v46, s79, v35
	v_subrev_nc_u32_e32 v61, s72, v32
	v_add_f64 v[39:40], v[51:52], v[39:40]
	v_mul_hi_u32 v51, v33, v20
	v_xor_b32_e32 v52, s82, v34
	v_mul_f64 v[34:35], v[6:7], v[12:13]
	v_mul_lo_u32 v60, v51, s72
	v_sub_nc_u32_e32 v33, v33, v60
	v_subrev_nc_u32_e32 v60, s72, v57
	v_cmp_le_u32_e64 s2, s72, v33
	v_mul_f64 v[39:40], v[41:42], v[39:40]
	v_add_f64 v[38:39], v[43:44], v[39:40]
	v_mul_hi_u32 v44, v30, v20
	v_add_f64 v[40:41], -v[4:5], 1.0
	v_add_f64 v[42:43], -v[6:7], 1.0
	v_mul_lo_u32 v55, v44, s72
	v_add_nc_u32_e32 v56, 1, v44
	v_sub_nc_u32_e32 v55, v30, v55
	v_add_nc_u32_e32 v30, 1, v51
	v_cndmask_b32_e32 v39, 0x3ff00000, v39, vcc_lo
	v_cndmask_b32_e32 v38, 0, v38, vcc_lo
	v_subrev_nc_u32_e32 v59, s72, v55
	v_cmp_le_u32_e64 s1, s72, v55
	v_cmp_le_u32_e32 vcc_lo, s72, v57
	v_cndmask_b32_e64 v31, v39, v54, s0
	v_cndmask_b32_e64 v14, v38, v14, s0
	v_cmp_le_u32_e64 s0, s72, v32
	v_cndmask_b32_e64 v44, v44, v56, s1
	v_subrev_nc_u32_e32 v39, s76, v26
	v_bfi_b32 v15, 0x7fffffff, v31, v15
	v_cndmask_b32_e32 v47, v47, v58, vcc_lo
	v_cndmask_b32_e64 v38, v49, v62, s0
	v_cndmask_b32_e64 v49, v51, v30, s2
	;; [unrolled: 1-line block ×3, first 2 shown]
	v_fma_f64 v[30:31], -v[14:15], v[14:15], 1.0
	v_cndmask_b32_e64 v53, v55, v59, s1
	v_cndmask_b32_e32 v54, v57, v60, vcc_lo
	v_cndmask_b32_e64 v26, v26, v39, s3
	v_add_nc_u32_e32 v39, 1, v44
	v_subrev_nc_u32_e32 v56, s72, v33
	v_cmp_le_u32_e32 vcc_lo, s72, v53
	v_cndmask_b32_e64 v32, v32, v61, s0
	v_add_nc_u32_e32 v55, 1, v47
	v_add_nc_u32_e32 v57, 1, v49
	v_cndmask_b32_e64 v33, v33, v56, s2
	v_cndmask_b32_e32 v39, v44, v39, vcc_lo
	v_cmp_le_u32_e32 vcc_lo, s72, v54
	v_add_nc_u32_e32 v56, 1, v38
	v_add_nc_u32_e32 v58, 1, v51
	v_mul_f64 v[12:13], v[14:15], v[12:13]
	v_cndmask_b32_e32 v44, v47, v55, vcc_lo
	v_cmp_le_u32_e32 vcc_lo, s72, v32
	v_fma_f64 v[16:17], v[30:31], v[34:35], v[16:17]
	v_cndmask_b32_e32 v32, v38, v56, vcc_lo
	v_cmp_le_u32_e32 vcc_lo, s72, v33
	v_xor_b32_e32 v38, v39, v45
	v_xor_b32_e32 v39, v44, v46
	;; [unrolled: 1-line block ×3, first 2 shown]
	v_cndmask_b32_e32 v33, v49, v57, vcc_lo
	v_cmp_le_u32_e32 vcc_lo, s76, v26
	v_sub_nc_u32_e32 v34, v38, v45
	v_sub_nc_u32_e32 v35, v39, v46
	;; [unrolled: 1-line block ×3, first 2 shown]
	v_xor_b32_e32 v31, v33, v50
	v_cndmask_b32_e32 v26, v51, v58, vcc_lo
	v_mul_lo_u32 v44, v34, s64
	v_mul_lo_u32 v45, v35, s64
	;; [unrolled: 1-line block ×3, first 2 shown]
	v_sub_nc_u32_e32 v39, v31, v50
	v_xor_b32_e32 v26, v26, v52
	v_fma_f64 v[30:31], -v[8:9], v[8:9], 1.0
	v_mul_f64 v[12:13], v[42:43], v[12:13]
	v_mul_f64 v[8:9], v[8:9], v[16:17]
	;; [unrolled: 1-line block ×3, first 2 shown]
	v_sub_nc_u32_e32 v26, v26, v52
	v_mul_lo_u32 v47, v39, s64
	v_sub_nc_u32_e32 v27, v27, v44
	v_sub_nc_u32_e32 v14, v28, v46
	v_mad_u64_u32 v[32:33], null, s88, v26, v[0:1]
	v_sub_nc_u32_e32 v33, v1, v45
	v_add_nc_u32_e32 v27, v0, v27
	v_sub_nc_u32_e32 v15, v29, v47
	v_add_nc_u32_e32 v29, v0, v14
	v_add_nc_u32_e32 v28, v0, v33
	v_mul_lo_u32 v1, v32, s5
	v_add_nc_u32_e32 v32, v0, v15
	v_mul_lo_u32 v14, v27, s21
	;; [unrolled: 2-line block ×3, first 2 shown]
	v_mul_f64 v[6:7], v[6:7], v[12:13]
	v_mul_f64 v[8:9], v[36:37], v[8:9]
	v_mad_u64_u32 v[26:27], null, v26, s4, v[1:2]
	v_mul_f64 v[10:11], v[40:41], v[10:11]
	v_mul_lo_u32 v27, v32, s21
	v_mul_f64 v[32:33], v[2:3], v[16:17]
	v_mul_lo_u32 v1, v29, s21
	v_mad_u64_u32 v[28:29], null, v34, s20, v[14:15]
	v_mad_u64_u32 v[14:15], null, v35, s20, v[15:16]
	v_mul_f64 v[16:17], v[4:5], v[16:17]
	v_cmp_le_i32_e32 vcc_lo, s9, v0
	v_mad_u64_u32 v[34:35], null, v38, s20, v[1:2]
	v_mad_u64_u32 v[36:37], null, v39, s20, v[27:28]
	v_ashrrev_i32_e32 v29, 31, v28
	v_ashrrev_i32_e32 v15, 31, v14
	;; [unrolled: 1-line block ×3, first 2 shown]
	s_or_b32 s69, vcc_lo, s69
	v_mul_f64 v[1:2], v[2:3], v[8:9]
	v_ashrrev_i32_e32 v35, 31, v34
	v_lshlrev_b64 v[28:29], 3, v[28:29]
	v_mul_f64 v[3:4], v[4:5], v[10:11]
	v_ashrrev_i32_e32 v37, 31, v36
	v_mul_f64 v[12:13], v[30:31], v[32:33]
	v_lshlrev_b64 v[14:15], 3, v[14:15]
	v_lshlrev_b64 v[34:35], 3, v[34:35]
	v_add_co_u32 v8, vcc_lo, s18, v28
	v_lshlrev_b64 v[36:37], 3, v[36:37]
	v_lshlrev_b64 v[26:27], 3, v[26:27]
	v_add_co_ci_u32_e64 v9, null, s19, v29, vcc_lo
	v_add_co_u32 v10, vcc_lo, s18, v14
	v_add_co_ci_u32_e64 v11, null, s19, v15, vcc_lo
	v_add_co_u32 v14, vcc_lo, s18, v34
	;; [unrolled: 2-line block ×4, first 2 shown]
	v_add_co_ci_u32_e64 v27, null, s27, v27, vcc_lo
	global_store_dwordx2 v[8:9], v[1:2], off
	global_store_dwordx2 v[10:11], v[3:4], off
	;; [unrolled: 1-line block ×5, first 2 shown]
	s_andn2_b32 exec_lo, exec_lo, s69
	s_cbranch_execz .LBB17_7
.LBB17_3:                               ; =>This Inner Loop Header: Depth=1
	v_sub_nc_u32_e32 v1, 0, v0
	v_ashrrev_i32_e32 v34, 31, v0
	v_max_i32_e32 v26, v0, v1
	v_xor_b32_e32 v6, s71, v34
	v_xor_b32_e32 v8, s81, v34
	v_mul_hi_u32 v1, v26, v18
	v_mul_hi_u32 v4, v26, v21
	v_mul_i32_i24_e32 v9, 3, v6
	v_mul_lo_u32 v2, v1, s67
	v_add_nc_u32_e32 v3, 1, v1
	v_mul_lo_u32 v7, v4, s74
	v_add_nc_u32_e32 v10, 1, v4
	v_sub_nc_u32_e32 v2, v26, v2
	v_sub_nc_u32_e32 v7, v26, v7
	v_subrev_nc_u32_e32 v5, s67, v2
	v_cmp_le_u32_e32 vcc_lo, s67, v2
	v_cndmask_b32_e32 v1, v1, v3, vcc_lo
	v_cndmask_b32_e32 v2, v2, v5, vcc_lo
	v_mul_hi_u32 v3, v26, v22
	v_add_nc_u32_e32 v5, 1, v1
	v_cmp_le_u32_e32 vcc_lo, s67, v2
	v_mul_lo_u32 v2, v3, s75
	v_cndmask_b32_e32 v1, v1, v5, vcc_lo
	v_add_nc_u32_e32 v11, 1, v3
	v_cmp_le_u32_e32 vcc_lo, s74, v7
	v_xor_b32_e32 v5, s80, v34
	v_xor_b32_e32 v1, v1, v6
	v_sub_nc_u32_e32 v12, v26, v2
	v_cndmask_b32_e32 v4, v4, v10, vcc_lo
	v_sub_nc_u32_e32 v2, v1, v6
	v_lshl_add_u32 v1, v1, 1, v1
	v_cmp_le_u32_e64 s0, s75, v12
	v_subrev_nc_u32_e32 v6, s74, v7
	v_subrev_nc_u32_e32 v10, s75, v12
	v_mul_lo_u32 v27, s85, v2
	v_sub_nc_u32_e32 v9, v1, v9
	v_cndmask_b32_e64 v3, v3, v11, s0
	v_cndmask_b32_e32 v6, v7, v6, vcc_lo
	v_mad_u64_u32 v[1:2], null, s8, v9, s[8:9]
	v_add_nc_u32_e32 v11, v0, v27
	v_add_nc_u32_e32 v2, 2, v9
	;; [unrolled: 1-line block ×4, first 2 shown]
	v_cmp_le_u32_e32 vcc_lo, s74, v6
	v_ashrrev_i32_e32 v38, 31, v11
	v_mul_lo_u32 v28, s8, v2
	v_add_nc_u32_e32 v2, v0, v1
	v_mul_lo_u32 v29, s8, v7
	v_cndmask_b32_e64 v7, v12, v10, s0
	v_add3_u32 v11, v38, v27, v0
	v_add_nc_u32_e32 v10, 1, v3
	v_ashrrev_i32_e32 v35, 31, v2
	v_cndmask_b32_e32 v4, v4, v9, vcc_lo
	v_add_nc_u32_e32 v2, v0, v28
	v_xor_b32_e32 v30, v11, v38
	v_cmp_le_u32_e32 vcc_lo, s75, v7
	v_add_nc_u32_e32 v6, v0, v29
	v_add3_u32 v9, v35, v1, v0
	v_ashrrev_i32_e32 v36, 31, v2
	v_xor_b32_e32 v7, s73, v38
	v_cndmask_b32_e32 v2, v3, v10, vcc_lo
	v_mul_hi_u32 v3, v30, v19
	v_ashrrev_i32_e32 v37, 31, v6
	v_add3_u32 v6, v36, v28, v0
	v_xor_b32_e32 v31, v9, v35
	v_xor_b32_e32 v11, s73, v35
	;; [unrolled: 1-line block ×3, first 2 shown]
	v_add3_u32 v9, v37, v29, v0
	v_xor_b32_e32 v32, v6, v36
	v_mul_lo_u32 v10, v3, s68
	v_mul_hi_u32 v6, v31, v19
	v_add_nc_u32_e32 v14, 1, v3
	v_xor_b32_e32 v33, v9, v37
	v_mul_hi_u32 v13, v32, v19
	v_xor_b32_e32 v9, s73, v37
	v_xor_b32_e32 v4, v4, v5
	;; [unrolled: 1-line block ×3, first 2 shown]
	v_sub_nc_u32_e32 v10, v30, v10
	v_mul_lo_u32 v15, v6, s68
	v_mul_hi_u32 v16, v33, v19
	v_add_nc_u32_e32 v17, 1, v6
	v_mul_lo_u32 v39, v13, s68
	v_cmp_le_u32_e32 vcc_lo, s68, v10
	v_subrev_nc_u32_e32 v41, s68, v10
	v_add_nc_u32_e32 v40, 1, v13
	v_cndmask_b32_e32 v3, v3, v14, vcc_lo
	v_sub_nc_u32_e32 v14, v31, v15
	v_cndmask_b32_e32 v10, v10, v41, vcc_lo
	v_mul_lo_u32 v15, v16, s68
	v_sub_nc_u32_e32 v39, v32, v39
	v_add_nc_u32_e32 v41, 1, v3
	v_cmp_le_u32_e32 vcc_lo, s68, v14
	v_cmp_le_u32_e64 s0, s68, v10
	v_add_nc_u32_e32 v42, 1, v16
	v_cndmask_b32_e32 v6, v6, v17, vcc_lo
	v_subrev_nc_u32_e32 v17, s68, v14
	v_sub_nc_u32_e32 v15, v33, v15
	v_cndmask_b32_e64 v3, v3, v41, s0
	v_cndmask_b32_e32 v10, v14, v17, vcc_lo
	v_cmp_le_u32_e32 vcc_lo, s68, v39
	v_subrev_nc_u32_e32 v17, s68, v39
	v_add_nc_u32_e32 v14, 1, v6
	v_cmp_le_u32_e64 s0, s68, v15
	v_cmp_le_u32_e64 s1, s68, v10
	v_cndmask_b32_e32 v13, v13, v40, vcc_lo
	v_subrev_nc_u32_e32 v40, s68, v15
	v_cndmask_b32_e32 v10, v39, v17, vcc_lo
	v_cndmask_b32_e64 v16, v16, v42, s0
	v_xor_b32_e32 v3, v3, v7
	v_cndmask_b32_e64 v6, v6, v14, s1
	v_add_nc_u32_e32 v14, 1, v13
	v_cndmask_b32_e64 v15, v15, v40, s0
	v_cmp_le_u32_e32 vcc_lo, s68, v10
	v_add_nc_u32_e32 v17, 1, v16
	v_sub_nc_u32_e32 v39, v3, v7
	v_xor_b32_e32 v3, v6, v11
	v_cndmask_b32_e32 v6, v13, v14, vcc_lo
	v_cmp_le_u32_e32 vcc_lo, s68, v15
	v_mul_lo_u32 v10, v39, s33
	v_sub_nc_u32_e32 v11, v3, v11
	v_sub_nc_u32_e32 v13, v2, v8
	v_xor_b32_e32 v3, v6, v12
	v_cndmask_b32_e32 v7, v16, v17, vcc_lo
	v_sub_nc_u32_e32 v14, v3, v12
	v_xor_b32_e32 v6, v7, v9
	v_sub_nc_u32_e32 v7, v4, v5
	v_mul_lo_u32 v4, v11, s33
	v_sub_nc_u32_e32 v5, v27, v10
	v_sub_nc_u32_e32 v15, v6, v9
	v_mad_u64_u32 v[2:3], null, s86, v7, v[0:1]
	v_mul_lo_u32 v6, v14, s33
	v_mul_lo_u32 v8, v15, s33
	v_sub_nc_u32_e32 v9, v1, v4
	v_mad_u64_u32 v[3:4], null, s87, v13, v[0:1]
	v_add_nc_u32_e32 v4, v0, v5
	v_mul_lo_u32 v2, v2, s29
	v_add_nc_u32_e32 v5, v0, v9
	v_sub_nc_u32_e32 v6, v28, v6
	v_sub_nc_u32_e32 v8, v29, v8
	v_mul_lo_u32 v4, v4, s17
	v_mul_lo_u32 v3, v3, s35
	;; [unrolled: 1-line block ×3, first 2 shown]
	v_add_nc_u32_e32 v10, v0, v6
	v_add_nc_u32_e32 v12, v0, v8
	v_mad_u64_u32 v[6:7], null, v7, s28, v[2:3]
	v_mad_u64_u32 v[8:9], null, v39, s16, v[4:5]
	v_mul_lo_u32 v2, v10, s17
	v_mul_lo_u32 v4, v12, s17
	v_mad_u64_u32 v[10:11], null, v11, s16, v[5:6]
	v_ashrrev_i32_e32 v9, 31, v8
	v_ashrrev_i32_e32 v7, 31, v6
	v_mad_u64_u32 v[12:13], null, v13, s34, v[3:4]
	v_mad_u64_u32 v[2:3], null, v14, s16, v[2:3]
	;; [unrolled: 1-line block ×3, first 2 shown]
	v_ashrrev_i32_e32 v11, 31, v10
	v_lshlrev_b64 v[8:9], 3, v[8:9]
	v_ashrrev_i32_e32 v13, 31, v12
	v_lshlrev_b64 v[6:7], 3, v[6:7]
	;; [unrolled: 2-line block ×3, first 2 shown]
	v_ashrrev_i32_e32 v5, 31, v4
	v_add_co_u32 v8, vcc_lo, s14, v8
	v_lshlrev_b64 v[2:3], 3, v[2:3]
	v_add_co_ci_u32_e64 v9, null, s15, v9, vcc_lo
	v_lshlrev_b64 v[4:5], 3, v[4:5]
	v_add_co_u32 v10, vcc_lo, s14, v10
	v_add_co_ci_u32_e64 v11, null, s15, v11, vcc_lo
	v_add_co_u32 v14, vcc_lo, s14, v2
	v_add_co_ci_u32_e64 v15, null, s15, v3, vcc_lo
	v_lshlrev_b64 v[2:3], 3, v[12:13]
	v_add_co_u32 v16, vcc_lo, s14, v4
	v_add_co_ci_u32_e64 v17, null, s15, v5, vcc_lo
	v_add_co_u32 v12, vcc_lo, s22, v6
	v_add_co_ci_u32_e64 v13, null, s23, v7, vcc_lo
	;; [unrolled: 2-line block ×3, first 2 shown]
	s_clause 0x3
	global_load_dwordx2 v[2:3], v[8:9], off
	global_load_dwordx2 v[4:5], v[10:11], off
	global_load_dwordx2 v[8:9], v[14:15], off
	global_load_dwordx2 v[6:7], v[16:17], off
	global_load_dwordx2 v[10:11], v[12:13], off
	global_load_dwordx2 v[14:15], v[39:40], off
	v_mov_b32_e32 v16, 0
	v_mov_b32_e32 v12, 0
	;; [unrolled: 1-line block ×4, first 2 shown]
	s_andn2_b32 vcc_lo, exec_lo, s65
	s_cbranch_vccnz .LBB17_5
; %bb.4:                                ;   in Loop: Header=BB17_3 Depth=1
	v_mul_hi_u32 v12, v26, v24
	v_mul_lo_u32 v13, v12, s77
	v_add_nc_u32_e32 v39, 1, v12
	v_sub_nc_u32_e32 v13, v26, v13
	v_subrev_nc_u32_e32 v40, s77, v13
	v_cmp_le_u32_e32 vcc_lo, s77, v13
	v_cndmask_b32_e32 v12, v12, v39, vcc_lo
	v_cndmask_b32_e32 v13, v13, v40, vcc_lo
	v_xor_b32_e32 v40, s83, v34
	v_add_nc_u32_e32 v39, 1, v12
	v_cmp_le_u32_e32 vcc_lo, s77, v13
	v_cndmask_b32_e32 v12, v12, v39, vcc_lo
	v_xor_b32_e32 v12, v12, v40
	v_sub_nc_u32_e32 v39, v12, v40
	v_mad_u64_u32 v[12:13], null, s89, v39, v[0:1]
	v_mul_lo_u32 v12, v12, s13
	v_mad_u64_u32 v[12:13], null, v39, s12, v[12:13]
	v_ashrrev_i32_e32 v13, 31, v12
	v_lshlrev_b64 v[12:13], 3, v[12:13]
	v_add_co_u32 v12, vcc_lo, s6, v12
	v_add_co_ci_u32_e64 v13, null, s7, v13, vcc_lo
	global_load_dwordx2 v[12:13], v[12:13], off
.LBB17_5:                               ;   in Loop: Header=BB17_3 Depth=1
	s_andn2_b32 vcc_lo, exec_lo, s66
	s_cbranch_vccnz .LBB17_2
; %bb.6:                                ;   in Loop: Header=BB17_3 Depth=1
	v_mul_hi_u32 v16, v26, v25
	v_mul_lo_u32 v17, v16, s78
	v_add_nc_u32_e32 v39, 1, v16
	v_sub_nc_u32_e32 v17, v26, v17
	v_subrev_nc_u32_e32 v40, s78, v17
	v_cmp_le_u32_e32 vcc_lo, s78, v17
	v_cndmask_b32_e32 v16, v16, v39, vcc_lo
	v_cndmask_b32_e32 v17, v17, v40, vcc_lo
	v_xor_b32_e32 v40, s84, v34
	v_add_nc_u32_e32 v39, 1, v16
	v_cmp_le_u32_e32 vcc_lo, s78, v17
	v_cndmask_b32_e32 v16, v16, v39, vcc_lo
	v_xor_b32_e32 v16, v16, v40
	v_sub_nc_u32_e32 v39, v16, v40
	v_mad_u64_u32 v[16:17], null, s90, v39, v[0:1]
	v_mul_lo_u32 v16, v16, s25
	v_mad_u64_u32 v[16:17], null, v39, s24, v[16:17]
	v_ashrrev_i32_e32 v17, 31, v16
	v_lshlrev_b64 v[16:17], 3, v[16:17]
	v_add_co_u32 v16, vcc_lo, s10, v16
	v_add_co_ci_u32_e64 v17, null, s11, v17, vcc_lo
	global_load_dwordx2 v[16:17], v[16:17], off
	s_branch .LBB17_2
.LBB17_7:
	s_endpgm
	.section	.rodata,"a",@progbits
	.p2align	6, 0x0
	.amdhsa_kernel _ZN2at6native12_GLOBAL__N_16kernel18lstm_cell_backwardIddiLi2EEEvNS_4cuda6detail10TensorInfoIT_T1_EES9_S9_S9_S9_S9_S9_S8_S8_
		.amdhsa_group_segment_fixed_size 0
		.amdhsa_private_segment_fixed_size 0
		.amdhsa_kernarg_size 1776
		.amdhsa_user_sgpr_count 6
		.amdhsa_user_sgpr_private_segment_buffer 1
		.amdhsa_user_sgpr_dispatch_ptr 0
		.amdhsa_user_sgpr_queue_ptr 0
		.amdhsa_user_sgpr_kernarg_segment_ptr 1
		.amdhsa_user_sgpr_dispatch_id 0
		.amdhsa_user_sgpr_flat_scratch_init 0
		.amdhsa_user_sgpr_private_segment_size 0
		.amdhsa_wavefront_size32 1
		.amdhsa_uses_dynamic_stack 0
		.amdhsa_system_sgpr_private_segment_wavefront_offset 0
		.amdhsa_system_sgpr_workgroup_id_x 1
		.amdhsa_system_sgpr_workgroup_id_y 0
		.amdhsa_system_sgpr_workgroup_id_z 0
		.amdhsa_system_sgpr_workgroup_info 0
		.amdhsa_system_vgpr_workitem_id 0
		.amdhsa_next_free_vgpr 64
		.amdhsa_next_free_sgpr 91
		.amdhsa_reserve_vcc 1
		.amdhsa_reserve_flat_scratch 0
		.amdhsa_float_round_mode_32 0
		.amdhsa_float_round_mode_16_64 0
		.amdhsa_float_denorm_mode_32 3
		.amdhsa_float_denorm_mode_16_64 3
		.amdhsa_dx10_clamp 1
		.amdhsa_ieee_mode 1
		.amdhsa_fp16_overflow 0
		.amdhsa_workgroup_processor_mode 1
		.amdhsa_memory_ordered 1
		.amdhsa_forward_progress 1
		.amdhsa_shared_vgpr_count 0
		.amdhsa_exception_fp_ieee_invalid_op 0
		.amdhsa_exception_fp_denorm_src 0
		.amdhsa_exception_fp_ieee_div_zero 0
		.amdhsa_exception_fp_ieee_overflow 0
		.amdhsa_exception_fp_ieee_underflow 0
		.amdhsa_exception_fp_ieee_inexact 0
		.amdhsa_exception_int_div_zero 0
	.end_amdhsa_kernel
	.section	.text._ZN2at6native12_GLOBAL__N_16kernel18lstm_cell_backwardIddiLi2EEEvNS_4cuda6detail10TensorInfoIT_T1_EES9_S9_S9_S9_S9_S9_S8_S8_,"axG",@progbits,_ZN2at6native12_GLOBAL__N_16kernel18lstm_cell_backwardIddiLi2EEEvNS_4cuda6detail10TensorInfoIT_T1_EES9_S9_S9_S9_S9_S9_S8_S8_,comdat
.Lfunc_end17:
	.size	_ZN2at6native12_GLOBAL__N_16kernel18lstm_cell_backwardIddiLi2EEEvNS_4cuda6detail10TensorInfoIT_T1_EES9_S9_S9_S9_S9_S9_S8_S8_, .Lfunc_end17-_ZN2at6native12_GLOBAL__N_16kernel18lstm_cell_backwardIddiLi2EEEvNS_4cuda6detail10TensorInfoIT_T1_EES9_S9_S9_S9_S9_S9_S8_S8_
                                        ; -- End function
	.set _ZN2at6native12_GLOBAL__N_16kernel18lstm_cell_backwardIddiLi2EEEvNS_4cuda6detail10TensorInfoIT_T1_EES9_S9_S9_S9_S9_S9_S8_S8_.num_vgpr, 64
	.set _ZN2at6native12_GLOBAL__N_16kernel18lstm_cell_backwardIddiLi2EEEvNS_4cuda6detail10TensorInfoIT_T1_EES9_S9_S9_S9_S9_S9_S8_S8_.num_agpr, 0
	.set _ZN2at6native12_GLOBAL__N_16kernel18lstm_cell_backwardIddiLi2EEEvNS_4cuda6detail10TensorInfoIT_T1_EES9_S9_S9_S9_S9_S9_S8_S8_.numbered_sgpr, 91
	.set _ZN2at6native12_GLOBAL__N_16kernel18lstm_cell_backwardIddiLi2EEEvNS_4cuda6detail10TensorInfoIT_T1_EES9_S9_S9_S9_S9_S9_S8_S8_.num_named_barrier, 0
	.set _ZN2at6native12_GLOBAL__N_16kernel18lstm_cell_backwardIddiLi2EEEvNS_4cuda6detail10TensorInfoIT_T1_EES9_S9_S9_S9_S9_S9_S8_S8_.private_seg_size, 0
	.set _ZN2at6native12_GLOBAL__N_16kernel18lstm_cell_backwardIddiLi2EEEvNS_4cuda6detail10TensorInfoIT_T1_EES9_S9_S9_S9_S9_S9_S8_S8_.uses_vcc, 1
	.set _ZN2at6native12_GLOBAL__N_16kernel18lstm_cell_backwardIddiLi2EEEvNS_4cuda6detail10TensorInfoIT_T1_EES9_S9_S9_S9_S9_S9_S8_S8_.uses_flat_scratch, 0
	.set _ZN2at6native12_GLOBAL__N_16kernel18lstm_cell_backwardIddiLi2EEEvNS_4cuda6detail10TensorInfoIT_T1_EES9_S9_S9_S9_S9_S9_S8_S8_.has_dyn_sized_stack, 0
	.set _ZN2at6native12_GLOBAL__N_16kernel18lstm_cell_backwardIddiLi2EEEvNS_4cuda6detail10TensorInfoIT_T1_EES9_S9_S9_S9_S9_S9_S8_S8_.has_recursion, 0
	.set _ZN2at6native12_GLOBAL__N_16kernel18lstm_cell_backwardIddiLi2EEEvNS_4cuda6detail10TensorInfoIT_T1_EES9_S9_S9_S9_S9_S9_S8_S8_.has_indirect_call, 0
	.section	.AMDGPU.csdata,"",@progbits
; Kernel info:
; codeLenInByte = 4292
; TotalNumSgprs: 93
; NumVgprs: 64
; ScratchSize: 0
; MemoryBound: 0
; FloatMode: 240
; IeeeMode: 1
; LDSByteSize: 0 bytes/workgroup (compile time only)
; SGPRBlocks: 0
; VGPRBlocks: 7
; NumSGPRsForWavesPerEU: 93
; NumVGPRsForWavesPerEU: 64
; Occupancy: 16
; WaveLimiterHint : 1
; COMPUTE_PGM_RSRC2:SCRATCH_EN: 0
; COMPUTE_PGM_RSRC2:USER_SGPR: 6
; COMPUTE_PGM_RSRC2:TRAP_HANDLER: 0
; COMPUTE_PGM_RSRC2:TGID_X_EN: 1
; COMPUTE_PGM_RSRC2:TGID_Y_EN: 0
; COMPUTE_PGM_RSRC2:TGID_Z_EN: 0
; COMPUTE_PGM_RSRC2:TIDIG_COMP_CNT: 0
	.section	.text._ZN2at6native12_GLOBAL__N_16kernel18lstm_cell_backwardIddlLi1EEEvNS_4cuda6detail10TensorInfoIT_T1_EES9_S9_S9_S9_S9_S9_S8_S8_,"axG",@progbits,_ZN2at6native12_GLOBAL__N_16kernel18lstm_cell_backwardIddlLi1EEEvNS_4cuda6detail10TensorInfoIT_T1_EES9_S9_S9_S9_S9_S9_S8_S8_,comdat
	.globl	_ZN2at6native12_GLOBAL__N_16kernel18lstm_cell_backwardIddlLi1EEEvNS_4cuda6detail10TensorInfoIT_T1_EES9_S9_S9_S9_S9_S9_S8_S8_ ; -- Begin function _ZN2at6native12_GLOBAL__N_16kernel18lstm_cell_backwardIddlLi1EEEvNS_4cuda6detail10TensorInfoIT_T1_EES9_S9_S9_S9_S9_S9_S8_S8_
	.p2align	8
	.type	_ZN2at6native12_GLOBAL__N_16kernel18lstm_cell_backwardIddlLi1EEEvNS_4cuda6detail10TensorInfoIT_T1_EES9_S9_S9_S9_S9_S9_S8_S8_,@function
_ZN2at6native12_GLOBAL__N_16kernel18lstm_cell_backwardIddlLi1EEEvNS_4cuda6detail10TensorInfoIT_T1_EES9_S9_S9_S9_S9_S9_S8_S8_: ; @_ZN2at6native12_GLOBAL__N_16kernel18lstm_cell_backwardIddlLi1EEEvNS_4cuda6detail10TensorInfoIT_T1_EES9_S9_S9_S9_S9_S9_S8_S8_
; %bb.0:
	s_clause 0x1
	s_load_dword s0, s[4:5], 0xb7c
	s_load_dwordx4 s[8:11], s[4:5], 0xb60
	v_mov_b32_e32 v1, 0
	s_add_u32 s2, s4, 0xb70
	s_addc_u32 s3, s5, 0
	s_waitcnt lgkmcnt(0)
	s_and_b32 s16, s0, 0xffff
	s_mov_b32 s0, exec_lo
	v_mad_u64_u32 v[3:4], null, s6, s16, v[0:1]
	v_mov_b32_e32 v4, v1
	v_cmpx_gt_i64_e64 s[10:11], v[3:4]
	s_cbranch_execz .LBB18_11
; %bb.1:
	s_clause 0x2
	s_load_dwordx2 s[28:29], s[4:5], 0x410
	s_load_dwordx2 s[20:21], s[4:5], 0x680
	;; [unrolled: 1-line block ×3, first 2 shown]
	s_load_dword s17, s[2:3], 0x0
	s_clause 0xa
	s_load_dwordx2 s[30:31], s[4:5], 0x340
	s_load_dwordx2 s[34:35], s[4:5], 0x4e0
	;; [unrolled: 1-line block ×11, first 2 shown]
	s_mul_i32 s4, s9, 3
	s_mul_hi_u32 s5, s8, 3
	s_mov_b32 s38, 0x6a5dcb37
	s_mov_b32 s40, 0x623fde64
	;; [unrolled: 1-line block ×3, first 2 shown]
	s_waitcnt lgkmcnt(0)
	v_mul_lo_u32 v0, 0, s28
	v_mul_lo_u32 v2, v3, s29
	v_mad_u64_u32 v[5:6], null, v3, s28, 0
	s_cmp_lg_u64 s[20:21], 0
	s_mul_i32 s58, s17, s16
	v_mul_lo_u32 v9, 0, s36
	v_mad_u64_u32 v[7:8], null, v3, s36, 0
	s_cselect_b32 s59, -1, 0
	v_add3_u32 v6, v6, v2, v0
	v_mul_lo_u32 v0, v3, s37
	v_mad_u64_u32 v[11:12], null, v3, s24, 0
	v_mul_lo_u32 v2, v3, s19
	v_mad_u64_u32 v[13:14], null, v3, s22, 0
	v_lshlrev_b64 v[5:6], 3, v[5:6]
	s_cmp_lg_u64 s[0:1], 0
	v_add3_u32 v8, v8, v0, v9
	v_mul_lo_u32 v0, 0, s18
	v_mad_u64_u32 v[9:10], null, v3, s18, 0
	v_add_co_u32 v5, vcc_lo, s30, v5
	v_lshlrev_b64 v[7:8], 3, v[7:8]
	v_add_co_ci_u32_e64 v6, null, s31, v6, vcc_lo
	s_cselect_b32 s60, -1, 0
	v_add3_u32 v10, v10, v2, v0
	v_mul_lo_u32 v0, 0, s24
	v_mul_lo_u32 v2, v3, s25
	v_add_co_u32 v7, vcc_lo, s34, v7
	v_lshlrev_b64 v[9:10], 3, v[9:10]
	v_add_co_ci_u32_e64 v8, null, s35, v8, vcc_lo
	s_add_i32 s61, s5, s4
	s_mul_i32 s4, s58, s29
	v_add3_u32 v12, v12, v2, v0
	v_mul_lo_u32 v0, 0, s22
	v_mul_lo_u32 v2, v3, s23
	v_add_co_u32 v9, vcc_lo, s26, v9
	v_lshlrev_b64 v[11:12], 3, v[11:12]
	v_add_co_ci_u32_e64 v10, null, s27, v10, vcc_lo
	s_mul_hi_u32 s5, s58, s28
	s_mul_i32 s16, s58, s37
	v_add3_u32 v14, v14, v2, v0
	v_add_co_u32 v11, vcc_lo, s20, v11
	v_add_co_ci_u32_e64 v12, null, s21, v12, vcc_lo
	v_lshlrev_b64 v[13:14], 3, v[13:14]
	s_add_i32 s5, s5, s4
	s_mul_i32 s4, s58, s28
	s_mul_hi_u32 s17, s58, s36
	s_mul_i32 s19, s58, s19
	s_mul_hi_u32 s28, s58, s18
	v_add_co_u32 v13, vcc_lo, s0, v13
	s_mul_i32 s25, s58, s25
	s_mul_hi_u32 s26, s58, s24
	s_mul_i32 s20, s58, s24
	s_mul_i32 s23, s58, s23
	s_mul_hi_u32 s24, s58, s22
	v_add_co_ci_u32_e64 v14, null, s1, v14, vcc_lo
	s_add_i32 s17, s17, s16
	s_mul_i32 s16, s58, s36
	s_add_i32 s19, s28, s19
	s_mul_i32 s18, s58, s18
	s_add_i32 s21, s26, s25
	s_add_i32 s23, s24, s23
	s_mul_i32 s22, s58, s22
	s_mov_b32 s26, 0x652b82fe
	s_mov_b32 s28, 0xfefa3000
	;; [unrolled: 1-line block ×12, first 2 shown]
	s_mul_i32 s62, s8, 3
	s_lshl_b64 s[4:5], s[4:5], 3
	s_lshl_b64 s[16:17], s[16:17], 3
	;; [unrolled: 1-line block ×5, first 2 shown]
	s_ashr_i32 s24, s9, 31
	s_mov_b32 s27, 0x3ff71547
	s_mov_b32 s29, 0xbfe62e42
	s_mov_b32 s31, 0xbd53de6a
	s_mov_b32 s35, 0xbac9cc01
	s_mov_b32 s37, 0x3e928af3
	s_mov_b32 s39, 0x3e5ade15
	s_mov_b32 s41, 0x3ec71dee
	s_mov_b32 s43, 0x3efa0199
	s_mov_b32 s45, 0x3f2a01a0
	s_mov_b32 s47, 0x3f56c16c
	s_mov_b32 s49, 0x3f811111
	s_mov_b32 s51, 0x3fa55555
	s_mov_b32 s53, 0x3fc55555
	s_mov_b32 s55, 0x3fe00000
	s_branch .LBB18_3
.LBB18_2:                               ;   in Loop: Header=BB18_3 Depth=1
	s_waitcnt vmcnt(0)
	v_mul_f64 v[37:38], |v[34:35]|, s[26:27]
	v_cmp_nlt_f64_e64 vcc_lo, 0x40331000, |v[34:35]|
	v_mul_lo_u32 v0, v0, s14
	v_mul_lo_u32 v2, v2, s14
	v_mul_lo_u32 v36, v36, s14
	v_rndne_f64_e32 v[37:38], v[37:38]
	v_fma_f64 v[39:40], v[37:38], s[28:29], |v[34:35]|
	v_mul_f64 v[41:42], v[37:38], s[30:31]
	v_add_f64 v[43:44], v[39:40], 0
	v_add_f64 v[45:46], v[43:44], v[41:42]
	v_add_f64 v[39:40], v[39:40], -v[43:44]
	v_add_f64 v[43:44], v[43:44], -v[45:46]
	v_add_f64 v[39:40], v[39:40], 0
	v_add_f64 v[41:42], v[43:44], v[41:42]
	;; [unrolled: 1-line block ×3, first 2 shown]
	v_mul_f64 v[41:42], v[37:38], s[34:35]
	v_add_f64 v[43:44], v[45:46], v[39:40]
	v_add_f64 v[47:48], v[43:44], v[41:42]
	v_add_f64 v[45:46], v[45:46], -v[43:44]
	v_add_f64 v[43:44], v[43:44], -v[47:48]
	v_add_f64 v[39:40], v[39:40], v[45:46]
	v_add_f64 v[41:42], v[43:44], v[41:42]
	;; [unrolled: 1-line block ×4, first 2 shown]
	v_fma_f64 v[43:44], v[41:42], s[38:39], s[36:37]
	v_add_f64 v[45:46], v[47:48], -v[41:42]
	v_mul_f64 v[47:48], v[41:42], v[41:42]
	v_fma_f64 v[43:44], v[41:42], v[43:44], s[40:41]
	v_add_f64 v[39:40], v[39:40], v[45:46]
	v_fma_f64 v[45:46], v[41:42], v[41:42], -v[47:48]
	v_fma_f64 v[43:44], v[41:42], v[43:44], s[42:43]
	v_add_f64 v[49:50], v[39:40], v[39:40]
	v_fma_f64 v[43:44], v[41:42], v[43:44], s[44:45]
	v_fma_f64 v[45:46], v[41:42], v[49:50], v[45:46]
	;; [unrolled: 1-line block ×3, first 2 shown]
	v_add_f64 v[49:50], v[47:48], v[45:46]
	v_fma_f64 v[43:44], v[41:42], v[43:44], s[48:49]
	v_add_f64 v[47:48], v[49:50], -v[47:48]
	v_fma_f64 v[43:44], v[41:42], v[43:44], s[50:51]
	v_add_f64 v[45:46], v[45:46], -v[47:48]
	v_fma_f64 v[43:44], v[41:42], v[43:44], s[52:53]
	v_fma_f64 v[43:44], v[41:42], v[43:44], s[54:55]
	v_mul_f64 v[51:52], v[49:50], v[43:44]
	v_fma_f64 v[47:48], v[49:50], v[43:44], -v[51:52]
	v_fma_f64 v[43:44], v[45:46], v[43:44], v[47:48]
	v_add_f64 v[45:46], v[51:52], v[43:44]
	v_add_f64 v[47:48], v[41:42], v[45:46]
	v_add_f64 v[49:50], v[45:46], -v[51:52]
	v_add_f64 v[41:42], v[47:48], -v[41:42]
	;; [unrolled: 1-line block ×3, first 2 shown]
	v_cvt_i32_f64_e32 v49, v[37:38]
	v_add_f64 v[41:42], v[45:46], -v[41:42]
	v_add_f64 v[39:40], v[39:40], v[43:44]
	v_add_f64 v[39:40], v[39:40], v[41:42]
	;; [unrolled: 1-line block ×3, first 2 shown]
	v_add_f64 v[43:44], v[41:42], 1.0
	v_add_f64 v[45:46], v[41:42], -v[47:48]
	v_add_f64 v[47:48], v[43:44], -1.0
	v_add_f64 v[39:40], v[39:40], -v[45:46]
	v_add_f64 v[41:42], v[41:42], -v[47:48]
	v_add_f64 v[39:40], v[39:40], v[41:42]
	v_add_f64 v[37:38], v[43:44], v[39:40]
	v_ldexp_f64 v[41:42], v[37:38], v49
	v_add_f64 v[37:38], v[37:38], -v[43:44]
	v_rcp_f64_e32 v[45:46], v[41:42]
	v_add_f64 v[37:38], v[39:40], -v[37:38]
	v_ldexp_f64 v[37:38], v[37:38], v49
	v_fma_f64 v[47:48], -v[41:42], v[45:46], 1.0
	v_fma_f64 v[45:46], v[47:48], v[45:46], v[45:46]
	v_fma_f64 v[47:48], -v[41:42], v[45:46], 1.0
	v_fma_f64 v[43:44], v[47:48], v[45:46], v[45:46]
	v_mul_f64 v[39:40], v[41:42], v[43:44]
	v_fma_f64 v[45:46], v[43:44], v[41:42], -v[39:40]
	v_fma_f64 v[45:46], v[43:44], v[37:38], v[45:46]
	v_add_f64 v[47:48], v[39:40], v[45:46]
	v_add_f64 v[49:50], -v[47:48], 1.0
	v_add_f64 v[39:40], v[47:48], -v[39:40]
	v_add_f64 v[51:52], -v[49:50], 1.0
	v_add_f64 v[39:40], v[39:40], -v[45:46]
	v_add_f64 v[45:46], v[51:52], -v[47:48]
	v_add_f64 v[39:40], v[39:40], v[45:46]
	v_add_f64 v[45:46], v[49:50], v[39:40]
	v_mul_f64 v[47:48], v[43:44], v[45:46]
	v_add_f64 v[49:50], v[49:50], -v[45:46]
	v_mul_f64 v[51:52], v[41:42], v[47:48]
	v_add_f64 v[39:40], v[39:40], v[49:50]
	v_fma_f64 v[53:54], v[47:48], v[41:42], -v[51:52]
	v_fma_f64 v[53:54], v[47:48], v[37:38], v[53:54]
	v_add_f64 v[55:56], v[51:52], v[53:54]
	v_add_f64 v[49:50], v[45:46], -v[55:56]
	v_add_f64 v[51:52], v[55:56], -v[51:52]
	;; [unrolled: 1-line block ×5, first 2 shown]
	v_add_f64 v[39:40], v[39:40], v[45:46]
	v_add_f64 v[45:46], v[43:44], v[47:48]
	;; [unrolled: 1-line block ×3, first 2 shown]
	v_add_f64 v[51:52], v[45:46], -v[43:44]
	v_add_f64 v[39:40], v[49:50], v[39:40]
	v_add_f64 v[47:48], v[47:48], -v[51:52]
	v_mul_f64 v[39:40], v[43:44], v[39:40]
	v_add_f64 v[39:40], v[47:48], v[39:40]
	v_add_f64 v[43:44], v[45:46], v[39:40]
	;; [unrolled: 1-line block ×3, first 2 shown]
	v_add_f64 v[45:46], v[43:44], -v[45:46]
	v_add_f64 v[51:52], v[41:42], -v[43:44]
	;; [unrolled: 1-line block ×6, first 2 shown]
	v_add_f64 v[49:50], v[37:38], v[39:40]
	v_add_f64 v[41:42], v[41:42], -v[43:44]
	v_add_f64 v[45:46], v[49:50], v[45:46]
	v_add_f64 v[37:38], v[37:38], v[41:42]
	;; [unrolled: 1-line block ×3, first 2 shown]
	v_add_f64 v[37:38], v[37:38], -v[39:40]
	v_rcp_f64_e32 v[53:54], v[49:50]
	v_add_f64 v[47:48], v[49:50], -v[47:48]
	v_add_f64 v[45:46], v[45:46], -v[47:48]
	v_fma_f64 v[43:44], -v[49:50], v[53:54], 1.0
	v_fma_f64 v[41:42], v[43:44], v[53:54], v[53:54]
	v_add_f64 v[43:44], v[51:52], v[37:38]
	v_fma_f64 v[39:40], -v[49:50], v[41:42], 1.0
	v_fma_f64 v[39:40], v[39:40], v[41:42], v[41:42]
	v_mul_f64 v[41:42], v[43:44], v[39:40]
	v_mul_f64 v[53:54], v[49:50], v[41:42]
	v_fma_f64 v[47:48], v[41:42], v[49:50], -v[53:54]
	v_fma_f64 v[45:46], v[41:42], v[45:46], v[47:48]
	v_add_f64 v[47:48], v[53:54], v[45:46]
	v_add_f64 v[49:50], v[43:44], -v[47:48]
	v_add_f64 v[53:54], v[47:48], -v[53:54]
	;; [unrolled: 1-line block ×5, first 2 shown]
	v_mul_lo_u32 v51, v25, s15
	v_add_f64 v[47:48], v[55:56], -v[47:48]
	v_add_f64 v[37:38], v[37:38], -v[43:44]
	;; [unrolled: 1-line block ×3, first 2 shown]
	v_mad_u64_u32 v[45:46], null, v25, s14, 0
	v_mul_lo_u32 v47, v15, s15
	v_mul_lo_u32 v48, v16, s15
	v_add3_u32 v46, v46, v51, v36
	v_add_f64 v[37:38], v[37:38], v[43:44]
	v_mad_u64_u32 v[43:44], null, v15, s14, 0
	v_mad_u64_u32 v[15:16], null, v16, s14, 0
	v_add3_u32 v44, v44, v47, v0
	v_add3_u32 v16, v16, v48, v2
	v_lshlrev_b64 v[15:16], 3, v[15:16]
	v_add_f64 v[37:38], v[49:50], v[37:38]
	v_mul_lo_u32 v49, v24, s14
	v_mul_lo_u32 v50, v23, s15
	v_mad_u64_u32 v[23:24], null, v23, s14, 0
	v_add3_u32 v24, v24, v50, v49
	v_lshlrev_b64 v[23:24], 3, v[23:24]
	v_mul_f64 v[37:38], v[39:40], v[37:38]
	v_and_b32_e32 v39, 0x7fffffff, v35
	v_add_f64 v[37:38], v[41:42], v[37:38]
	v_add_f64 v[41:42], -v[21:22], 1.0
	v_cndmask_b32_e32 v38, 0x3ff00000, v38, vcc_lo
	v_cndmask_b32_e32 v37, 0, v37, vcc_lo
	v_cmp_gt_f64_e64 vcc_lo, 0x3e400000, |v[34:35]|
	v_cndmask_b32_e32 v34, v37, v34, vcc_lo
	v_cndmask_b32_e32 v37, v38, v39, vcc_lo
	v_add_co_u32 v3, vcc_lo, v3, s58
	v_add_co_ci_u32_e64 v4, null, 0, v4, vcc_lo
	v_bfi_b32 v35, 0x7fffffff, v37, v35
	v_mul_f64 v[37:38], v[21:22], v[30:31]
	v_add_co_u32 v5, vcc_lo, v5, s4
	v_add_co_ci_u32_e64 v6, null, s5, v6, vcc_lo
	v_fma_f64 v[39:40], -v[34:35], v[34:35], 1.0
	v_mul_f64 v[30:31], v[34:35], v[30:31]
	v_add_co_u32 v7, vcc_lo, v7, s16
	v_add_co_ci_u32_e64 v8, null, s17, v8, vcc_lo
	v_add_co_u32 v11, vcc_lo, v11, s20
	v_add_co_ci_u32_e64 v12, null, s21, v12, vcc_lo
	v_fma_f64 v[32:33], v[39:40], v[37:38], v[32:33]
	v_add_f64 v[37:38], -v[19:20], 1.0
	v_add_f64 v[39:40], -v[17:18], 1.0
	v_mul_f64 v[30:31], v[41:42], v[30:31]
	v_mul_f64 v[34:35], v[26:27], v[32:33]
	;; [unrolled: 1-line block ×3, first 2 shown]
	v_fma_f64 v[25:26], -v[26:27], v[26:27], 1.0
	v_mul_f64 v[41:42], v[19:20], v[32:33]
	v_mul_f64 v[21:22], v[21:22], v[30:31]
	;; [unrolled: 1-line block ×4, first 2 shown]
	v_lshlrev_b64 v[36:37], 3, v[43:44]
	v_mul_f64 v[25:26], v[25:26], v[41:42]
	v_lshlrev_b64 v[38:39], 3, v[45:46]
	v_add_co_u32 v29, vcc_lo, s12, v36
	v_add_co_ci_u32_e64 v30, null, s13, v37, vcc_lo
	v_add_co_u32 v15, vcc_lo, s12, v15
	v_add_co_ci_u32_e64 v16, null, s13, v16, vcc_lo
	;; [unrolled: 2-line block ×3, first 2 shown]
	v_add_co_u32 v31, vcc_lo, s12, v38
	v_mul_f64 v[19:20], v[19:20], v[34:35]
	v_mul_f64 v[27:28], v[17:18], v[27:28]
	;; [unrolled: 1-line block ×3, first 2 shown]
	v_add_co_ci_u32_e64 v32, null, s13, v39, vcc_lo
	v_cmp_le_i64_e32 vcc_lo, s[10:11], v[3:4]
	global_store_dwordx2 v[29:30], v[19:20], off
	global_store_dwordx2 v[15:16], v[27:28], off
	;; [unrolled: 1-line block ×5, first 2 shown]
	v_add_co_u32 v9, s0, v9, s18
	v_add_co_ci_u32_e64 v10, null, s19, v10, s0
	v_add_co_u32 v13, s0, v13, s22
	v_add_co_ci_u32_e64 v14, null, s23, v14, s0
	s_or_b32 s33, vcc_lo, s33
	s_andn2_b32 exec_lo, exec_lo, s33
	s_cbranch_execz .LBB18_11
.LBB18_3:                               ; =>This Inner Loop Header: Depth=1
	v_or_b32_e32 v2, s9, v4
                                        ; implicit-def: $vgpr17_vgpr18
	s_mov_b32 s0, exec_lo
	v_cmpx_ne_u64_e32 0, v[1:2]
	s_xor_b32 s1, exec_lo, s0
	s_cbranch_execz .LBB18_5
; %bb.4:                                ;   in Loop: Header=BB18_3 Depth=1
	s_add_u32 s56, s8, s24
	s_mov_b32 s25, s24
	s_addc_u32 s57, s9, s24
	v_ashrrev_i32_e32 v21, 31, v4
	s_xor_b64 s[56:57], s[56:57], s[24:25]
	v_cvt_f32_u32_e32 v0, s56
	v_cvt_f32_u32_e32 v2, s57
	s_sub_u32 s0, 0, s56
	s_subb_u32 s64, 0, s57
	v_add_co_u32 v15, vcc_lo, v3, v21
	v_fmac_f32_e32 v0, 0x4f800000, v2
	v_rcp_f32_e32 v0, v0
	v_mul_f32_e32 v0, 0x5f7ffffc, v0
	v_mul_f32_e32 v2, 0x2f800000, v0
	v_trunc_f32_e32 v2, v2
	v_fmac_f32_e32 v0, 0xcf800000, v2
	v_cvt_u32_f32_e32 v2, v2
	v_cvt_u32_f32_e32 v0, v0
	v_readfirstlane_b32 s25, v2
	v_xor_b32_e32 v2, v15, v21
	v_readfirstlane_b32 s63, v0
	s_mul_i32 s65, s0, s25
	v_add_co_ci_u32_e64 v0, null, v4, v21, vcc_lo
	s_mul_hi_u32 s67, s0, s63
	s_mul_i32 s66, s64, s63
	s_add_i32 s65, s67, s65
	s_mul_i32 s68, s0, s63
	s_add_i32 s65, s65, s66
	s_mul_hi_u32 s67, s63, s68
	s_mul_i32 s70, s63, s65
	s_mul_hi_u32 s69, s25, s68
	s_mul_i32 s66, s25, s68
	s_mul_hi_u32 s68, s63, s65
	s_add_u32 s67, s67, s70
	s_addc_u32 s68, 0, s68
	s_mul_hi_u32 s71, s25, s65
	s_add_u32 s66, s67, s66
	s_mul_i32 s65, s25, s65
	s_addc_u32 s66, s68, s69
	s_addc_u32 s67, s71, 0
	s_add_u32 s65, s66, s65
	s_addc_u32 s66, 0, s67
	s_add_u32 s63, s63, s65
	s_cselect_b32 s65, -1, 0
	s_mul_hi_u32 s67, s0, s63
	s_cmp_lg_u32 s65, 0
	s_mul_i32 s65, s0, s63
	s_addc_u32 s25, s25, s66
	s_mul_i32 s64, s64, s63
	s_mul_i32 s0, s0, s25
	s_mul_hi_u32 s66, s63, s65
	s_add_i32 s0, s67, s0
	s_mul_hi_u32 s67, s25, s65
	s_add_i32 s0, s0, s64
	s_mul_i32 s64, s25, s65
	s_mul_i32 s69, s63, s0
	s_mul_hi_u32 s68, s63, s0
	s_add_u32 s66, s66, s69
	s_addc_u32 s68, 0, s68
	s_mul_hi_u32 s65, s25, s0
	s_add_u32 s64, s66, s64
	s_mul_i32 s0, s25, s0
	s_addc_u32 s64, s68, s67
	s_addc_u32 s65, s65, 0
	s_add_u32 s0, s64, s0
	s_addc_u32 s64, 0, s65
	s_add_u32 s0, s63, s0
	s_cselect_b32 s63, -1, 0
	v_xor_b32_e32 v0, v0, v21
	s_cmp_lg_u32 s63, 0
	v_mul_hi_u32 v22, v2, s0
	s_addc_u32 s25, s25, s64
	v_mad_u64_u32 v[15:16], null, v2, s25, 0
	v_mad_u64_u32 v[17:18], null, v0, s0, 0
	;; [unrolled: 1-line block ×3, first 2 shown]
	v_add_co_u32 v15, vcc_lo, v22, v15
	v_add_co_ci_u32_e64 v16, null, 0, v16, vcc_lo
	v_add_co_u32 v15, vcc_lo, v15, v17
	v_add_co_ci_u32_e32 v15, vcc_lo, v16, v18, vcc_lo
	v_add_co_ci_u32_e32 v16, vcc_lo, 0, v20, vcc_lo
	v_add_co_u32 v17, vcc_lo, v15, v19
	v_add_co_ci_u32_e64 v18, null, 0, v16, vcc_lo
	v_mul_lo_u32 v19, s57, v17
	v_mad_u64_u32 v[15:16], null, s56, v17, 0
	v_mul_lo_u32 v20, s56, v18
	v_sub_co_u32 v2, vcc_lo, v2, v15
	v_add3_u32 v16, v16, v20, v19
	v_sub_nc_u32_e32 v19, v0, v16
	v_sub_co_ci_u32_e64 v0, null, v0, v16, vcc_lo
	v_subrev_co_ci_u32_e64 v15, null, s57, v19, vcc_lo
	v_add_co_u32 v19, s0, v17, 2
	v_add_co_ci_u32_e64 v20, null, 0, v18, s0
	v_sub_co_u32 v22, s0, v2, s56
	v_subrev_co_ci_u32_e64 v15, null, 0, v15, s0
	v_cmp_le_u32_e32 vcc_lo, s56, v22
	v_cndmask_b32_e64 v16, 0, -1, vcc_lo
	v_cmp_le_u32_e32 vcc_lo, s57, v15
	v_cndmask_b32_e64 v22, 0, -1, vcc_lo
	;; [unrolled: 2-line block ×4, first 2 shown]
	v_cmp_eq_u32_e32 vcc_lo, s57, v15
	v_cndmask_b32_e32 v15, v22, v16, vcc_lo
	v_add_co_u32 v16, vcc_lo, v17, 1
	v_add_co_ci_u32_e64 v22, null, 0, v18, vcc_lo
	v_cmp_eq_u32_e32 vcc_lo, s57, v0
	v_cndmask_b32_e32 v0, v23, v2, vcc_lo
	v_cmp_ne_u32_e32 vcc_lo, 0, v15
	v_xor_b32_e32 v15, s24, v21
	v_cmp_ne_u32_e64 s0, 0, v0
	v_cndmask_b32_e32 v0, v16, v19, vcc_lo
	v_cndmask_b32_e32 v2, v22, v20, vcc_lo
	v_cndmask_b32_e64 v0, v17, v0, s0
	v_cndmask_b32_e64 v2, v18, v2, s0
	v_xor_b32_e32 v0, v0, v15
	v_xor_b32_e32 v2, v2, v15
	v_sub_co_u32 v17, vcc_lo, v0, v15
	v_sub_co_ci_u32_e64 v18, null, v2, v15, vcc_lo
.LBB18_5:                               ;   in Loop: Header=BB18_3 Depth=1
	s_andn2_saveexec_b32 s0, s1
	s_cbranch_execz .LBB18_7
; %bb.6:                                ;   in Loop: Header=BB18_3 Depth=1
	v_cvt_f32_u32_e32 v0, s8
	s_sub_i32 s1, 0, s8
	v_mov_b32_e32 v18, v1
	v_rcp_iflag_f32_e32 v0, v0
	v_mul_f32_e32 v0, 0x4f7ffffe, v0
	v_cvt_u32_f32_e32 v0, v0
	v_mul_lo_u32 v2, s1, v0
	v_mul_hi_u32 v2, v0, v2
	v_add_nc_u32_e32 v0, v0, v2
	v_mul_hi_u32 v0, v3, v0
	v_mul_lo_u32 v2, v0, s8
	v_add_nc_u32_e32 v15, 1, v0
	v_sub_nc_u32_e32 v2, v3, v2
	v_subrev_nc_u32_e32 v16, s8, v2
	v_cmp_le_u32_e32 vcc_lo, s8, v2
	v_cndmask_b32_e32 v2, v2, v16, vcc_lo
	v_cndmask_b32_e32 v0, v0, v15, vcc_lo
	v_cmp_le_u32_e32 vcc_lo, s8, v2
	v_add_nc_u32_e32 v15, 1, v0
	v_cndmask_b32_e32 v17, v0, v15, vcc_lo
.LBB18_7:                               ;   in Loop: Header=BB18_3 Depth=1
	s_or_b32 exec_lo, exec_lo, s0
	v_mad_u64_u32 v[19:20], null, v17, 3, 0
	v_mad_u64_u32 v[15:16], null, s62, v17, v[3:4]
	v_mul_lo_u32 v0, s62, v18
	v_mul_lo_u32 v17, s61, v17
	v_mov_b32_e32 v2, v20
	v_mul_lo_u32 v27, v15, s7
	v_add3_u32 v0, v17, v16, v0
	v_mad_u64_u32 v[20:21], null, v18, 3, v[2:3]
	v_add_co_u32 v2, vcc_lo, v19, 1
	v_mad_u64_u32 v[21:22], null, v15, s6, 0
	v_mul_lo_u32 v28, v0, s6
	v_mul_lo_u32 v25, s9, v2
	v_add_co_ci_u32_e64 v18, null, 0, v20, vcc_lo
	v_mad_u64_u32 v[16:17], null, s8, v2, v[3:4]
	v_add_co_u32 v2, vcc_lo, v19, 2
	v_add_co_ci_u32_e64 v26, null, 0, v20, vcc_lo
	v_mul_lo_u32 v18, s8, v18
	v_add_co_u32 v19, vcc_lo, v19, 3
	v_add_co_ci_u32_e64 v20, null, 0, v20, vcc_lo
	v_mul_lo_u32 v29, s9, v2
	v_mad_u64_u32 v[23:24], null, s8, v2, v[3:4]
	v_mul_lo_u32 v30, s8, v26
	v_add3_u32 v2, v25, v17, v18
	v_mul_lo_u32 v31, s9, v19
	v_mad_u64_u32 v[25:26], null, s8, v19, v[3:4]
	v_mul_lo_u32 v19, s8, v20
	v_mul_lo_u32 v32, v2, s6
	v_mad_u64_u32 v[17:18], null, v16, s6, 0
	v_add3_u32 v24, v29, v24, v30
	v_mul_lo_u32 v29, v16, s7
	v_add3_u32 v22, v22, v27, v28
	v_mul_lo_u32 v30, v23, s7
	;; [unrolled: 2-line block ×3, first 2 shown]
	v_mad_u64_u32 v[19:20], null, v23, s6, 0
	v_mul_lo_u32 v31, v25, s7
	v_add3_u32 v18, v18, v29, v32
	v_mul_lo_u32 v29, v36, s6
	v_mad_u64_u32 v[26:27], null, v25, s6, 0
	v_lshlrev_b64 v[21:22], 3, v[21:22]
	v_add3_u32 v20, v20, v30, v28
	v_lshlrev_b64 v[17:18], 3, v[17:18]
	v_mov_b32_e32 v32, 0
	v_mov_b32_e32 v33, 0
	v_add3_u32 v27, v27, v31, v29
	v_lshlrev_b64 v[19:20], 3, v[19:20]
	v_add_co_u32 v21, vcc_lo, s2, v21
	v_add_co_ci_u32_e64 v22, null, s3, v22, vcc_lo
	v_lshlrev_b64 v[26:27], 3, v[26:27]
	v_add_co_u32 v17, vcc_lo, s2, v17
	v_add_co_ci_u32_e64 v18, null, s3, v18, vcc_lo
	v_add_co_u32 v28, vcc_lo, s2, v19
	v_add_co_ci_u32_e64 v29, null, s3, v20, vcc_lo
	;; [unrolled: 2-line block ×3, first 2 shown]
	s_clause 0x3
	global_load_dwordx2 v[19:20], v[21:22], off
	global_load_dwordx2 v[17:18], v[17:18], off
	;; [unrolled: 1-line block ×6, first 2 shown]
	v_mov_b32_e32 v30, 0
	v_mov_b32_e32 v31, 0
	s_andn2_b32 vcc_lo, exec_lo, s59
	s_cbranch_vccnz .LBB18_9
; %bb.8:                                ;   in Loop: Header=BB18_3 Depth=1
	global_load_dwordx2 v[30:31], v[11:12], off
.LBB18_9:                               ;   in Loop: Header=BB18_3 Depth=1
	s_andn2_b32 vcc_lo, exec_lo, s60
	s_cbranch_vccnz .LBB18_2
; %bb.10:                               ;   in Loop: Header=BB18_3 Depth=1
	global_load_dwordx2 v[32:33], v[13:14], off
	s_branch .LBB18_2
.LBB18_11:
	s_endpgm
	.section	.rodata,"a",@progbits
	.p2align	6, 0x0
	.amdhsa_kernel _ZN2at6native12_GLOBAL__N_16kernel18lstm_cell_backwardIddlLi1EEEvNS_4cuda6detail10TensorInfoIT_T1_EES9_S9_S9_S9_S9_S9_S8_S8_
		.amdhsa_group_segment_fixed_size 0
		.amdhsa_private_segment_fixed_size 0
		.amdhsa_kernarg_size 3184
		.amdhsa_user_sgpr_count 6
		.amdhsa_user_sgpr_private_segment_buffer 1
		.amdhsa_user_sgpr_dispatch_ptr 0
		.amdhsa_user_sgpr_queue_ptr 0
		.amdhsa_user_sgpr_kernarg_segment_ptr 1
		.amdhsa_user_sgpr_dispatch_id 0
		.amdhsa_user_sgpr_flat_scratch_init 0
		.amdhsa_user_sgpr_private_segment_size 0
		.amdhsa_wavefront_size32 1
		.amdhsa_uses_dynamic_stack 0
		.amdhsa_system_sgpr_private_segment_wavefront_offset 0
		.amdhsa_system_sgpr_workgroup_id_x 1
		.amdhsa_system_sgpr_workgroup_id_y 0
		.amdhsa_system_sgpr_workgroup_id_z 0
		.amdhsa_system_sgpr_workgroup_info 0
		.amdhsa_system_vgpr_workitem_id 0
		.amdhsa_next_free_vgpr 57
		.amdhsa_next_free_sgpr 72
		.amdhsa_reserve_vcc 1
		.amdhsa_reserve_flat_scratch 0
		.amdhsa_float_round_mode_32 0
		.amdhsa_float_round_mode_16_64 0
		.amdhsa_float_denorm_mode_32 3
		.amdhsa_float_denorm_mode_16_64 3
		.amdhsa_dx10_clamp 1
		.amdhsa_ieee_mode 1
		.amdhsa_fp16_overflow 0
		.amdhsa_workgroup_processor_mode 1
		.amdhsa_memory_ordered 1
		.amdhsa_forward_progress 1
		.amdhsa_shared_vgpr_count 0
		.amdhsa_exception_fp_ieee_invalid_op 0
		.amdhsa_exception_fp_denorm_src 0
		.amdhsa_exception_fp_ieee_div_zero 0
		.amdhsa_exception_fp_ieee_overflow 0
		.amdhsa_exception_fp_ieee_underflow 0
		.amdhsa_exception_fp_ieee_inexact 0
		.amdhsa_exception_int_div_zero 0
	.end_amdhsa_kernel
	.section	.text._ZN2at6native12_GLOBAL__N_16kernel18lstm_cell_backwardIddlLi1EEEvNS_4cuda6detail10TensorInfoIT_T1_EES9_S9_S9_S9_S9_S9_S8_S8_,"axG",@progbits,_ZN2at6native12_GLOBAL__N_16kernel18lstm_cell_backwardIddlLi1EEEvNS_4cuda6detail10TensorInfoIT_T1_EES9_S9_S9_S9_S9_S9_S8_S8_,comdat
.Lfunc_end18:
	.size	_ZN2at6native12_GLOBAL__N_16kernel18lstm_cell_backwardIddlLi1EEEvNS_4cuda6detail10TensorInfoIT_T1_EES9_S9_S9_S9_S9_S9_S8_S8_, .Lfunc_end18-_ZN2at6native12_GLOBAL__N_16kernel18lstm_cell_backwardIddlLi1EEEvNS_4cuda6detail10TensorInfoIT_T1_EES9_S9_S9_S9_S9_S9_S8_S8_
                                        ; -- End function
	.set _ZN2at6native12_GLOBAL__N_16kernel18lstm_cell_backwardIddlLi1EEEvNS_4cuda6detail10TensorInfoIT_T1_EES9_S9_S9_S9_S9_S9_S8_S8_.num_vgpr, 57
	.set _ZN2at6native12_GLOBAL__N_16kernel18lstm_cell_backwardIddlLi1EEEvNS_4cuda6detail10TensorInfoIT_T1_EES9_S9_S9_S9_S9_S9_S8_S8_.num_agpr, 0
	.set _ZN2at6native12_GLOBAL__N_16kernel18lstm_cell_backwardIddlLi1EEEvNS_4cuda6detail10TensorInfoIT_T1_EES9_S9_S9_S9_S9_S9_S8_S8_.numbered_sgpr, 72
	.set _ZN2at6native12_GLOBAL__N_16kernel18lstm_cell_backwardIddlLi1EEEvNS_4cuda6detail10TensorInfoIT_T1_EES9_S9_S9_S9_S9_S9_S8_S8_.num_named_barrier, 0
	.set _ZN2at6native12_GLOBAL__N_16kernel18lstm_cell_backwardIddlLi1EEEvNS_4cuda6detail10TensorInfoIT_T1_EES9_S9_S9_S9_S9_S9_S8_S8_.private_seg_size, 0
	.set _ZN2at6native12_GLOBAL__N_16kernel18lstm_cell_backwardIddlLi1EEEvNS_4cuda6detail10TensorInfoIT_T1_EES9_S9_S9_S9_S9_S9_S8_S8_.uses_vcc, 1
	.set _ZN2at6native12_GLOBAL__N_16kernel18lstm_cell_backwardIddlLi1EEEvNS_4cuda6detail10TensorInfoIT_T1_EES9_S9_S9_S9_S9_S9_S8_S8_.uses_flat_scratch, 0
	.set _ZN2at6native12_GLOBAL__N_16kernel18lstm_cell_backwardIddlLi1EEEvNS_4cuda6detail10TensorInfoIT_T1_EES9_S9_S9_S9_S9_S9_S8_S8_.has_dyn_sized_stack, 0
	.set _ZN2at6native12_GLOBAL__N_16kernel18lstm_cell_backwardIddlLi1EEEvNS_4cuda6detail10TensorInfoIT_T1_EES9_S9_S9_S9_S9_S9_S8_S8_.has_recursion, 0
	.set _ZN2at6native12_GLOBAL__N_16kernel18lstm_cell_backwardIddlLi1EEEvNS_4cuda6detail10TensorInfoIT_T1_EES9_S9_S9_S9_S9_S9_S8_S8_.has_indirect_call, 0
	.section	.AMDGPU.csdata,"",@progbits
; Kernel info:
; codeLenInByte = 3816
; TotalNumSgprs: 74
; NumVgprs: 57
; ScratchSize: 0
; MemoryBound: 0
; FloatMode: 240
; IeeeMode: 1
; LDSByteSize: 0 bytes/workgroup (compile time only)
; SGPRBlocks: 0
; VGPRBlocks: 7
; NumSGPRsForWavesPerEU: 74
; NumVGPRsForWavesPerEU: 57
; Occupancy: 16
; WaveLimiterHint : 1
; COMPUTE_PGM_RSRC2:SCRATCH_EN: 0
; COMPUTE_PGM_RSRC2:USER_SGPR: 6
; COMPUTE_PGM_RSRC2:TRAP_HANDLER: 0
; COMPUTE_PGM_RSRC2:TGID_X_EN: 1
; COMPUTE_PGM_RSRC2:TGID_Y_EN: 0
; COMPUTE_PGM_RSRC2:TGID_Z_EN: 0
; COMPUTE_PGM_RSRC2:TIDIG_COMP_CNT: 0
	.section	.text._ZN2at6native12_GLOBAL__N_16kernel18lstm_cell_backwardIddlLi2EEEvNS_4cuda6detail10TensorInfoIT_T1_EES9_S9_S9_S9_S9_S9_S8_S8_,"axG",@progbits,_ZN2at6native12_GLOBAL__N_16kernel18lstm_cell_backwardIddlLi2EEEvNS_4cuda6detail10TensorInfoIT_T1_EES9_S9_S9_S9_S9_S9_S8_S8_,comdat
	.globl	_ZN2at6native12_GLOBAL__N_16kernel18lstm_cell_backwardIddlLi2EEEvNS_4cuda6detail10TensorInfoIT_T1_EES9_S9_S9_S9_S9_S9_S8_S8_ ; -- Begin function _ZN2at6native12_GLOBAL__N_16kernel18lstm_cell_backwardIddlLi2EEEvNS_4cuda6detail10TensorInfoIT_T1_EES9_S9_S9_S9_S9_S9_S8_S8_
	.p2align	8
	.type	_ZN2at6native12_GLOBAL__N_16kernel18lstm_cell_backwardIddlLi2EEEvNS_4cuda6detail10TensorInfoIT_T1_EES9_S9_S9_S9_S9_S9_S8_S8_,@function
_ZN2at6native12_GLOBAL__N_16kernel18lstm_cell_backwardIddlLi2EEEvNS_4cuda6detail10TensorInfoIT_T1_EES9_S9_S9_S9_S9_S9_S8_S8_: ; @_ZN2at6native12_GLOBAL__N_16kernel18lstm_cell_backwardIddlLi2EEEvNS_4cuda6detail10TensorInfoIT_T1_EES9_S9_S9_S9_S9_S9_S8_S8_
; %bb.0:
	s_clause 0x1
	s_load_dword s2, s[4:5], 0xb7c
	s_load_dwordx4 s[8:11], s[4:5], 0xb60
	v_mov_b32_e32 v1, 0
	s_add_u32 s0, s4, 0xb70
	s_addc_u32 s1, s5, 0
	s_mov_b32 s3, exec_lo
	s_waitcnt lgkmcnt(0)
	s_and_b32 s2, s2, 0xffff
	v_mad_u64_u32 v[3:4], null, s6, s2, v[0:1]
	v_mov_b32_e32 v4, v1
	v_cmpx_gt_i64_e64 s[10:11], v[3:4]
	s_cbranch_execz .LBB19_64
; %bb.1:
	v_cvt_f32_u32_e32 v0, s8
	s_clause 0x2
	s_load_dwordx2 s[6:7], s[4:5], 0x680
	s_load_dwordx4 s[12:15], s[4:5], 0x750
	s_load_dwordx2 s[34:35], s[4:5], 0x820
	s_load_dword s0, s[0:1], 0x0
	s_clause 0x11
	s_load_dwordx2 s[44:45], s[4:5], 0x0
	s_load_dwordx2 s[46:47], s[4:5], 0x10
	s_load_dwordx4 s[16:19], s[4:5], 0xd0
	s_load_dwordx2 s[48:49], s[4:5], 0x350
	s_load_dwordx2 s[50:51], s[4:5], 0x1a0
	;; [unrolled: 1-line block ×7, first 2 shown]
	s_load_dwordx4 s[20:23], s[4:5], 0x410
	s_load_dwordx2 s[62:63], s[4:5], 0x830
	s_load_dwordx2 s[64:65], s[4:5], 0x4e0
	;; [unrolled: 1-line block ×3, first 2 shown]
	s_load_dwordx4 s[24:27], s[4:5], 0x5b0
	s_load_dwordx4 s[28:31], s[4:5], 0x8f0
	;; [unrolled: 1-line block ×4, first 2 shown]
	s_mul_i32 s1, s9, 3
	s_mul_hi_u32 s3, s8, 3
	v_rcp_iflag_f32_e32 v0, v0
	s_waitcnt lgkmcnt(0)
	s_cmp_lg_u64 s[6:7], 0
	s_mov_b32 s84, 0x1852b7b0
	s_cselect_b32 s98, -1, 0
	s_cmp_lg_u64 s[34:35], 0
	s_mov_b32 s86, 0x11122322
	s_cselect_b32 s104, -1, 0
	s_add_i32 vcc_hi, s3, s1
	s_sub_u32 s67, 0, s48
	s_subb_u32 s68, 0, s49
	v_mul_f32_e32 v0, 0x4f7ffffe, v0
	s_sub_u32 s69, 0, s52
	s_subb_u32 s70, 0, s53
	s_sub_u32 s71, 0, s56
	s_subb_u32 s72, 0, s57
	s_sub_u32 s73, 0, s60
	v_cvt_u32_f32_e32 v0, v0
	s_subb_u32 s74, 0, s61
	s_sub_u32 s75, 0, s62
	s_mov_b32 s88, 0x555502a1
	s_mov_b32 s90, 0x55555511
	;; [unrolled: 1-line block ×4, first 2 shown]
	s_mul_i32 s99, s0, s2
	s_mul_i32 s66, s8, 3
	s_subb_u32 s76, 0, s63
	s_mov_b32 s85, 0x3f56c16c
	s_mov_b32 s87, 0x3f811111
	;; [unrolled: 1-line block ×5, first 2 shown]
	s_branch .LBB19_4
.LBB19_2:                               ;   in Loop: Header=BB19_4 Depth=1
	s_or_b32 exec_lo, exec_lo, s0
	v_mad_u64_u32 v[39:40], null, s75, v37, v[3:4]
	v_mul_lo_u32 v2, s75, v38
	v_mul_lo_u32 v41, s76, v37
	;; [unrolled: 1-line block ×4, first 2 shown]
	v_mad_u64_u32 v[37:38], null, v37, s28, 0
	v_add3_u32 v2, v41, v40, v2
	v_mul_lo_u32 v41, v39, s31
	v_mad_u64_u32 v[39:40], null, v39, s30, 0
	v_add3_u32 v38, v38, v43, v42
	v_mul_lo_u32 v2, v2, s30
	v_lshlrev_b64 v[37:38], 3, v[37:38]
	v_add3_u32 v40, v40, v41, v2
	v_add_co_u32 v2, vcc_lo, s34, v37
	v_add_co_ci_u32_e64 v38, null, s35, v38, vcc_lo
	v_lshlrev_b64 v[39:40], 3, v[39:40]
	v_add_co_u32 v37, vcc_lo, v2, v39
	v_add_co_ci_u32_e64 v38, null, v38, v40, vcc_lo
	global_load_dwordx2 v[37:38], v[37:38], off
.LBB19_3:                               ;   in Loop: Header=BB19_4 Depth=1
	s_mov_b32 s0, 0x652b82fe
	s_mov_b32 s1, 0x3ff71547
	;; [unrolled: 1-line block ×3, first 2 shown]
	s_waitcnt vmcnt(0)
	v_mul_f64 v[39:40], |v[31:32]|, s[0:1]
	s_mov_b32 s0, 0xfefa3000
	s_mov_b32 s1, 0xbfe62e42
	s_mov_b32 s3, 0x3e5ade15
	v_cmp_nlt_f64_e64 vcc_lo, 0x40331000, |v[31:32]|
	v_rndne_f64_e32 v[39:40], v[39:40]
	v_fma_f64 v[41:42], v[39:40], s[0:1], |v[31:32]|
	s_mov_b32 s0, 0xf278e000
	s_mov_b32 s1, 0xbd53de6a
	v_cvt_i32_f64_e32 v2, v[39:40]
	v_mul_f64 v[45:46], v[39:40], s[0:1]
	s_mov_b32 s0, 0xf97b57a0
	s_mov_b32 s1, 0xbac9cc01
	v_add_f64 v[43:44], v[41:42], 0
	v_add_f64 v[47:48], v[43:44], v[45:46]
	v_add_f64 v[41:42], v[41:42], -v[43:44]
	v_add_f64 v[43:44], v[43:44], -v[47:48]
	v_add_f64 v[41:42], v[41:42], 0
	v_add_f64 v[43:44], v[43:44], v[45:46]
	;; [unrolled: 1-line block ×4, first 2 shown]
	v_add_f64 v[45:46], v[47:48], -v[43:44]
	v_add_f64 v[41:42], v[41:42], v[45:46]
	v_mul_f64 v[45:46], v[39:40], s[0:1]
	s_mov_b32 s0, 0xfca7ab0c
	s_mov_b32 s1, 0x3e928af3
	v_add_f64 v[47:48], v[43:44], v[45:46]
	v_add_f64 v[43:44], v[43:44], -v[47:48]
	v_add_f64 v[43:44], v[43:44], v[45:46]
	v_add_f64 v[41:42], v[41:42], v[43:44]
	;; [unrolled: 1-line block ×3, first 2 shown]
	v_add_f64 v[45:46], v[47:48], -v[43:44]
	v_add_f64 v[41:42], v[41:42], v[45:46]
	v_mul_f64 v[45:46], v[43:44], v[43:44]
	v_add_f64 v[49:50], v[41:42], v[41:42]
	v_fma_f64 v[47:48], v[43:44], v[43:44], -v[45:46]
	v_fma_f64 v[47:48], v[43:44], v[49:50], v[47:48]
	v_add_f64 v[49:50], v[45:46], v[47:48]
	v_add_f64 v[45:46], v[49:50], -v[45:46]
	v_add_f64 v[45:46], v[47:48], -v[45:46]
	v_fma_f64 v[47:48], v[43:44], s[2:3], s[0:1]
	s_mov_b32 s0, 0x623fde64
	s_mov_b32 s1, 0x3ec71dee
	v_fma_f64 v[47:48], v[43:44], v[47:48], s[0:1]
	s_mov_b32 s0, 0x7c89e6b0
	s_mov_b32 s1, 0x3efa0199
	;; [unrolled: 3-line block ×3, first 2 shown]
	v_fma_f64 v[47:48], v[43:44], v[47:48], s[0:1]
	v_fma_f64 v[47:48], v[43:44], v[47:48], s[84:85]
	;; [unrolled: 1-line block ×6, first 2 shown]
	v_mul_f64 v[51:52], v[49:50], v[47:48]
	v_fma_f64 v[49:50], v[49:50], v[47:48], -v[51:52]
	v_fma_f64 v[45:46], v[45:46], v[47:48], v[49:50]
	v_add_f64 v[47:48], v[51:52], v[45:46]
	v_add_f64 v[49:50], v[47:48], -v[51:52]
	v_add_f64 v[45:46], v[45:46], -v[49:50]
	v_add_f64 v[49:50], v[43:44], v[47:48]
	v_add_f64 v[41:42], v[41:42], v[45:46]
	v_add_f64 v[43:44], v[49:50], -v[43:44]
	v_add_f64 v[43:44], v[47:48], -v[43:44]
	v_add_f64 v[41:42], v[41:42], v[43:44]
	v_add_f64 v[43:44], v[49:50], v[41:42]
	v_add_f64 v[45:46], v[43:44], -v[49:50]
	v_add_f64 v[41:42], v[41:42], -v[45:46]
	v_add_f64 v[45:46], v[43:44], 1.0
	v_add_f64 v[47:48], v[45:46], -1.0
	v_add_f64 v[43:44], v[43:44], -v[47:48]
	v_add_f64 v[41:42], v[41:42], v[43:44]
	v_add_f64 v[39:40], v[45:46], v[41:42]
	v_add_f64 v[43:44], v[39:40], -v[45:46]
	v_ldexp_f64 v[39:40], v[39:40], v2
	v_add_f64 v[41:42], v[41:42], -v[43:44]
	v_rcp_f64_e32 v[45:46], v[39:40]
	v_ldexp_f64 v[41:42], v[41:42], v2
	v_fma_f64 v[47:48], -v[39:40], v[45:46], 1.0
	v_fma_f64 v[45:46], v[47:48], v[45:46], v[45:46]
	v_fma_f64 v[43:44], -v[39:40], v[45:46], 1.0
	v_fma_f64 v[43:44], v[43:44], v[45:46], v[45:46]
	v_mul_f64 v[45:46], v[39:40], v[43:44]
	v_fma_f64 v[47:48], v[43:44], v[39:40], -v[45:46]
	v_fma_f64 v[47:48], v[43:44], v[41:42], v[47:48]
	v_add_f64 v[49:50], v[45:46], v[47:48]
	v_add_f64 v[45:46], v[49:50], -v[45:46]
	v_add_f64 v[45:46], v[45:46], -v[47:48]
	v_add_f64 v[47:48], -v[49:50], 1.0
	v_add_f64 v[51:52], -v[47:48], 1.0
	v_add_f64 v[49:50], v[51:52], -v[49:50]
	v_add_f64 v[45:46], v[45:46], v[49:50]
	v_add_f64 v[49:50], v[47:48], v[45:46]
	v_add_f64 v[47:48], v[47:48], -v[49:50]
	v_add_f64 v[45:46], v[45:46], v[47:48]
	v_mul_f64 v[47:48], v[43:44], v[49:50]
	v_mul_f64 v[51:52], v[39:40], v[47:48]
	v_fma_f64 v[53:54], v[47:48], v[39:40], -v[51:52]
	v_fma_f64 v[53:54], v[47:48], v[41:42], v[53:54]
	v_add_f64 v[55:56], v[51:52], v[53:54]
	v_add_f64 v[57:58], v[49:50], -v[55:56]
	v_add_f64 v[51:52], v[55:56], -v[51:52]
	;; [unrolled: 1-line block ×5, first 2 shown]
	v_add_f64 v[45:46], v[45:46], v[49:50]
	v_add_f64 v[49:50], v[43:44], v[47:48]
	;; [unrolled: 1-line block ×3, first 2 shown]
	v_add_f64 v[51:52], v[49:50], -v[43:44]
	v_add_f64 v[45:46], v[57:58], v[45:46]
	v_add_f64 v[47:48], v[47:48], -v[51:52]
	v_mul_f64 v[43:44], v[43:44], v[45:46]
	v_add_f64 v[43:44], v[47:48], v[43:44]
	v_add_f64 v[45:46], v[49:50], v[43:44]
	v_add_f64 v[47:48], v[45:46], -v[49:50]
	v_add_f64 v[49:50], v[39:40], v[45:46]
	v_add_f64 v[43:44], v[43:44], -v[47:48]
	v_add_f64 v[47:48], v[39:40], -v[45:46]
	;; [unrolled: 1-line block ×6, first 2 shown]
	v_add_f64 v[45:46], v[41:42], v[51:52]
	v_add_f64 v[41:42], v[41:42], v[43:44]
	;; [unrolled: 1-line block ×3, first 2 shown]
	v_add_f64 v[41:42], v[45:46], -v[43:44]
	v_add_f64 v[43:44], v[49:50], v[39:40]
	v_rcp_f64_e32 v[45:46], v[43:44]
	v_add_f64 v[49:50], v[43:44], -v[49:50]
	v_add_f64 v[39:40], v[39:40], -v[49:50]
	v_fma_f64 v[51:52], -v[43:44], v[45:46], 1.0
	v_fma_f64 v[45:46], v[51:52], v[45:46], v[45:46]
	v_fma_f64 v[49:50], -v[43:44], v[45:46], 1.0
	v_fma_f64 v[45:46], v[49:50], v[45:46], v[45:46]
	v_add_f64 v[49:50], v[47:48], v[41:42]
	v_mul_f64 v[51:52], v[49:50], v[45:46]
	v_add_f64 v[47:48], v[49:50], -v[47:48]
	v_mul_f64 v[53:54], v[43:44], v[51:52]
	v_add_f64 v[41:42], v[41:42], -v[47:48]
	v_fma_f64 v[43:44], v[51:52], v[43:44], -v[53:54]
	v_fma_f64 v[39:40], v[51:52], v[39:40], v[43:44]
	v_add_f64 v[43:44], v[53:54], v[39:40]
	v_add_f64 v[53:54], v[43:44], -v[53:54]
	v_add_f64 v[39:40], v[39:40], -v[53:54]
	;; [unrolled: 1-line block ×6, first 2 shown]
	v_add_f64 v[39:40], v[41:42], v[39:40]
	v_add_f64 v[39:40], v[53:54], v[39:40]
	v_mul_f64 v[39:40], v[45:46], v[39:40]
	v_add_f64 v[39:40], v[51:52], v[39:40]
	v_cndmask_b32_e32 v2, 0x3ff00000, v40, vcc_lo
	v_cndmask_b32_e32 v39, 0, v39, vcc_lo
	v_cmp_gt_f64_e64 vcc_lo, 0x3e400000, |v[31:32]|
	v_and_b32_e32 v40, 0x7fffffff, v32
	v_cndmask_b32_e32 v2, v2, v40, vcc_lo
	v_cndmask_b32_e32 v31, v39, v31, vcc_lo
	v_mul_f64 v[39:40], v[19:20], v[35:36]
	v_bfi_b32 v32, 0x7fffffff, v2, v32
	v_mul_lo_u32 v2, v22, s94
	v_mul_lo_u32 v22, v22, s36
	v_fma_f64 v[41:42], -v[31:32], v[31:32], 1.0
	v_fma_f64 v[37:38], v[41:42], v[39:40], v[37:38]
	v_mul_lo_u32 v41, v21, s95
	v_mad_u64_u32 v[39:40], null, v21, s94, 0
	v_add3_u32 v2, v40, v41, v2
	v_sub_co_u32 v39, vcc_lo, v5, v39
	v_mul_lo_u32 v40, v21, s37
	v_sub_co_ci_u32_e64 v2, null, v6, v2, vcc_lo
	v_mad_u64_u32 v[5:6], null, v21, s36, 0
	v_add_co_u32 v21, vcc_lo, v3, v39
	v_add_co_ci_u32_e64 v2, null, v4, v2, vcc_lo
	v_mul_lo_u32 v39, v21, s39
	v_add3_u32 v6, v6, v40, v22
	v_mul_lo_u32 v2, v2, s38
	v_mad_u64_u32 v[21:22], null, v21, s38, 0
	v_lshlrev_b64 v[5:6], 3, v[5:6]
	v_add3_u32 v22, v22, v39, v2
	v_add_co_u32 v2, vcc_lo, s50, v5
	v_add_co_ci_u32_e64 v39, null, s51, v6, vcc_lo
	v_lshlrev_b64 v[5:6], 3, v[21:22]
	v_add_f64 v[21:22], -v[7:8], 1.0
	v_add_co_u32 v5, vcc_lo, v2, v5
	v_add_co_ci_u32_e64 v6, null, v39, v6, vcc_lo
	v_mul_f64 v[39:40], v[17:18], v[37:38]
	v_mul_lo_u32 v2, v24, s94
	v_mul_f64 v[21:22], v[21:22], v[39:40]
	v_mul_f64 v[21:22], v[7:8], v[21:22]
	;; [unrolled: 1-line block ×3, first 2 shown]
	global_store_dwordx2 v[5:6], v[21:22], off
	v_mul_lo_u32 v21, v23, s95
	v_mad_u64_u32 v[5:6], null, v23, s94, 0
	v_add3_u32 v2, v6, v21, v2
	v_sub_co_u32 v9, vcc_lo, v9, v5
	v_mul_lo_u32 v21, v23, s37
	v_mad_u64_u32 v[5:6], null, v23, s36, 0
	v_sub_co_ci_u32_e64 v2, null, v10, v2, vcc_lo
	v_mul_lo_u32 v10, v24, s36
	v_add_co_u32 v9, vcc_lo, v3, v9
	v_add_co_ci_u32_e64 v2, null, v4, v2, vcc_lo
	v_add3_u32 v6, v6, v21, v10
	v_mul_lo_u32 v2, v2, s38
	v_mul_lo_u32 v21, v9, s39
	v_mad_u64_u32 v[9:10], null, v9, s38, 0
	v_lshlrev_b64 v[5:6], 3, v[5:6]
	v_add3_u32 v10, v10, v21, v2
	v_add_co_u32 v2, vcc_lo, s50, v5
	v_add_co_ci_u32_e64 v21, null, s51, v6, vcc_lo
	v_lshlrev_b64 v[5:6], 3, v[9:10]
	v_mul_f64 v[9:10], v[29:30], v[37:38]
	v_add_co_u32 v5, vcc_lo, v2, v5
	v_add_co_ci_u32_e64 v6, null, v21, v6, vcc_lo
	v_add_f64 v[21:22], -v[11:12], 1.0
	v_mul_lo_u32 v2, v26, s94
	v_mul_f64 v[9:10], v[21:22], v[9:10]
	v_mul_f64 v[9:10], v[11:12], v[9:10]
	global_store_dwordx2 v[5:6], v[9:10], off
	v_mul_lo_u32 v9, v25, s95
	v_mad_u64_u32 v[5:6], null, v25, s94, 0
	v_mul_lo_u32 v10, v26, s36
	v_add3_u32 v2, v6, v9, v2
	v_sub_co_u32 v9, vcc_lo, v13, v5
	v_mul_lo_u32 v13, v25, s37
	v_mad_u64_u32 v[5:6], null, v25, s36, 0
	v_sub_co_ci_u32_e64 v2, null, v14, v2, vcc_lo
	v_add_co_u32 v9, vcc_lo, v3, v9
	v_add_co_ci_u32_e64 v2, null, v4, v2, vcc_lo
	v_add3_u32 v6, v6, v13, v10
	v_mul_lo_u32 v13, v9, s39
	v_mad_u64_u32 v[9:10], null, v9, s38, 0
	v_mul_lo_u32 v2, v2, s38
	v_lshlrev_b64 v[5:6], 3, v[5:6]
	v_add3_u32 v10, v10, v13, v2
	v_add_co_u32 v2, vcc_lo, s50, v5
	v_add_co_ci_u32_e64 v13, null, s51, v6, vcc_lo
	v_lshlrev_b64 v[5:6], 3, v[9:10]
	v_fma_f64 v[9:10], -v[17:18], v[17:18], 1.0
	v_add_co_u32 v5, vcc_lo, v2, v5
	v_add_co_ci_u32_e64 v6, null, v13, v6, vcc_lo
	v_mul_lo_u32 v2, v28, s94
	v_mul_f64 v[7:8], v[9:10], v[7:8]
	v_mul_lo_u32 v9, v27, s37
	global_store_dwordx2 v[5:6], v[7:8], off
	v_mul_lo_u32 v7, v27, s95
	v_mad_u64_u32 v[5:6], null, v27, s94, 0
	v_mul_lo_u32 v8, v28, s36
	v_add3_u32 v2, v6, v7, v2
	v_sub_co_u32 v7, vcc_lo, v15, v5
	v_mad_u64_u32 v[5:6], null, v27, s36, 0
	v_sub_co_ci_u32_e64 v2, null, v16, v2, vcc_lo
	v_add_co_u32 v7, vcc_lo, v3, v7
	v_add_co_ci_u32_e64 v2, null, v4, v2, vcc_lo
	v_add3_u32 v6, v6, v9, v8
	v_mul_lo_u32 v9, v7, s39
	v_mad_u64_u32 v[7:8], null, v7, s38, 0
	v_mul_lo_u32 v2, v2, s38
	v_lshlrev_b64 v[5:6], 3, v[5:6]
	v_add3_u32 v8, v8, v9, v2
	v_add_co_u32 v2, vcc_lo, s50, v5
	v_add_co_ci_u32_e64 v9, null, s51, v6, vcc_lo
	v_lshlrev_b64 v[5:6], 3, v[7:8]
	v_mul_f64 v[7:8], v[31:32], v[35:36]
	v_add_co_u32 v5, vcc_lo, v2, v5
	v_add_co_ci_u32_e64 v6, null, v9, v6, vcc_lo
	v_add_f64 v[9:10], -v[19:20], 1.0
	v_mul_lo_u32 v2, v34, s40
	v_mul_f64 v[7:8], v[9:10], v[7:8]
	v_mul_lo_u32 v9, s72, v33
	v_mul_f64 v[7:8], v[19:20], v[7:8]
	global_store_dwordx2 v[5:6], v[7:8], off
	v_mul_lo_u32 v7, v33, s41
	v_mad_u64_u32 v[5:6], null, v33, s40, 0
	v_add3_u32 v6, v6, v7, v2
	v_mul_lo_u32 v2, s71, v34
	v_mad_u64_u32 v[7:8], null, s71, v33, v[3:4]
	v_lshlrev_b64 v[5:6], 3, v[5:6]
	v_add3_u32 v2, v9, v8, v2
	v_mul_lo_u32 v9, v7, s43
	v_mad_u64_u32 v[7:8], null, v7, s42, 0
	v_mul_lo_u32 v2, v2, s42
	v_add3_u32 v8, v8, v9, v2
	v_add_co_u32 v2, vcc_lo, s58, v5
	v_add_co_ci_u32_e64 v9, null, s59, v6, vcc_lo
	v_lshlrev_b64 v[5:6], 3, v[7:8]
	v_mul_f64 v[7:8], v[11:12], v[37:38]
	v_add_co_u32 v5, vcc_lo, v2, v5
	v_add_co_ci_u32_e64 v6, null, v9, v6, vcc_lo
	v_add_co_u32 v3, vcc_lo, v3, s99
	v_add_co_ci_u32_e64 v4, null, 0, v4, vcc_lo
	v_cmp_le_i64_e32 vcc_lo, s[10:11], v[3:4]
	s_or_b32 s33, vcc_lo, s33
	global_store_dwordx2 v[5:6], v[7:8], off
	s_andn2_b32 exec_lo, exec_lo, s33
	s_cbranch_execz .LBB19_64
.LBB19_4:                               ; =>This Inner Loop Header: Depth=1
	v_or_b32_e32 v2, s9, v4
                                        ; implicit-def: $vgpr9_vgpr10
	s_mov_b32 s0, exec_lo
	v_cmpx_ne_u64_e32 0, v[1:2]
	s_xor_b32 s77, exec_lo, s0
	s_cbranch_execz .LBB19_6
; %bb.5:                                ;   in Loop: Header=BB19_4 Depth=1
	s_ashr_i32 s96, s9, 31
	v_ashrrev_i32_e32 v7, 31, v4
	s_add_u32 s0, s8, s96
	s_mov_b32 s97, s96
	s_addc_u32 s1, s9, s96
	s_xor_b64 s[4:5], s[0:1], s[96:97]
	v_cvt_f32_u32_e32 v2, s4
	v_cvt_f32_u32_e32 v5, s5
	s_sub_u32 s2, 0, s4
	s_subb_u32 s3, 0, s5
	v_fmac_f32_e32 v2, 0x4f800000, v5
	v_rcp_f32_e32 v2, v2
	v_mul_f32_e32 v2, 0x5f7ffffc, v2
	v_mul_f32_e32 v5, 0x2f800000, v2
	v_trunc_f32_e32 v5, v5
	v_fmac_f32_e32 v2, 0xcf800000, v5
	v_cvt_u32_f32_e32 v5, v5
	v_cvt_u32_f32_e32 v2, v2
	v_readfirstlane_b32 s0, v5
	v_add_co_u32 v5, vcc_lo, v3, v7
	v_readfirstlane_b32 s1, v2
	s_mul_i32 s97, s2, s0
	v_xor_b32_e32 v2, v5, v7
	s_mul_hi_u32 s79, s2, s1
	s_mul_i32 s78, s3, s1
	s_add_i32 s79, s79, s97
	s_mul_i32 s80, s2, s1
	s_add_i32 s79, s79, s78
	s_mul_hi_u32 s81, s1, s80
	s_mul_i32 s82, s1, s79
	s_mul_hi_u32 s97, s0, s80
	s_mul_i32 s78, s0, s80
	s_mul_hi_u32 s80, s1, s79
	s_add_u32 s81, s81, s82
	s_addc_u32 s80, 0, s80
	s_mul_hi_u32 s83, s0, s79
	s_add_u32 s78, s81, s78
	s_mul_i32 s79, s0, s79
	s_addc_u32 s78, s80, s97
	s_addc_u32 s80, s83, 0
	s_add_u32 s78, s78, s79
	s_addc_u32 s79, 0, s80
	s_add_u32 s1, s1, s78
	s_cselect_b32 s78, -1, 0
	s_mul_hi_u32 s80, s2, s1
	s_cmp_lg_u32 s78, 0
	s_mul_i32 s78, s2, s1
	s_addc_u32 s0, s0, s79
	s_mul_i32 s3, s3, s1
	s_mul_i32 s2, s2, s0
	s_mul_hi_u32 s79, s1, s78
	s_add_i32 s2, s80, s2
	s_mul_hi_u32 s80, s0, s78
	s_add_i32 s2, s2, s3
	s_mul_i32 s3, s0, s78
	s_mul_i32 s82, s1, s2
	s_mul_hi_u32 s81, s1, s2
	s_add_u32 s79, s79, s82
	s_addc_u32 s81, 0, s81
	s_mul_hi_u32 s78, s0, s2
	s_add_u32 s3, s79, s3
	s_mul_i32 s2, s0, s2
	s_addc_u32 s3, s81, s80
	s_addc_u32 s78, s78, 0
	s_add_u32 s2, s3, s2
	s_addc_u32 s3, 0, s78
	s_add_u32 s1, s1, s2
	s_cselect_b32 s2, -1, 0
	v_mul_hi_u32 v8, v2, s1
	s_cmp_lg_u32 s2, 0
	s_addc_u32 s2, s0, s3
	v_mad_u64_u32 v[5:6], null, v2, s2, 0
	v_add_co_u32 v8, s0, v8, v5
	v_add_co_ci_u32_e64 v5, null, v4, v7, vcc_lo
	v_add_co_ci_u32_e64 v9, null, 0, v6, s0
	v_xor_b32_e32 v10, v5, v7
	v_mad_u64_u32 v[5:6], null, v10, s1, 0
	v_add_co_u32 v5, vcc_lo, v8, v5
	v_add_co_ci_u32_e32 v8, vcc_lo, v9, v6, vcc_lo
	v_mad_u64_u32 v[5:6], null, v10, s2, 0
	v_add_co_u32 v8, s0, v8, v5
	v_add_co_ci_u32_e32 v5, vcc_lo, 0, v6, vcc_lo
	v_mul_lo_u32 v11, s5, v8
	v_add_co_ci_u32_e64 v9, null, 0, v5, s0
	v_mad_u64_u32 v[5:6], null, s4, v8, 0
	v_mul_lo_u32 v12, s4, v9
	v_sub_co_u32 v2, vcc_lo, v2, v5
	v_add3_u32 v6, v6, v12, v11
	v_cmp_le_u32_e64 s0, s4, v2
	v_sub_co_u32 v2, s1, v2, s4
	v_sub_nc_u32_e32 v5, v10, v6
	v_sub_co_ci_u32_e64 v6, null, v10, v6, vcc_lo
	v_cmp_le_u32_e64 s2, s4, v2
	v_subrev_co_ci_u32_e64 v2, null, s5, v5, vcc_lo
	v_cmp_le_u32_e64 s3, s5, v6
	v_cmp_eq_u32_e64 s4, s5, v6
	v_subrev_co_ci_u32_e64 v2, null, 0, v2, s1
	v_cndmask_b32_e64 v5, 0, -1, s3
	v_cmp_le_u32_e32 vcc_lo, s5, v2
	v_cmp_eq_u32_e64 s1, s5, v2
	v_cndmask_b32_e64 v2, 0, -1, s0
	v_cndmask_b32_e64 v6, 0, -1, vcc_lo
	v_cndmask_b32_e64 v2, v5, v2, s4
	v_cndmask_b32_e64 v5, 0, -1, s2
	v_cmp_ne_u32_e32 vcc_lo, 0, v2
	v_cndmask_b32_e64 v5, v6, v5, s1
	v_add_co_u32 v2, s1, v8, 2
	v_add_co_ci_u32_e64 v6, null, 0, v9, s1
	v_cmp_ne_u32_e64 s0, 0, v5
	v_add_co_u32 v5, s2, v8, 1
	v_add_co_ci_u32_e64 v10, null, 0, v9, s2
	v_cndmask_b32_e64 v2, v5, v2, s0
	v_cndmask_b32_e64 v6, v10, v6, s0
	v_cndmask_b32_e32 v2, v8, v2, vcc_lo
	v_cndmask_b32_e32 v5, v9, v6, vcc_lo
	v_xor_b32_e32 v6, s96, v7
	v_xor_b32_e32 v2, v2, v6
	;; [unrolled: 1-line block ×3, first 2 shown]
	v_sub_co_u32 v9, vcc_lo, v2, v6
	v_sub_co_ci_u32_e64 v10, null, v5, v6, vcc_lo
.LBB19_6:                               ;   in Loop: Header=BB19_4 Depth=1
	s_andn2_saveexec_b32 s0, s77
	s_cbranch_execz .LBB19_8
; %bb.7:                                ;   in Loop: Header=BB19_4 Depth=1
	s_sub_i32 s1, 0, s8
	v_mov_b32_e32 v10, v1
	v_mul_lo_u32 v2, s1, v0
	v_mul_hi_u32 v2, v0, v2
	v_add_nc_u32_e32 v2, v0, v2
	v_mul_hi_u32 v2, v3, v2
	v_mul_lo_u32 v5, v2, s8
	v_sub_nc_u32_e32 v5, v3, v5
	v_cmp_le_u32_e32 vcc_lo, s8, v5
	v_subrev_nc_u32_e32 v6, s8, v5
	v_cndmask_b32_e32 v5, v5, v6, vcc_lo
	v_add_nc_u32_e32 v6, 1, v2
	v_cndmask_b32_e32 v2, v2, v6, vcc_lo
	v_cmp_le_u32_e32 vcc_lo, s8, v5
	v_add_nc_u32_e32 v5, 1, v2
	v_cndmask_b32_e32 v9, v2, v5, vcc_lo
.LBB19_8:                               ;   in Loop: Header=BB19_4 Depth=1
	s_or_b32 exec_lo, exec_lo, s0
	v_mul_lo_u32 v2, vcc_hi, v9
	v_mul_lo_u32 v7, s66, v10
	v_mad_u64_u32 v[5:6], null, s66, v9, 0
	s_mov_b32 s0, exec_lo
	v_add3_u32 v6, v6, v7, v2
	v_add_co_u32 v26, vcc_lo, v3, v5
                                        ; implicit-def: $vgpr7_vgpr8
	v_add_co_ci_u32_e64 v24, null, v4, v6, vcc_lo
	v_or_b32_e32 v2, s47, v24
	v_ashrrev_i32_e32 v23, 31, v24
	v_cmpx_ne_u64_e32 0, v[1:2]
	s_xor_b32 s77, exec_lo, s0
	s_cbranch_execz .LBB19_10
; %bb.9:                                ;   in Loop: Header=BB19_4 Depth=1
	s_ashr_i32 s96, s47, 31
	s_add_u32 s0, s46, s96
	s_mov_b32 s97, s96
	s_addc_u32 s1, s47, s96
	s_xor_b64 s[4:5], s[0:1], s[96:97]
	v_cvt_f32_u32_e32 v2, s4
	v_cvt_f32_u32_e32 v7, s5
	s_sub_u32 s2, 0, s4
	s_subb_u32 s3, 0, s5
	v_fmac_f32_e32 v2, 0x4f800000, v7
	v_rcp_f32_e32 v2, v2
	v_mul_f32_e32 v2, 0x5f7ffffc, v2
	v_mul_f32_e32 v7, 0x2f800000, v2
	v_trunc_f32_e32 v7, v7
	v_fmac_f32_e32 v2, 0xcf800000, v7
	v_cvt_u32_f32_e32 v7, v7
	v_cvt_u32_f32_e32 v2, v2
	v_readfirstlane_b32 s0, v7
	v_add_co_u32 v7, vcc_lo, v26, v23
	v_readfirstlane_b32 s1, v2
	s_mul_i32 s78, s2, s0
	v_xor_b32_e32 v2, v7, v23
	s_mul_hi_u32 s80, s2, s1
	s_mul_i32 s79, s3, s1
	s_add_i32 s78, s80, s78
	s_mul_i32 s81, s2, s1
	s_add_i32 s78, s78, s79
	s_mul_hi_u32 s80, s1, s81
	s_mul_i32 s83, s1, s78
	s_mul_hi_u32 s82, s0, s81
	s_mul_i32 s79, s0, s81
	s_mul_hi_u32 s81, s1, s78
	s_add_u32 s80, s80, s83
	s_addc_u32 s81, 0, s81
	s_mul_hi_u32 s97, s0, s78
	s_add_u32 s79, s80, s79
	s_mul_i32 s78, s0, s78
	s_addc_u32 s79, s81, s82
	s_addc_u32 s80, s97, 0
	s_add_u32 s78, s79, s78
	s_addc_u32 s79, 0, s80
	s_add_u32 s1, s1, s78
	s_cselect_b32 s78, -1, 0
	s_mul_hi_u32 s80, s2, s1
	s_cmp_lg_u32 s78, 0
	s_mul_i32 s78, s2, s1
	s_addc_u32 s0, s0, s79
	s_mul_i32 s3, s3, s1
	s_mul_i32 s2, s2, s0
	s_mul_hi_u32 s79, s1, s78
	s_add_i32 s2, s80, s2
	s_mul_hi_u32 s80, s0, s78
	s_add_i32 s2, s2, s3
	s_mul_i32 s3, s0, s78
	s_mul_i32 s82, s1, s2
	s_mul_hi_u32 s81, s1, s2
	s_add_u32 s79, s79, s82
	s_addc_u32 s81, 0, s81
	s_mul_hi_u32 s78, s0, s2
	s_add_u32 s3, s79, s3
	s_mul_i32 s2, s0, s2
	s_addc_u32 s3, s81, s80
	s_addc_u32 s78, s78, 0
	s_add_u32 s2, s3, s2
	s_addc_u32 s3, 0, s78
	s_add_u32 s1, s1, s2
	s_cselect_b32 s2, -1, 0
	v_mul_hi_u32 v11, v2, s1
	s_cmp_lg_u32 s2, 0
	s_addc_u32 s2, s0, s3
	v_mad_u64_u32 v[7:8], null, v2, s2, 0
	v_add_co_u32 v11, s0, v11, v7
	v_add_co_ci_u32_e64 v7, null, v24, v23, vcc_lo
	v_add_co_ci_u32_e64 v12, null, 0, v8, s0
	v_xor_b32_e32 v13, v7, v23
	v_mad_u64_u32 v[7:8], null, v13, s1, 0
	v_add_co_u32 v7, vcc_lo, v11, v7
	v_add_co_ci_u32_e32 v11, vcc_lo, v12, v8, vcc_lo
	v_mad_u64_u32 v[7:8], null, v13, s2, 0
	v_add_co_u32 v11, s0, v11, v7
	v_add_co_ci_u32_e32 v7, vcc_lo, 0, v8, vcc_lo
	v_mul_lo_u32 v14, s5, v11
	v_add_co_ci_u32_e64 v12, null, 0, v7, s0
	v_mad_u64_u32 v[7:8], null, s4, v11, 0
	v_mul_lo_u32 v15, s4, v12
	v_sub_co_u32 v2, vcc_lo, v2, v7
	v_add3_u32 v8, v8, v15, v14
	v_cmp_le_u32_e64 s0, s4, v2
	v_sub_co_u32 v2, s1, v2, s4
	v_sub_nc_u32_e32 v7, v13, v8
	v_sub_co_ci_u32_e64 v8, null, v13, v8, vcc_lo
	v_cmp_le_u32_e64 s2, s4, v2
	v_subrev_co_ci_u32_e64 v2, null, s5, v7, vcc_lo
	v_cmp_le_u32_e64 s3, s5, v8
	v_cmp_eq_u32_e64 s4, s5, v8
	v_subrev_co_ci_u32_e64 v2, null, 0, v2, s1
	v_cndmask_b32_e64 v7, 0, -1, s3
	v_cmp_le_u32_e32 vcc_lo, s5, v2
	v_cmp_eq_u32_e64 s1, s5, v2
	v_cndmask_b32_e64 v2, 0, -1, s0
	v_cndmask_b32_e64 v8, 0, -1, vcc_lo
	v_cndmask_b32_e64 v2, v7, v2, s4
	v_cndmask_b32_e64 v7, 0, -1, s2
	v_cmp_ne_u32_e32 vcc_lo, 0, v2
	v_cndmask_b32_e64 v7, v8, v7, s1
	v_add_co_u32 v2, s1, v11, 2
	v_add_co_ci_u32_e64 v8, null, 0, v12, s1
	v_cmp_ne_u32_e64 s0, 0, v7
	v_add_co_u32 v7, s2, v11, 1
	v_add_co_ci_u32_e64 v13, null, 0, v12, s2
	v_cndmask_b32_e64 v2, v7, v2, s0
	v_cndmask_b32_e64 v8, v13, v8, s0
	v_cndmask_b32_e32 v2, v11, v2, vcc_lo
	v_cndmask_b32_e32 v7, v12, v8, vcc_lo
	v_xor_b32_e32 v8, s96, v23
	v_xor_b32_e32 v2, v2, v8
	;; [unrolled: 1-line block ×3, first 2 shown]
	v_sub_co_u32 v7, vcc_lo, v2, v8
	v_sub_co_ci_u32_e64 v8, null, v11, v8, vcc_lo
.LBB19_10:                              ;   in Loop: Header=BB19_4 Depth=1
	s_or_saveexec_b32 s0, s77
	v_cvt_f32_u32_e32 v21, s46
	s_xor_b32 exec_lo, exec_lo, s0
	s_cbranch_execz .LBB19_12
; %bb.11:                               ;   in Loop: Header=BB19_4 Depth=1
	v_rcp_iflag_f32_e32 v2, v21
	s_sub_i32 s1, 0, s46
	v_mul_f32_e32 v2, 0x4f7ffffe, v2
	v_cvt_u32_f32_e32 v2, v2
	v_mul_lo_u32 v7, s1, v2
	v_mul_hi_u32 v7, v2, v7
	v_add_nc_u32_e32 v2, v2, v7
	v_mul_hi_u32 v2, v26, v2
	v_mul_lo_u32 v7, v2, s46
	v_sub_nc_u32_e32 v7, v26, v7
	v_cmp_le_u32_e32 vcc_lo, s46, v7
	v_subrev_nc_u32_e32 v8, s46, v7
	v_cndmask_b32_e32 v7, v7, v8, vcc_lo
	v_add_nc_u32_e32 v8, 1, v2
	v_cndmask_b32_e32 v2, v2, v8, vcc_lo
	v_cmp_le_u32_e32 vcc_lo, s46, v7
	v_mov_b32_e32 v8, v1
	v_add_nc_u32_e32 v7, 1, v2
	v_cndmask_b32_e32 v7, v2, v7, vcc_lo
.LBB19_12:                              ;   in Loop: Header=BB19_4 Depth=1
	s_or_b32 exec_lo, exec_lo, s0
	v_mul_lo_u32 v2, v8, s46
	v_mul_lo_u32 v13, v7, s47
	v_mad_u64_u32 v[11:12], null, v7, s46, 0
	v_mul_lo_u32 v14, v7, s17
	s_mov_b32 s0, exec_lo
	v_add3_u32 v2, v12, v13, v2
	v_mul_lo_u32 v13, v8, s16
	v_sub_co_u32 v8, vcc_lo, v5, v11
	v_sub_co_ci_u32_e64 v2, null, v6, v2, vcc_lo
	v_add_co_u32 v11, vcc_lo, v3, v8
	v_mad_u64_u32 v[7:8], null, v7, s16, 0
	v_add_co_ci_u32_e64 v2, null, v4, v2, vcc_lo
	v_mul_lo_u32 v15, v11, s19
	v_mad_u64_u32 v[11:12], null, v11, s18, 0
	v_mul_lo_u32 v2, v2, s18
	v_add3_u32 v8, v8, v14, v13
	v_lshlrev_b64 v[7:8], 3, v[7:8]
	v_add3_u32 v12, v12, v15, v2
	v_mad_u64_u32 v[15:16], null, v9, 3, 0
	v_add_co_u32 v2, vcc_lo, s44, v7
	v_lshlrev_b64 v[11:12], 3, v[11:12]
	v_add_co_ci_u32_e64 v8, null, s45, v8, vcc_lo
	v_add_co_u32 v7, vcc_lo, v2, v11
	v_add_co_ci_u32_e64 v8, null, v8, v12, vcc_lo
	v_mov_b32_e32 v2, v16
	global_load_dwordx2 v[7:8], v[7:8], off
	v_mad_u64_u32 v[16:17], null, v10, 3, v[2:3]
	v_mul_lo_u32 v2, s9, v15
	v_mad_u64_u32 v[9:10], null, s8, v15, s[8:9]
	v_mul_lo_u32 v11, s8, v16
	v_add_co_u32 v30, vcc_lo, v3, v9
	v_add3_u32 v10, v2, v10, v11
                                        ; implicit-def: $vgpr11_vgpr12
	v_add_co_ci_u32_e64 v28, null, v4, v10, vcc_lo
	v_or_b32_e32 v2, s47, v28
	v_ashrrev_i32_e32 v25, 31, v28
	v_cmpx_ne_u64_e32 0, v[1:2]
	s_xor_b32 s77, exec_lo, s0
	s_cbranch_execz .LBB19_14
; %bb.13:                               ;   in Loop: Header=BB19_4 Depth=1
	s_ashr_i32 s96, s47, 31
	s_add_u32 s0, s46, s96
	s_mov_b32 s97, s96
	s_addc_u32 s1, s47, s96
	s_xor_b64 s[4:5], s[0:1], s[96:97]
	v_cvt_f32_u32_e32 v2, s4
	v_cvt_f32_u32_e32 v11, s5
	s_sub_u32 s2, 0, s4
	s_subb_u32 s3, 0, s5
	v_fmac_f32_e32 v2, 0x4f800000, v11
	v_rcp_f32_e32 v2, v2
	v_mul_f32_e32 v2, 0x5f7ffffc, v2
	v_mul_f32_e32 v11, 0x2f800000, v2
	v_trunc_f32_e32 v11, v11
	v_fmac_f32_e32 v2, 0xcf800000, v11
	v_cvt_u32_f32_e32 v11, v11
	v_cvt_u32_f32_e32 v2, v2
	v_readfirstlane_b32 s0, v11
	v_add_co_u32 v11, vcc_lo, v30, v25
	v_readfirstlane_b32 s1, v2
	s_mul_i32 s78, s2, s0
	v_xor_b32_e32 v2, v11, v25
	s_mul_hi_u32 s80, s2, s1
	s_mul_i32 s79, s3, s1
	s_add_i32 s78, s80, s78
	s_mul_i32 s81, s2, s1
	s_add_i32 s78, s78, s79
	s_mul_hi_u32 s80, s1, s81
	s_mul_i32 s83, s1, s78
	s_mul_hi_u32 s82, s0, s81
	s_mul_i32 s79, s0, s81
	s_mul_hi_u32 s81, s1, s78
	s_add_u32 s80, s80, s83
	s_addc_u32 s81, 0, s81
	s_mul_hi_u32 s97, s0, s78
	s_add_u32 s79, s80, s79
	s_mul_i32 s78, s0, s78
	s_addc_u32 s79, s81, s82
	s_addc_u32 s80, s97, 0
	s_add_u32 s78, s79, s78
	s_addc_u32 s79, 0, s80
	s_add_u32 s1, s1, s78
	s_cselect_b32 s78, -1, 0
	s_mul_hi_u32 s80, s2, s1
	s_cmp_lg_u32 s78, 0
	s_mul_i32 s78, s2, s1
	s_addc_u32 s0, s0, s79
	s_mul_i32 s3, s3, s1
	s_mul_i32 s2, s2, s0
	s_mul_hi_u32 s79, s1, s78
	s_add_i32 s2, s80, s2
	s_mul_hi_u32 s80, s0, s78
	s_add_i32 s2, s2, s3
	s_mul_i32 s3, s0, s78
	s_mul_i32 s82, s1, s2
	s_mul_hi_u32 s81, s1, s2
	s_add_u32 s79, s79, s82
	s_addc_u32 s81, 0, s81
	s_mul_hi_u32 s78, s0, s2
	s_add_u32 s3, s79, s3
	s_mul_i32 s2, s0, s2
	s_addc_u32 s3, s81, s80
	s_addc_u32 s78, s78, 0
	s_add_u32 s2, s3, s2
	s_addc_u32 s3, 0, s78
	s_add_u32 s1, s1, s2
	s_cselect_b32 s2, -1, 0
	v_mul_hi_u32 v13, v2, s1
	s_cmp_lg_u32 s2, 0
	s_addc_u32 s2, s0, s3
	v_mad_u64_u32 v[11:12], null, v2, s2, 0
	v_add_co_u32 v13, s0, v13, v11
	v_add_co_ci_u32_e64 v11, null, v28, v25, vcc_lo
	v_add_co_ci_u32_e64 v14, null, 0, v12, s0
	v_xor_b32_e32 v17, v11, v25
	v_mad_u64_u32 v[11:12], null, v17, s1, 0
	v_add_co_u32 v11, vcc_lo, v13, v11
	v_add_co_ci_u32_e32 v13, vcc_lo, v14, v12, vcc_lo
	v_mad_u64_u32 v[11:12], null, v17, s2, 0
	v_add_co_u32 v13, s0, v13, v11
	v_add_co_ci_u32_e32 v11, vcc_lo, 0, v12, vcc_lo
	v_mul_lo_u32 v18, s5, v13
	v_add_co_ci_u32_e64 v14, null, 0, v11, s0
	v_mad_u64_u32 v[11:12], null, s4, v13, 0
	v_mul_lo_u32 v19, s4, v14
	v_sub_co_u32 v2, vcc_lo, v2, v11
	v_add3_u32 v12, v12, v19, v18
	v_cmp_le_u32_e64 s0, s4, v2
	v_sub_co_u32 v2, s1, v2, s4
	v_sub_nc_u32_e32 v11, v17, v12
	v_sub_co_ci_u32_e64 v12, null, v17, v12, vcc_lo
	v_cmp_le_u32_e64 s2, s4, v2
	v_subrev_co_ci_u32_e64 v2, null, s5, v11, vcc_lo
	v_cmp_le_u32_e64 s3, s5, v12
	v_cmp_eq_u32_e64 s4, s5, v12
	v_subrev_co_ci_u32_e64 v2, null, 0, v2, s1
	v_cndmask_b32_e64 v11, 0, -1, s3
	v_cmp_le_u32_e32 vcc_lo, s5, v2
	v_cmp_eq_u32_e64 s1, s5, v2
	v_cndmask_b32_e64 v2, 0, -1, s0
	v_cndmask_b32_e64 v12, 0, -1, vcc_lo
	v_cndmask_b32_e64 v2, v11, v2, s4
	v_cndmask_b32_e64 v11, 0, -1, s2
	v_cmp_ne_u32_e32 vcc_lo, 0, v2
	v_cndmask_b32_e64 v11, v12, v11, s1
	v_add_co_u32 v2, s1, v13, 2
	v_add_co_ci_u32_e64 v12, null, 0, v14, s1
	v_cmp_ne_u32_e64 s0, 0, v11
	v_add_co_u32 v11, s2, v13, 1
	v_add_co_ci_u32_e64 v17, null, 0, v14, s2
	v_cndmask_b32_e64 v2, v11, v2, s0
	v_cndmask_b32_e64 v12, v17, v12, s0
	v_cndmask_b32_e32 v2, v13, v2, vcc_lo
	v_cndmask_b32_e32 v11, v14, v12, vcc_lo
	v_xor_b32_e32 v12, s96, v25
	v_xor_b32_e32 v2, v2, v12
	;; [unrolled: 1-line block ×3, first 2 shown]
	v_sub_co_u32 v11, vcc_lo, v2, v12
	v_sub_co_ci_u32_e64 v12, null, v13, v12, vcc_lo
.LBB19_14:                              ;   in Loop: Header=BB19_4 Depth=1
	s_andn2_saveexec_b32 s0, s77
	s_cbranch_execz .LBB19_16
; %bb.15:                               ;   in Loop: Header=BB19_4 Depth=1
	v_rcp_iflag_f32_e32 v2, v21
	s_sub_i32 s1, 0, s46
	v_mul_f32_e32 v2, 0x4f7ffffe, v2
	v_cvt_u32_f32_e32 v2, v2
	v_mul_lo_u32 v11, s1, v2
	v_mul_hi_u32 v11, v2, v11
	v_add_nc_u32_e32 v2, v2, v11
	v_mul_hi_u32 v2, v30, v2
	v_mul_lo_u32 v11, v2, s46
	v_sub_nc_u32_e32 v11, v30, v11
	v_cmp_le_u32_e32 vcc_lo, s46, v11
	v_subrev_nc_u32_e32 v12, s46, v11
	v_cndmask_b32_e32 v11, v11, v12, vcc_lo
	v_add_nc_u32_e32 v12, 1, v2
	v_cndmask_b32_e32 v2, v2, v12, vcc_lo
	v_cmp_le_u32_e32 vcc_lo, s46, v11
	v_mov_b32_e32 v12, v1
	v_add_nc_u32_e32 v11, 1, v2
	v_cndmask_b32_e32 v11, v2, v11, vcc_lo
.LBB19_16:                              ;   in Loop: Header=BB19_4 Depth=1
	s_or_b32 exec_lo, exec_lo, s0
	v_mul_lo_u32 v2, v12, s46
	v_mul_lo_u32 v17, v11, s47
	v_mad_u64_u32 v[13:14], null, v11, s46, 0
	v_mul_lo_u32 v18, v11, s17
	s_mov_b32 s0, exec_lo
	v_add3_u32 v2, v14, v17, v2
	v_mul_lo_u32 v17, v12, s16
	v_sub_co_u32 v12, vcc_lo, v9, v13
	v_sub_co_ci_u32_e64 v2, null, v10, v2, vcc_lo
	v_add_co_u32 v13, vcc_lo, v3, v12
	v_mad_u64_u32 v[11:12], null, v11, s16, 0
	v_add_co_ci_u32_e64 v2, null, v4, v2, vcc_lo
	v_mul_lo_u32 v19, v13, s19
	v_mad_u64_u32 v[13:14], null, v13, s18, 0
	v_mul_lo_u32 v2, v2, s18
	v_add3_u32 v12, v12, v18, v17
	v_lshlrev_b64 v[11:12], 3, v[11:12]
	v_add3_u32 v14, v14, v19, v2
	v_add_co_u32 v2, vcc_lo, s44, v11
	v_lshlrev_b64 v[13:14], 3, v[13:14]
	v_add_co_ci_u32_e64 v12, null, s45, v12, vcc_lo
	v_add_co_u32 v11, vcc_lo, v2, v13
	v_add_co_ci_u32_e64 v12, null, v12, v14, vcc_lo
	v_add_co_u32 v2, vcc_lo, v15, 2
	v_add_co_ci_u32_e64 v13, null, 0, v16, vcc_lo
	global_load_dwordx2 v[11:12], v[11:12], off
	v_mul_lo_u32 v17, s9, v2
	v_mul_lo_u32 v18, s8, v13
	v_mad_u64_u32 v[13:14], null, s8, v2, 0
	v_add3_u32 v14, v14, v18, v17
	v_add_co_u32 v32, vcc_lo, v3, v13
                                        ; implicit-def: $vgpr17_vgpr18
	v_add_co_ci_u32_e64 v31, null, v4, v14, vcc_lo
	v_or_b32_e32 v2, s47, v31
	v_ashrrev_i32_e32 v27, 31, v31
	v_cmpx_ne_u64_e32 0, v[1:2]
	s_xor_b32 s77, exec_lo, s0
	s_cbranch_execz .LBB19_18
; %bb.17:                               ;   in Loop: Header=BB19_4 Depth=1
	s_ashr_i32 s96, s47, 31
	s_add_u32 s0, s46, s96
	s_mov_b32 s97, s96
	s_addc_u32 s1, s47, s96
	s_xor_b64 s[4:5], s[0:1], s[96:97]
	v_cvt_f32_u32_e32 v2, s4
	v_cvt_f32_u32_e32 v17, s5
	s_sub_u32 s2, 0, s4
	s_subb_u32 s3, 0, s5
	v_fmac_f32_e32 v2, 0x4f800000, v17
	v_rcp_f32_e32 v2, v2
	v_mul_f32_e32 v2, 0x5f7ffffc, v2
	v_mul_f32_e32 v17, 0x2f800000, v2
	v_trunc_f32_e32 v17, v17
	v_fmac_f32_e32 v2, 0xcf800000, v17
	v_cvt_u32_f32_e32 v17, v17
	v_cvt_u32_f32_e32 v2, v2
	v_readfirstlane_b32 s0, v17
	v_add_co_u32 v17, vcc_lo, v32, v27
	v_readfirstlane_b32 s1, v2
	s_mul_i32 s78, s2, s0
	v_xor_b32_e32 v2, v17, v27
	s_mul_hi_u32 s80, s2, s1
	s_mul_i32 s79, s3, s1
	s_add_i32 s78, s80, s78
	s_mul_i32 s81, s2, s1
	s_add_i32 s78, s78, s79
	s_mul_hi_u32 s80, s1, s81
	s_mul_i32 s83, s1, s78
	s_mul_hi_u32 s82, s0, s81
	s_mul_i32 s79, s0, s81
	s_mul_hi_u32 s81, s1, s78
	s_add_u32 s80, s80, s83
	s_addc_u32 s81, 0, s81
	s_mul_hi_u32 s97, s0, s78
	s_add_u32 s79, s80, s79
	s_mul_i32 s78, s0, s78
	s_addc_u32 s79, s81, s82
	s_addc_u32 s80, s97, 0
	s_add_u32 s78, s79, s78
	s_addc_u32 s79, 0, s80
	s_add_u32 s1, s1, s78
	s_cselect_b32 s78, -1, 0
	s_mul_hi_u32 s80, s2, s1
	s_cmp_lg_u32 s78, 0
	s_mul_i32 s78, s2, s1
	s_addc_u32 s0, s0, s79
	s_mul_i32 s3, s3, s1
	s_mul_i32 s2, s2, s0
	s_mul_hi_u32 s79, s1, s78
	s_add_i32 s2, s80, s2
	s_mul_hi_u32 s80, s0, s78
	s_add_i32 s2, s2, s3
	s_mul_i32 s3, s0, s78
	s_mul_i32 s82, s1, s2
	s_mul_hi_u32 s81, s1, s2
	s_add_u32 s79, s79, s82
	s_addc_u32 s81, 0, s81
	s_mul_hi_u32 s78, s0, s2
	s_add_u32 s3, s79, s3
	s_mul_i32 s2, s0, s2
	s_addc_u32 s3, s81, s80
	s_addc_u32 s78, s78, 0
	s_add_u32 s2, s3, s2
	s_addc_u32 s3, 0, s78
	s_add_u32 s1, s1, s2
	s_cselect_b32 s2, -1, 0
	v_mul_hi_u32 v19, v2, s1
	s_cmp_lg_u32 s2, 0
	s_addc_u32 s2, s0, s3
	v_mad_u64_u32 v[17:18], null, v2, s2, 0
	v_add_co_u32 v19, s0, v19, v17
	v_add_co_ci_u32_e64 v17, null, v31, v27, vcc_lo
	v_add_co_ci_u32_e64 v20, null, 0, v18, s0
	v_xor_b32_e32 v22, v17, v27
	v_mad_u64_u32 v[17:18], null, v22, s1, 0
	v_add_co_u32 v17, vcc_lo, v19, v17
	v_add_co_ci_u32_e32 v19, vcc_lo, v20, v18, vcc_lo
	v_mad_u64_u32 v[17:18], null, v22, s2, 0
	v_add_co_u32 v19, s0, v19, v17
	v_add_co_ci_u32_e32 v17, vcc_lo, 0, v18, vcc_lo
	v_mul_lo_u32 v29, s5, v19
	v_add_co_ci_u32_e64 v20, null, 0, v17, s0
	v_mad_u64_u32 v[17:18], null, s4, v19, 0
	v_mul_lo_u32 v33, s4, v20
	v_sub_co_u32 v2, vcc_lo, v2, v17
	v_add3_u32 v18, v18, v33, v29
	v_cmp_le_u32_e64 s0, s4, v2
	v_sub_co_u32 v2, s1, v2, s4
	v_sub_nc_u32_e32 v17, v22, v18
	v_sub_co_ci_u32_e64 v18, null, v22, v18, vcc_lo
	v_cmp_le_u32_e64 s2, s4, v2
	v_subrev_co_ci_u32_e64 v2, null, s5, v17, vcc_lo
	v_cmp_le_u32_e64 s3, s5, v18
	v_cmp_eq_u32_e64 s4, s5, v18
	v_subrev_co_ci_u32_e64 v2, null, 0, v2, s1
	v_cndmask_b32_e64 v17, 0, -1, s3
	v_cmp_le_u32_e32 vcc_lo, s5, v2
	v_cmp_eq_u32_e64 s1, s5, v2
	v_cndmask_b32_e64 v2, 0, -1, s0
	v_cndmask_b32_e64 v18, 0, -1, vcc_lo
	v_cndmask_b32_e64 v2, v17, v2, s4
	v_cndmask_b32_e64 v17, 0, -1, s2
	v_cmp_ne_u32_e32 vcc_lo, 0, v2
	v_cndmask_b32_e64 v17, v18, v17, s1
	v_add_co_u32 v2, s1, v19, 2
	v_add_co_ci_u32_e64 v18, null, 0, v20, s1
	v_cmp_ne_u32_e64 s0, 0, v17
	v_add_co_u32 v17, s2, v19, 1
	v_add_co_ci_u32_e64 v22, null, 0, v20, s2
	v_cndmask_b32_e64 v2, v17, v2, s0
	v_cndmask_b32_e64 v18, v22, v18, s0
	v_cndmask_b32_e32 v2, v19, v2, vcc_lo
	v_cndmask_b32_e32 v17, v20, v18, vcc_lo
	v_xor_b32_e32 v18, s96, v27
	v_xor_b32_e32 v2, v2, v18
	;; [unrolled: 1-line block ×3, first 2 shown]
	v_sub_co_u32 v17, vcc_lo, v2, v18
	v_sub_co_ci_u32_e64 v18, null, v19, v18, vcc_lo
.LBB19_18:                              ;   in Loop: Header=BB19_4 Depth=1
	s_andn2_saveexec_b32 s0, s77
	s_cbranch_execz .LBB19_20
; %bb.19:                               ;   in Loop: Header=BB19_4 Depth=1
	v_rcp_iflag_f32_e32 v2, v21
	s_sub_i32 s1, 0, s46
	v_mul_f32_e32 v2, 0x4f7ffffe, v2
	v_cvt_u32_f32_e32 v2, v2
	v_mul_lo_u32 v17, s1, v2
	v_mul_hi_u32 v17, v2, v17
	v_add_nc_u32_e32 v2, v2, v17
	v_mul_hi_u32 v2, v32, v2
	v_mul_lo_u32 v17, v2, s46
	v_sub_nc_u32_e32 v17, v32, v17
	v_cmp_le_u32_e32 vcc_lo, s46, v17
	v_subrev_nc_u32_e32 v18, s46, v17
	v_cndmask_b32_e32 v17, v17, v18, vcc_lo
	v_add_nc_u32_e32 v18, 1, v2
	v_cndmask_b32_e32 v2, v2, v18, vcc_lo
	v_cmp_le_u32_e32 vcc_lo, s46, v17
	v_mov_b32_e32 v18, v1
	v_add_nc_u32_e32 v17, 1, v2
	v_cndmask_b32_e32 v17, v2, v17, vcc_lo
.LBB19_20:                              ;   in Loop: Header=BB19_4 Depth=1
	s_or_b32 exec_lo, exec_lo, s0
	v_mul_lo_u32 v2, v18, s46
	v_mul_lo_u32 v22, v17, s47
	v_mad_u64_u32 v[19:20], null, v17, s46, 0
	v_mul_lo_u32 v29, v17, s17
	s_mov_b32 s0, exec_lo
	v_add3_u32 v2, v20, v22, v2
	v_mul_lo_u32 v22, v18, s16
	v_sub_co_u32 v18, vcc_lo, v13, v19
	v_sub_co_ci_u32_e64 v2, null, v14, v2, vcc_lo
	v_add_co_u32 v19, vcc_lo, v3, v18
	v_mad_u64_u32 v[17:18], null, v17, s16, 0
	v_add_co_ci_u32_e64 v2, null, v4, v2, vcc_lo
	v_mul_lo_u32 v33, v19, s19
	v_mad_u64_u32 v[19:20], null, v19, s18, 0
	v_mul_lo_u32 v2, v2, s18
	v_add3_u32 v18, v18, v29, v22
	v_lshlrev_b64 v[17:18], 3, v[17:18]
	v_add3_u32 v20, v20, v33, v2
	v_add_co_u32 v2, vcc_lo, s44, v17
	v_lshlrev_b64 v[19:20], 3, v[19:20]
	v_add_co_ci_u32_e64 v18, null, s45, v18, vcc_lo
	v_add_co_u32 v17, vcc_lo, v2, v19
	v_add_co_ci_u32_e64 v18, null, v18, v20, vcc_lo
	v_add_co_u32 v2, vcc_lo, v15, 3
	v_add_co_ci_u32_e64 v15, null, 0, v16, vcc_lo
	global_load_dwordx2 v[17:18], v[17:18], off
	v_mul_lo_u32 v19, s9, v2
	v_mul_lo_u32 v20, s8, v15
	v_mad_u64_u32 v[15:16], null, s8, v2, 0
	v_add3_u32 v16, v16, v20, v19
	v_add_co_u32 v34, vcc_lo, v3, v15
                                        ; implicit-def: $vgpr19_vgpr20
	v_add_co_ci_u32_e64 v33, null, v4, v16, vcc_lo
	v_or_b32_e32 v2, s47, v33
	v_ashrrev_i32_e32 v29, 31, v33
	v_cmpx_ne_u64_e32 0, v[1:2]
	s_xor_b32 s77, exec_lo, s0
	s_cbranch_execz .LBB19_22
; %bb.21:                               ;   in Loop: Header=BB19_4 Depth=1
	s_ashr_i32 s96, s47, 31
	s_add_u32 s0, s46, s96
	s_mov_b32 s97, s96
	s_addc_u32 s1, s47, s96
	s_xor_b64 s[4:5], s[0:1], s[96:97]
	v_cvt_f32_u32_e32 v2, s4
	v_cvt_f32_u32_e32 v19, s5
	s_sub_u32 s2, 0, s4
	s_subb_u32 s3, 0, s5
	v_fmac_f32_e32 v2, 0x4f800000, v19
	v_rcp_f32_e32 v2, v2
	v_mul_f32_e32 v2, 0x5f7ffffc, v2
	v_mul_f32_e32 v19, 0x2f800000, v2
	v_trunc_f32_e32 v19, v19
	v_fmac_f32_e32 v2, 0xcf800000, v19
	v_cvt_u32_f32_e32 v19, v19
	v_cvt_u32_f32_e32 v2, v2
	v_readfirstlane_b32 s0, v19
	v_add_co_u32 v19, vcc_lo, v34, v29
	v_readfirstlane_b32 s1, v2
	s_mul_i32 s78, s2, s0
	v_xor_b32_e32 v2, v19, v29
	s_mul_hi_u32 s80, s2, s1
	s_mul_i32 s79, s3, s1
	s_add_i32 s78, s80, s78
	s_mul_i32 s81, s2, s1
	s_add_i32 s78, s78, s79
	s_mul_hi_u32 s80, s1, s81
	s_mul_i32 s83, s1, s78
	s_mul_hi_u32 s82, s0, s81
	s_mul_i32 s79, s0, s81
	s_mul_hi_u32 s81, s1, s78
	s_add_u32 s80, s80, s83
	s_addc_u32 s81, 0, s81
	s_mul_hi_u32 s97, s0, s78
	s_add_u32 s79, s80, s79
	s_mul_i32 s78, s0, s78
	s_addc_u32 s79, s81, s82
	s_addc_u32 s80, s97, 0
	s_add_u32 s78, s79, s78
	s_addc_u32 s79, 0, s80
	s_add_u32 s1, s1, s78
	s_cselect_b32 s78, -1, 0
	s_mul_hi_u32 s80, s2, s1
	s_cmp_lg_u32 s78, 0
	s_mul_i32 s78, s2, s1
	s_addc_u32 s0, s0, s79
	s_mul_i32 s3, s3, s1
	s_mul_i32 s2, s2, s0
	s_mul_hi_u32 s79, s1, s78
	s_add_i32 s2, s80, s2
	s_mul_hi_u32 s80, s0, s78
	s_add_i32 s2, s2, s3
	s_mul_i32 s3, s0, s78
	s_mul_i32 s82, s1, s2
	s_mul_hi_u32 s81, s1, s2
	s_add_u32 s79, s79, s82
	s_addc_u32 s81, 0, s81
	s_mul_hi_u32 s78, s0, s2
	s_add_u32 s3, s79, s3
	s_mul_i32 s2, s0, s2
	s_addc_u32 s3, s81, s80
	s_addc_u32 s78, s78, 0
	s_add_u32 s2, s3, s2
	s_addc_u32 s3, 0, s78
	s_add_u32 s1, s1, s2
	s_cselect_b32 s2, -1, 0
	v_mul_hi_u32 v21, v2, s1
	s_cmp_lg_u32 s2, 0
	s_addc_u32 s2, s0, s3
	v_mad_u64_u32 v[19:20], null, v2, s2, 0
	v_add_co_u32 v21, s0, v21, v19
	v_add_co_ci_u32_e64 v19, null, v33, v29, vcc_lo
	v_add_co_ci_u32_e64 v22, null, 0, v20, s0
	v_xor_b32_e32 v35, v19, v29
	v_mad_u64_u32 v[19:20], null, v35, s1, 0
	v_add_co_u32 v19, vcc_lo, v21, v19
	v_add_co_ci_u32_e32 v21, vcc_lo, v22, v20, vcc_lo
	v_mad_u64_u32 v[19:20], null, v35, s2, 0
	v_add_co_u32 v21, s0, v21, v19
	v_add_co_ci_u32_e32 v19, vcc_lo, 0, v20, vcc_lo
	v_mul_lo_u32 v36, s5, v21
	v_add_co_ci_u32_e64 v22, null, 0, v19, s0
	v_mad_u64_u32 v[19:20], null, s4, v21, 0
	v_mul_lo_u32 v37, s4, v22
	v_sub_co_u32 v2, vcc_lo, v2, v19
	v_add3_u32 v20, v20, v37, v36
	v_cmp_le_u32_e64 s0, s4, v2
	v_sub_co_u32 v2, s1, v2, s4
	v_sub_nc_u32_e32 v19, v35, v20
	v_sub_co_ci_u32_e64 v20, null, v35, v20, vcc_lo
	v_cmp_le_u32_e64 s2, s4, v2
	v_subrev_co_ci_u32_e64 v2, null, s5, v19, vcc_lo
	v_cmp_le_u32_e64 s3, s5, v20
	v_cmp_eq_u32_e64 s4, s5, v20
	v_subrev_co_ci_u32_e64 v2, null, 0, v2, s1
	v_cndmask_b32_e64 v19, 0, -1, s3
	v_cmp_le_u32_e32 vcc_lo, s5, v2
	v_cmp_eq_u32_e64 s1, s5, v2
	v_cndmask_b32_e64 v2, 0, -1, s0
	v_cndmask_b32_e64 v20, 0, -1, vcc_lo
	v_cndmask_b32_e64 v2, v19, v2, s4
	v_cndmask_b32_e64 v19, 0, -1, s2
	v_cmp_ne_u32_e32 vcc_lo, 0, v2
	v_cndmask_b32_e64 v19, v20, v19, s1
	v_add_co_u32 v2, s1, v21, 2
	v_add_co_ci_u32_e64 v20, null, 0, v22, s1
	v_cmp_ne_u32_e64 s0, 0, v19
	v_add_co_u32 v19, s2, v21, 1
	v_add_co_ci_u32_e64 v35, null, 0, v22, s2
	v_cndmask_b32_e64 v2, v19, v2, s0
	v_cndmask_b32_e64 v20, v35, v20, s0
	v_cndmask_b32_e32 v2, v21, v2, vcc_lo
	v_cndmask_b32_e32 v19, v22, v20, vcc_lo
	v_xor_b32_e32 v20, s96, v29
	v_xor_b32_e32 v2, v2, v20
	;; [unrolled: 1-line block ×3, first 2 shown]
	v_sub_co_u32 v19, vcc_lo, v2, v20
	v_sub_co_ci_u32_e64 v20, null, v21, v20, vcc_lo
                                        ; implicit-def: $vgpr21
.LBB19_22:                              ;   in Loop: Header=BB19_4 Depth=1
	s_andn2_saveexec_b32 s0, s77
	s_cbranch_execz .LBB19_24
; %bb.23:                               ;   in Loop: Header=BB19_4 Depth=1
	v_rcp_iflag_f32_e32 v2, v21
	s_sub_i32 s1, 0, s46
	v_mul_f32_e32 v2, 0x4f7ffffe, v2
	v_cvt_u32_f32_e32 v2, v2
	v_mul_lo_u32 v19, s1, v2
	v_mul_hi_u32 v19, v2, v19
	v_add_nc_u32_e32 v2, v2, v19
	v_mul_hi_u32 v2, v34, v2
	v_mul_lo_u32 v19, v2, s46
	v_sub_nc_u32_e32 v19, v34, v19
	v_cmp_le_u32_e32 vcc_lo, s46, v19
	v_subrev_nc_u32_e32 v20, s46, v19
	v_cndmask_b32_e32 v19, v19, v20, vcc_lo
	v_add_nc_u32_e32 v20, 1, v2
	v_cndmask_b32_e32 v2, v2, v20, vcc_lo
	v_cmp_le_u32_e32 vcc_lo, s46, v19
	v_mov_b32_e32 v20, v1
	v_add_nc_u32_e32 v19, 1, v2
	v_cndmask_b32_e32 v19, v2, v19, vcc_lo
.LBB19_24:                              ;   in Loop: Header=BB19_4 Depth=1
	s_or_b32 exec_lo, exec_lo, s0
	v_mul_lo_u32 v2, v20, s46
	v_mul_lo_u32 v35, v19, s47
	v_mad_u64_u32 v[21:22], null, v19, s46, 0
	v_mul_lo_u32 v36, v19, s17
	s_mov_b32 s0, exec_lo
	v_add3_u32 v2, v22, v35, v2
	v_mul_lo_u32 v35, v20, s16
	v_sub_co_u32 v20, vcc_lo, v15, v21
	v_sub_co_ci_u32_e64 v2, null, v16, v2, vcc_lo
	v_add_co_u32 v21, vcc_lo, v3, v20
	v_mad_u64_u32 v[19:20], null, v19, s16, 0
	v_add_co_ci_u32_e64 v2, null, v4, v2, vcc_lo
	v_mul_lo_u32 v37, v21, s19
	v_mad_u64_u32 v[21:22], null, v21, s18, 0
	v_mul_lo_u32 v2, v2, s18
	v_add3_u32 v20, v20, v36, v35
	v_lshlrev_b64 v[19:20], 3, v[19:20]
	v_add3_u32 v22, v22, v37, v2
	v_add_co_u32 v2, vcc_lo, s44, v19
	v_lshlrev_b64 v[21:22], 3, v[21:22]
	v_add_co_ci_u32_e64 v20, null, s45, v20, vcc_lo
	v_add_co_u32 v19, vcc_lo, v2, v21
	v_add_co_ci_u32_e64 v20, null, v20, v22, vcc_lo
	v_or_b32_e32 v2, s95, v24
                                        ; implicit-def: $vgpr21_vgpr22
	global_load_dwordx2 v[19:20], v[19:20], off
	v_cmpx_ne_u64_e32 0, v[1:2]
	s_xor_b32 s77, exec_lo, s0
	s_cbranch_execz .LBB19_26
; %bb.25:                               ;   in Loop: Header=BB19_4 Depth=1
	s_ashr_i32 s4, s95, 31
	v_add_co_u32 v22, vcc_lo, v26, v23
	s_add_u32 s0, s94, s4
	s_mov_b32 s5, s4
	s_addc_u32 s1, s95, s4
	s_xor_b64 s[2:3], s[0:1], s[4:5]
	v_cvt_f32_u32_e32 v2, s2
	v_cvt_f32_u32_e32 v21, s3
	s_sub_u32 s5, 0, s2
	s_subb_u32 s78, 0, s3
	v_fmac_f32_e32 v2, 0x4f800000, v21
	v_rcp_f32_e32 v2, v2
	v_mul_f32_e32 v2, 0x5f7ffffc, v2
	v_mul_f32_e32 v21, 0x2f800000, v2
	v_trunc_f32_e32 v21, v21
	v_fmac_f32_e32 v2, 0xcf800000, v21
	v_cvt_u32_f32_e32 v21, v21
	v_cvt_u32_f32_e32 v2, v2
	v_readfirstlane_b32 s0, v21
	v_readfirstlane_b32 s1, v2
	s_mul_i32 s79, s5, s0
	v_xor_b32_e32 v2, v22, v23
	s_mul_hi_u32 s81, s5, s1
	s_mul_i32 s80, s78, s1
	s_add_i32 s79, s81, s79
	s_mul_i32 s82, s5, s1
	s_add_i32 s79, s79, s80
	s_mul_hi_u32 s81, s1, s82
	s_mul_i32 s96, s1, s79
	s_mul_hi_u32 s83, s0, s82
	s_mul_i32 s80, s0, s82
	s_mul_hi_u32 s82, s1, s79
	s_add_u32 s81, s81, s96
	s_addc_u32 s82, 0, s82
	s_mul_hi_u32 s97, s0, s79
	s_add_u32 s80, s81, s80
	s_mul_i32 s79, s0, s79
	s_addc_u32 s80, s82, s83
	s_addc_u32 s81, s97, 0
	s_add_u32 s79, s80, s79
	s_addc_u32 s80, 0, s81
	s_add_u32 s1, s1, s79
	s_cselect_b32 s79, -1, 0
	s_mul_hi_u32 s81, s5, s1
	s_cmp_lg_u32 s79, 0
	s_mul_i32 s79, s5, s1
	s_addc_u32 s0, s0, s80
	s_mul_i32 s78, s78, s1
	s_mul_i32 s5, s5, s0
	s_mul_hi_u32 s80, s1, s79
	s_add_i32 s5, s81, s5
	s_mul_hi_u32 s81, s0, s79
	s_add_i32 s5, s5, s78
	s_mul_i32 s78, s0, s79
	s_mul_i32 s83, s1, s5
	s_mul_hi_u32 s82, s1, s5
	s_add_u32 s80, s80, s83
	s_addc_u32 s82, 0, s82
	s_mul_hi_u32 s79, s0, s5
	s_add_u32 s78, s80, s78
	s_mul_i32 s5, s0, s5
	s_addc_u32 s78, s82, s81
	s_addc_u32 s79, s79, 0
	s_add_u32 s5, s78, s5
	s_addc_u32 s78, 0, s79
	s_add_u32 s1, s1, s5
	s_cselect_b32 s5, -1, 0
	v_mul_hi_u32 v26, v2, s1
	s_cmp_lg_u32 s5, 0
	s_addc_u32 s5, s0, s78
	v_mad_u64_u32 v[21:22], null, v2, s5, 0
	v_add_co_u32 v26, s0, v26, v21
	v_add_co_ci_u32_e64 v21, null, v24, v23, vcc_lo
	v_add_co_ci_u32_e64 v35, null, 0, v22, s0
	v_xor_b32_e32 v24, v21, v23
	v_mad_u64_u32 v[21:22], null, v24, s1, 0
	v_add_co_u32 v21, vcc_lo, v26, v21
	v_add_co_ci_u32_e32 v26, vcc_lo, v35, v22, vcc_lo
	v_mad_u64_u32 v[21:22], null, v24, s5, 0
	v_add_co_u32 v26, s0, v26, v21
	v_add_co_ci_u32_e32 v21, vcc_lo, 0, v22, vcc_lo
	v_mul_lo_u32 v36, s3, v26
	v_add_co_ci_u32_e64 v35, null, 0, v21, s0
	v_mad_u64_u32 v[21:22], null, s2, v26, 0
	v_mul_lo_u32 v37, s2, v35
	v_sub_co_u32 v2, vcc_lo, v2, v21
	v_add3_u32 v22, v22, v37, v36
	v_cmp_le_u32_e64 s0, s2, v2
	v_sub_co_u32 v2, s1, v2, s2
	v_sub_nc_u32_e32 v21, v24, v22
	v_sub_co_ci_u32_e64 v22, null, v24, v22, vcc_lo
	v_cmp_le_u32_e64 s2, s2, v2
	v_subrev_co_ci_u32_e64 v2, null, s3, v21, vcc_lo
	v_cmp_le_u32_e32 vcc_lo, s3, v22
	v_cndmask_b32_e64 v21, 0, -1, s0
	v_subrev_co_ci_u32_e64 v2, null, 0, v2, s1
	v_cmp_eq_u32_e64 s1, s3, v22
	v_cmp_le_u32_e64 s0, s3, v2
	v_cmp_eq_u32_e64 s3, s3, v2
	v_cndmask_b32_e64 v2, 0, -1, vcc_lo
	v_cndmask_b32_e64 v22, 0, -1, s0
	v_cndmask_b32_e64 v2, v2, v21, s1
	v_cndmask_b32_e64 v21, 0, -1, s2
	v_cmp_ne_u32_e32 vcc_lo, 0, v2
	v_cndmask_b32_e64 v21, v22, v21, s3
	v_add_co_u32 v2, s0, v26, 2
	v_cmp_ne_u32_e64 s1, 0, v21
	v_add_co_u32 v21, s2, v26, 1
	v_add_co_ci_u32_e64 v22, null, 0, v35, s2
	v_cndmask_b32_e64 v2, v21, v2, s1
	v_add_co_ci_u32_e64 v21, null, 0, v35, s0
	v_cndmask_b32_e32 v2, v26, v2, vcc_lo
	v_cndmask_b32_e64 v21, v22, v21, s1
	v_xor_b32_e32 v22, s4, v23
                                        ; implicit-def: $vgpr26
	v_cndmask_b32_e32 v21, v35, v21, vcc_lo
	v_xor_b32_e32 v2, v2, v22
	v_xor_b32_e32 v23, v21, v22
	v_sub_co_u32 v21, vcc_lo, v2, v22
	v_sub_co_ci_u32_e64 v22, null, v23, v22, vcc_lo
.LBB19_26:                              ;   in Loop: Header=BB19_4 Depth=1
	s_or_saveexec_b32 s0, s77
	v_cvt_f32_u32_e32 v35, s94
	s_xor_b32 exec_lo, exec_lo, s0
	s_cbranch_execz .LBB19_28
; %bb.27:                               ;   in Loop: Header=BB19_4 Depth=1
	v_rcp_iflag_f32_e32 v2, v35
	s_sub_i32 s1, 0, s94
	v_mul_f32_e32 v2, 0x4f7ffffe, v2
	v_cvt_u32_f32_e32 v2, v2
	v_mul_lo_u32 v21, s1, v2
	v_mul_hi_u32 v21, v2, v21
	v_add_nc_u32_e32 v2, v2, v21
	v_mul_hi_u32 v2, v26, v2
	v_mul_lo_u32 v21, v2, s94
	v_sub_nc_u32_e32 v21, v26, v21
	v_cmp_le_u32_e32 vcc_lo, s94, v21
	v_subrev_nc_u32_e32 v22, s94, v21
	v_cndmask_b32_e32 v21, v21, v22, vcc_lo
	v_add_nc_u32_e32 v22, 1, v2
	v_cndmask_b32_e32 v2, v2, v22, vcc_lo
	v_cmp_le_u32_e32 vcc_lo, s94, v21
	v_mov_b32_e32 v22, v1
	v_add_nc_u32_e32 v21, 1, v2
	v_cndmask_b32_e32 v21, v2, v21, vcc_lo
.LBB19_28:                              ;   in Loop: Header=BB19_4 Depth=1
	s_or_b32 exec_lo, exec_lo, s0
	v_or_b32_e32 v2, s95, v28
                                        ; implicit-def: $vgpr23_vgpr24
	s_mov_b32 s0, exec_lo
	v_cmpx_ne_u64_e32 0, v[1:2]
	s_xor_b32 s77, exec_lo, s0
	s_cbranch_execz .LBB19_30
; %bb.29:                               ;   in Loop: Header=BB19_4 Depth=1
	s_ashr_i32 s4, s95, 31
	v_add_co_u32 v24, vcc_lo, v30, v25
	s_add_u32 s0, s94, s4
	s_mov_b32 s5, s4
	s_addc_u32 s1, s95, s4
	s_xor_b64 s[2:3], s[0:1], s[4:5]
	v_cvt_f32_u32_e32 v2, s2
	v_cvt_f32_u32_e32 v23, s3
	s_sub_u32 s5, 0, s2
	s_subb_u32 s78, 0, s3
	v_fmac_f32_e32 v2, 0x4f800000, v23
	v_rcp_f32_e32 v2, v2
	v_mul_f32_e32 v2, 0x5f7ffffc, v2
	v_mul_f32_e32 v23, 0x2f800000, v2
	v_trunc_f32_e32 v23, v23
	v_fmac_f32_e32 v2, 0xcf800000, v23
	v_cvt_u32_f32_e32 v23, v23
	v_cvt_u32_f32_e32 v2, v2
	v_readfirstlane_b32 s0, v23
	v_readfirstlane_b32 s1, v2
	s_mul_i32 s79, s5, s0
	v_xor_b32_e32 v2, v24, v25
	s_mul_hi_u32 s81, s5, s1
	s_mul_i32 s80, s78, s1
	s_add_i32 s79, s81, s79
	s_mul_i32 s82, s5, s1
	s_add_i32 s79, s79, s80
	s_mul_hi_u32 s81, s1, s82
	s_mul_i32 s96, s1, s79
	s_mul_hi_u32 s83, s0, s82
	s_mul_i32 s80, s0, s82
	s_mul_hi_u32 s82, s1, s79
	s_add_u32 s81, s81, s96
	s_addc_u32 s82, 0, s82
	s_mul_hi_u32 s97, s0, s79
	s_add_u32 s80, s81, s80
	s_mul_i32 s79, s0, s79
	s_addc_u32 s80, s82, s83
	s_addc_u32 s81, s97, 0
	s_add_u32 s79, s80, s79
	s_addc_u32 s80, 0, s81
	s_add_u32 s1, s1, s79
	s_cselect_b32 s79, -1, 0
	s_mul_hi_u32 s81, s5, s1
	s_cmp_lg_u32 s79, 0
	s_mul_i32 s79, s5, s1
	s_addc_u32 s0, s0, s80
	s_mul_i32 s78, s78, s1
	s_mul_i32 s5, s5, s0
	s_mul_hi_u32 s80, s1, s79
	s_add_i32 s5, s81, s5
	s_mul_hi_u32 s81, s0, s79
	s_add_i32 s5, s5, s78
	s_mul_i32 s78, s0, s79
	s_mul_i32 s83, s1, s5
	s_mul_hi_u32 s82, s1, s5
	s_add_u32 s80, s80, s83
	s_addc_u32 s82, 0, s82
	s_mul_hi_u32 s79, s0, s5
	s_add_u32 s78, s80, s78
	s_mul_i32 s5, s0, s5
	s_addc_u32 s78, s82, s81
	s_addc_u32 s79, s79, 0
	s_add_u32 s5, s78, s5
	s_addc_u32 s78, 0, s79
	s_add_u32 s1, s1, s5
	s_cselect_b32 s5, -1, 0
	v_mul_hi_u32 v26, v2, s1
	s_cmp_lg_u32 s5, 0
	s_addc_u32 s5, s0, s78
	v_mad_u64_u32 v[23:24], null, v2, s5, 0
	v_add_co_u32 v26, s0, v26, v23
	v_add_co_ci_u32_e64 v23, null, v28, v25, vcc_lo
	v_add_co_ci_u32_e64 v30, null, 0, v24, s0
	v_xor_b32_e32 v28, v23, v25
	v_mad_u64_u32 v[23:24], null, v28, s1, 0
	v_add_co_u32 v23, vcc_lo, v26, v23
	v_add_co_ci_u32_e32 v26, vcc_lo, v30, v24, vcc_lo
	v_mad_u64_u32 v[23:24], null, v28, s5, 0
	v_add_co_u32 v26, s0, v26, v23
	v_add_co_ci_u32_e32 v23, vcc_lo, 0, v24, vcc_lo
	v_mul_lo_u32 v36, s3, v26
	v_add_co_ci_u32_e64 v30, null, 0, v23, s0
	v_mad_u64_u32 v[23:24], null, s2, v26, 0
	v_mul_lo_u32 v37, s2, v30
	v_sub_co_u32 v2, vcc_lo, v2, v23
	v_add3_u32 v24, v24, v37, v36
	v_cmp_le_u32_e64 s0, s2, v2
	v_sub_co_u32 v2, s1, v2, s2
	v_sub_nc_u32_e32 v23, v28, v24
	v_sub_co_ci_u32_e64 v24, null, v28, v24, vcc_lo
	v_cmp_le_u32_e64 s2, s2, v2
	v_subrev_co_ci_u32_e64 v2, null, s3, v23, vcc_lo
	v_cmp_le_u32_e32 vcc_lo, s3, v24
	v_cndmask_b32_e64 v23, 0, -1, s0
	v_subrev_co_ci_u32_e64 v2, null, 0, v2, s1
	v_cmp_eq_u32_e64 s1, s3, v24
	v_cmp_le_u32_e64 s0, s3, v2
	v_cmp_eq_u32_e64 s3, s3, v2
	v_cndmask_b32_e64 v2, 0, -1, vcc_lo
	v_cndmask_b32_e64 v24, 0, -1, s0
	v_cndmask_b32_e64 v2, v2, v23, s1
	v_cndmask_b32_e64 v23, 0, -1, s2
	v_cmp_ne_u32_e32 vcc_lo, 0, v2
	v_cndmask_b32_e64 v23, v24, v23, s3
	v_add_co_u32 v2, s0, v26, 2
	v_cmp_ne_u32_e64 s1, 0, v23
	v_add_co_u32 v23, s2, v26, 1
	v_add_co_ci_u32_e64 v24, null, 0, v30, s2
	v_cndmask_b32_e64 v2, v23, v2, s1
	v_add_co_ci_u32_e64 v23, null, 0, v30, s0
	v_cndmask_b32_e32 v2, v26, v2, vcc_lo
	v_cndmask_b32_e64 v23, v24, v23, s1
	v_xor_b32_e32 v24, s4, v25
	v_cndmask_b32_e32 v23, v30, v23, vcc_lo
	v_xor_b32_e32 v2, v2, v24
                                        ; implicit-def: $vgpr30
	v_xor_b32_e32 v25, v23, v24
	v_sub_co_u32 v23, vcc_lo, v2, v24
	v_sub_co_ci_u32_e64 v24, null, v25, v24, vcc_lo
.LBB19_30:                              ;   in Loop: Header=BB19_4 Depth=1
	s_andn2_saveexec_b32 s0, s77
	s_cbranch_execz .LBB19_32
; %bb.31:                               ;   in Loop: Header=BB19_4 Depth=1
	v_rcp_iflag_f32_e32 v2, v35
	s_sub_i32 s1, 0, s94
	v_mul_f32_e32 v2, 0x4f7ffffe, v2
	v_cvt_u32_f32_e32 v2, v2
	v_mul_lo_u32 v23, s1, v2
	v_mul_hi_u32 v23, v2, v23
	v_add_nc_u32_e32 v2, v2, v23
	v_mul_hi_u32 v2, v30, v2
	v_mul_lo_u32 v23, v2, s94
	v_sub_nc_u32_e32 v23, v30, v23
	v_cmp_le_u32_e32 vcc_lo, s94, v23
	v_subrev_nc_u32_e32 v24, s94, v23
	v_cndmask_b32_e32 v23, v23, v24, vcc_lo
	v_add_nc_u32_e32 v24, 1, v2
	v_cndmask_b32_e32 v2, v2, v24, vcc_lo
	v_cmp_le_u32_e32 vcc_lo, s94, v23
	v_mov_b32_e32 v24, v1
	v_add_nc_u32_e32 v23, 1, v2
	v_cndmask_b32_e32 v23, v2, v23, vcc_lo
.LBB19_32:                              ;   in Loop: Header=BB19_4 Depth=1
	s_or_b32 exec_lo, exec_lo, s0
	v_or_b32_e32 v2, s95, v31
                                        ; implicit-def: $vgpr25_vgpr26
	s_mov_b32 s0, exec_lo
	v_cmpx_ne_u64_e32 0, v[1:2]
	s_xor_b32 s77, exec_lo, s0
	s_cbranch_execz .LBB19_34
; %bb.33:                               ;   in Loop: Header=BB19_4 Depth=1
	s_ashr_i32 s4, s95, 31
	v_add_co_u32 v26, vcc_lo, v32, v27
	s_add_u32 s0, s94, s4
	s_mov_b32 s5, s4
	s_addc_u32 s1, s95, s4
	s_xor_b64 s[2:3], s[0:1], s[4:5]
	v_cvt_f32_u32_e32 v2, s2
	v_cvt_f32_u32_e32 v25, s3
	s_sub_u32 s5, 0, s2
	s_subb_u32 s78, 0, s3
	v_fmac_f32_e32 v2, 0x4f800000, v25
	v_rcp_f32_e32 v2, v2
	v_mul_f32_e32 v2, 0x5f7ffffc, v2
	v_mul_f32_e32 v25, 0x2f800000, v2
	v_trunc_f32_e32 v25, v25
	v_fmac_f32_e32 v2, 0xcf800000, v25
	v_cvt_u32_f32_e32 v25, v25
	v_cvt_u32_f32_e32 v2, v2
	v_readfirstlane_b32 s0, v25
	v_readfirstlane_b32 s1, v2
	s_mul_i32 s79, s5, s0
	v_xor_b32_e32 v2, v26, v27
	s_mul_hi_u32 s81, s5, s1
	s_mul_i32 s80, s78, s1
	s_add_i32 s79, s81, s79
	s_mul_i32 s82, s5, s1
	s_add_i32 s79, s79, s80
	s_mul_hi_u32 s81, s1, s82
	s_mul_i32 s96, s1, s79
	s_mul_hi_u32 s83, s0, s82
	s_mul_i32 s80, s0, s82
	s_mul_hi_u32 s82, s1, s79
	s_add_u32 s81, s81, s96
	s_addc_u32 s82, 0, s82
	s_mul_hi_u32 s97, s0, s79
	s_add_u32 s80, s81, s80
	s_mul_i32 s79, s0, s79
	s_addc_u32 s80, s82, s83
	s_addc_u32 s81, s97, 0
	s_add_u32 s79, s80, s79
	s_addc_u32 s80, 0, s81
	s_add_u32 s1, s1, s79
	s_cselect_b32 s79, -1, 0
	s_mul_hi_u32 s81, s5, s1
	s_cmp_lg_u32 s79, 0
	s_mul_i32 s79, s5, s1
	s_addc_u32 s0, s0, s80
	s_mul_i32 s78, s78, s1
	s_mul_i32 s5, s5, s0
	s_mul_hi_u32 s80, s1, s79
	s_add_i32 s5, s81, s5
	s_mul_hi_u32 s81, s0, s79
	s_add_i32 s5, s5, s78
	s_mul_i32 s78, s0, s79
	s_mul_i32 s83, s1, s5
	s_mul_hi_u32 s82, s1, s5
	s_add_u32 s80, s80, s83
	s_addc_u32 s82, 0, s82
	s_mul_hi_u32 s79, s0, s5
	s_add_u32 s78, s80, s78
	s_mul_i32 s5, s0, s5
	s_addc_u32 s78, s82, s81
	s_addc_u32 s79, s79, 0
	s_add_u32 s5, s78, s5
	s_addc_u32 s78, 0, s79
	s_add_u32 s1, s1, s5
	s_cselect_b32 s5, -1, 0
	v_mul_hi_u32 v28, v2, s1
	s_cmp_lg_u32 s5, 0
	s_addc_u32 s5, s0, s78
	v_mad_u64_u32 v[25:26], null, v2, s5, 0
	v_add_co_u32 v28, s0, v28, v25
	v_add_co_ci_u32_e64 v25, null, v31, v27, vcc_lo
	v_add_co_ci_u32_e64 v30, null, 0, v26, s0
	v_xor_b32_e32 v31, v25, v27
	v_mad_u64_u32 v[25:26], null, v31, s1, 0
	v_add_co_u32 v25, vcc_lo, v28, v25
	v_add_co_ci_u32_e32 v28, vcc_lo, v30, v26, vcc_lo
	v_mad_u64_u32 v[25:26], null, v31, s5, 0
	v_add_co_u32 v28, s0, v28, v25
	v_add_co_ci_u32_e32 v25, vcc_lo, 0, v26, vcc_lo
	v_mul_lo_u32 v32, s3, v28
	v_add_co_ci_u32_e64 v30, null, 0, v25, s0
	v_mad_u64_u32 v[25:26], null, s2, v28, 0
	v_mul_lo_u32 v36, s2, v30
	v_sub_co_u32 v2, vcc_lo, v2, v25
	v_add3_u32 v26, v26, v36, v32
                                        ; implicit-def: $vgpr32
	v_cmp_le_u32_e64 s0, s2, v2
	v_sub_co_u32 v2, s1, v2, s2
	v_sub_nc_u32_e32 v25, v31, v26
	v_sub_co_ci_u32_e64 v26, null, v31, v26, vcc_lo
	v_cmp_le_u32_e64 s2, s2, v2
	v_subrev_co_ci_u32_e64 v2, null, s3, v25, vcc_lo
	v_cmp_le_u32_e32 vcc_lo, s3, v26
	v_cndmask_b32_e64 v25, 0, -1, s0
	v_subrev_co_ci_u32_e64 v2, null, 0, v2, s1
	v_cmp_eq_u32_e64 s1, s3, v26
	v_cmp_le_u32_e64 s0, s3, v2
	v_cmp_eq_u32_e64 s3, s3, v2
	v_cndmask_b32_e64 v2, 0, -1, vcc_lo
	v_cndmask_b32_e64 v26, 0, -1, s0
	v_cndmask_b32_e64 v2, v2, v25, s1
	v_cndmask_b32_e64 v25, 0, -1, s2
	v_cmp_ne_u32_e32 vcc_lo, 0, v2
	v_cndmask_b32_e64 v25, v26, v25, s3
	v_add_co_u32 v2, s0, v28, 2
	v_cmp_ne_u32_e64 s1, 0, v25
	v_add_co_u32 v25, s2, v28, 1
	v_add_co_ci_u32_e64 v26, null, 0, v30, s2
	v_cndmask_b32_e64 v2, v25, v2, s1
	v_add_co_ci_u32_e64 v25, null, 0, v30, s0
	v_cndmask_b32_e32 v2, v28, v2, vcc_lo
	v_cndmask_b32_e64 v25, v26, v25, s1
	v_xor_b32_e32 v26, s4, v27
	v_cndmask_b32_e32 v25, v30, v25, vcc_lo
	v_xor_b32_e32 v2, v2, v26
	v_xor_b32_e32 v27, v25, v26
	v_sub_co_u32 v25, vcc_lo, v2, v26
	v_sub_co_ci_u32_e64 v26, null, v27, v26, vcc_lo
.LBB19_34:                              ;   in Loop: Header=BB19_4 Depth=1
	s_andn2_saveexec_b32 s0, s77
	s_cbranch_execz .LBB19_36
; %bb.35:                               ;   in Loop: Header=BB19_4 Depth=1
	v_rcp_iflag_f32_e32 v2, v35
	s_sub_i32 s1, 0, s94
	v_mul_f32_e32 v2, 0x4f7ffffe, v2
	v_cvt_u32_f32_e32 v2, v2
	v_mul_lo_u32 v25, s1, v2
	v_mul_hi_u32 v25, v2, v25
	v_add_nc_u32_e32 v2, v2, v25
	v_mul_hi_u32 v2, v32, v2
	v_mul_lo_u32 v25, v2, s94
	v_sub_nc_u32_e32 v25, v32, v25
	v_cmp_le_u32_e32 vcc_lo, s94, v25
	v_subrev_nc_u32_e32 v26, s94, v25
	v_cndmask_b32_e32 v25, v25, v26, vcc_lo
	v_add_nc_u32_e32 v26, 1, v2
	v_cndmask_b32_e32 v2, v2, v26, vcc_lo
	v_cmp_le_u32_e32 vcc_lo, s94, v25
	v_mov_b32_e32 v26, v1
	v_add_nc_u32_e32 v25, 1, v2
	v_cndmask_b32_e32 v25, v2, v25, vcc_lo
.LBB19_36:                              ;   in Loop: Header=BB19_4 Depth=1
	s_or_b32 exec_lo, exec_lo, s0
	v_or_b32_e32 v2, s95, v33
                                        ; implicit-def: $vgpr27_vgpr28
	s_mov_b32 s0, exec_lo
	v_cmpx_ne_u64_e32 0, v[1:2]
	s_xor_b32 s77, exec_lo, s0
	s_cbranch_execz .LBB19_38
; %bb.37:                               ;   in Loop: Header=BB19_4 Depth=1
	s_ashr_i32 s4, s95, 31
	v_add_co_u32 v28, vcc_lo, v34, v29
	s_add_u32 s0, s94, s4
	s_mov_b32 s5, s4
	s_addc_u32 s1, s95, s4
                                        ; implicit-def: $vgpr35
	s_xor_b64 s[2:3], s[0:1], s[4:5]
	v_cvt_f32_u32_e32 v2, s2
	v_cvt_f32_u32_e32 v27, s3
	s_sub_u32 s5, 0, s2
	s_subb_u32 s78, 0, s3
	v_fmac_f32_e32 v2, 0x4f800000, v27
	v_rcp_f32_e32 v2, v2
	v_mul_f32_e32 v2, 0x5f7ffffc, v2
	v_mul_f32_e32 v27, 0x2f800000, v2
	v_trunc_f32_e32 v27, v27
	v_fmac_f32_e32 v2, 0xcf800000, v27
	v_cvt_u32_f32_e32 v27, v27
	v_cvt_u32_f32_e32 v2, v2
	v_readfirstlane_b32 s0, v27
	v_readfirstlane_b32 s1, v2
	s_mul_i32 s79, s5, s0
	v_xor_b32_e32 v2, v28, v29
	s_mul_hi_u32 s81, s5, s1
	s_mul_i32 s80, s78, s1
	s_add_i32 s79, s81, s79
	s_mul_i32 s82, s5, s1
	s_add_i32 s79, s79, s80
	s_mul_hi_u32 s81, s1, s82
	s_mul_i32 s96, s1, s79
	s_mul_hi_u32 s83, s0, s82
	s_mul_i32 s80, s0, s82
	s_mul_hi_u32 s82, s1, s79
	s_add_u32 s81, s81, s96
	s_addc_u32 s82, 0, s82
	s_mul_hi_u32 s97, s0, s79
	s_add_u32 s80, s81, s80
	s_mul_i32 s79, s0, s79
	s_addc_u32 s80, s82, s83
	s_addc_u32 s81, s97, 0
	s_add_u32 s79, s80, s79
	s_addc_u32 s80, 0, s81
	s_add_u32 s1, s1, s79
	s_cselect_b32 s79, -1, 0
	s_mul_hi_u32 s81, s5, s1
	s_cmp_lg_u32 s79, 0
	s_mul_i32 s79, s5, s1
	s_addc_u32 s0, s0, s80
	s_mul_i32 s78, s78, s1
	s_mul_i32 s5, s5, s0
	s_mul_hi_u32 s80, s1, s79
	s_add_i32 s5, s81, s5
	s_mul_hi_u32 s81, s0, s79
	s_add_i32 s5, s5, s78
	s_mul_i32 s78, s0, s79
	s_mul_i32 s83, s1, s5
	s_mul_hi_u32 s82, s1, s5
	s_add_u32 s80, s80, s83
	s_addc_u32 s82, 0, s82
	s_mul_hi_u32 s79, s0, s5
	s_add_u32 s78, s80, s78
	s_mul_i32 s5, s0, s5
	s_addc_u32 s78, s82, s81
	s_addc_u32 s79, s79, 0
	s_add_u32 s5, s78, s5
	s_addc_u32 s78, 0, s79
	s_add_u32 s1, s1, s5
	s_cselect_b32 s5, -1, 0
	v_mul_hi_u32 v30, v2, s1
	s_cmp_lg_u32 s5, 0
	s_addc_u32 s5, s0, s78
	v_mad_u64_u32 v[27:28], null, v2, s5, 0
	v_add_co_u32 v30, s0, v30, v27
	v_add_co_ci_u32_e64 v27, null, v33, v29, vcc_lo
	v_add_co_ci_u32_e64 v31, null, 0, v28, s0
	v_xor_b32_e32 v32, v27, v29
	v_mad_u64_u32 v[27:28], null, v32, s1, 0
	v_add_co_u32 v27, vcc_lo, v30, v27
	v_add_co_ci_u32_e32 v30, vcc_lo, v31, v28, vcc_lo
	v_mad_u64_u32 v[27:28], null, v32, s5, 0
	v_add_co_u32 v30, s0, v30, v27
	v_add_co_ci_u32_e32 v27, vcc_lo, 0, v28, vcc_lo
	v_mul_lo_u32 v33, s3, v30
	v_add_co_ci_u32_e64 v31, null, 0, v27, s0
	v_mad_u64_u32 v[27:28], null, s2, v30, 0
	v_mul_lo_u32 v34, s2, v31
	v_sub_co_u32 v2, vcc_lo, v2, v27
	v_add3_u32 v28, v28, v34, v33
                                        ; implicit-def: $vgpr34
	v_cmp_le_u32_e64 s0, s2, v2
	v_sub_co_u32 v2, s1, v2, s2
	v_sub_nc_u32_e32 v27, v32, v28
	v_sub_co_ci_u32_e64 v28, null, v32, v28, vcc_lo
	v_cmp_le_u32_e64 s2, s2, v2
	v_subrev_co_ci_u32_e64 v2, null, s3, v27, vcc_lo
	v_cmp_le_u32_e32 vcc_lo, s3, v28
	v_cndmask_b32_e64 v27, 0, -1, s0
	v_subrev_co_ci_u32_e64 v2, null, 0, v2, s1
	v_cmp_eq_u32_e64 s1, s3, v28
	v_cmp_le_u32_e64 s0, s3, v2
	v_cmp_eq_u32_e64 s3, s3, v2
	v_cndmask_b32_e64 v2, 0, -1, vcc_lo
	v_cndmask_b32_e64 v28, 0, -1, s0
	v_cndmask_b32_e64 v2, v2, v27, s1
	v_cndmask_b32_e64 v27, 0, -1, s2
	v_cmp_ne_u32_e32 vcc_lo, 0, v2
	v_cndmask_b32_e64 v27, v28, v27, s3
	v_add_co_u32 v2, s0, v30, 2
	v_cmp_ne_u32_e64 s1, 0, v27
	v_add_co_u32 v27, s2, v30, 1
	v_add_co_ci_u32_e64 v28, null, 0, v31, s2
	v_cndmask_b32_e64 v2, v27, v2, s1
	v_add_co_ci_u32_e64 v27, null, 0, v31, s0
	v_cndmask_b32_e32 v2, v30, v2, vcc_lo
	v_cndmask_b32_e64 v27, v28, v27, s1
	v_xor_b32_e32 v28, s4, v29
	v_cndmask_b32_e32 v27, v31, v27, vcc_lo
	v_xor_b32_e32 v2, v2, v28
	v_xor_b32_e32 v29, v27, v28
	v_sub_co_u32 v27, vcc_lo, v2, v28
	v_sub_co_ci_u32_e64 v28, null, v29, v28, vcc_lo
.LBB19_38:                              ;   in Loop: Header=BB19_4 Depth=1
	s_andn2_saveexec_b32 s0, s77
	s_cbranch_execz .LBB19_40
; %bb.39:                               ;   in Loop: Header=BB19_4 Depth=1
	v_rcp_iflag_f32_e32 v2, v35
	s_sub_i32 s1, 0, s94
	v_mul_f32_e32 v2, 0x4f7ffffe, v2
	v_cvt_u32_f32_e32 v2, v2
	v_mul_lo_u32 v27, s1, v2
	v_mul_hi_u32 v27, v2, v27
	v_add_nc_u32_e32 v2, v2, v27
	v_mul_hi_u32 v2, v34, v2
	v_mul_lo_u32 v27, v2, s94
	v_add_nc_u32_e32 v28, 1, v2
	v_sub_nc_u32_e32 v27, v34, v27
	v_cmp_le_u32_e32 vcc_lo, s94, v27
	v_cndmask_b32_e32 v2, v2, v28, vcc_lo
	v_subrev_nc_u32_e32 v28, s94, v27
	v_cndmask_b32_e32 v27, v27, v28, vcc_lo
	v_add_nc_u32_e32 v28, 1, v2
	v_cmp_le_u32_e32 vcc_lo, s94, v27
	v_cndmask_b32_e32 v27, v2, v28, vcc_lo
	v_mov_b32_e32 v28, v1
.LBB19_40:                              ;   in Loop: Header=BB19_4 Depth=1
	s_or_b32 exec_lo, exec_lo, s0
	v_or_b32_e32 v2, s49, v4
                                        ; implicit-def: $vgpr29_vgpr30
	s_mov_b32 s0, exec_lo
	v_cmpx_ne_u64_e32 0, v[1:2]
	s_xor_b32 s77, exec_lo, s0
	s_cbranch_execz .LBB19_42
; %bb.41:                               ;   in Loop: Header=BB19_4 Depth=1
	s_ashr_i32 s96, s49, 31
	v_ashrrev_i32_e32 v31, 31, v4
	s_add_u32 s0, s48, s96
	s_mov_b32 s97, s96
	s_addc_u32 s1, s49, s96
	s_xor_b64 s[4:5], s[0:1], s[96:97]
	v_cvt_f32_u32_e32 v2, s4
	v_cvt_f32_u32_e32 v29, s5
	s_sub_u32 s2, 0, s4
	s_subb_u32 s3, 0, s5
	v_fmac_f32_e32 v2, 0x4f800000, v29
	v_rcp_f32_e32 v2, v2
	v_mul_f32_e32 v2, 0x5f7ffffc, v2
	v_mul_f32_e32 v29, 0x2f800000, v2
	v_trunc_f32_e32 v29, v29
	v_fmac_f32_e32 v2, 0xcf800000, v29
	v_cvt_u32_f32_e32 v29, v29
	v_cvt_u32_f32_e32 v2, v2
	v_readfirstlane_b32 s0, v29
	v_add_co_u32 v29, vcc_lo, v3, v31
	v_readfirstlane_b32 s1, v2
	s_mul_i32 s78, s2, s0
	v_xor_b32_e32 v2, v29, v31
	s_mul_hi_u32 s80, s2, s1
	s_mul_i32 s79, s3, s1
	s_add_i32 s78, s80, s78
	s_mul_i32 s81, s2, s1
	s_add_i32 s78, s78, s79
	s_mul_hi_u32 s80, s1, s81
	s_mul_i32 s83, s1, s78
	s_mul_hi_u32 s82, s0, s81
	s_mul_i32 s79, s0, s81
	s_mul_hi_u32 s81, s1, s78
	s_add_u32 s80, s80, s83
	s_addc_u32 s81, 0, s81
	s_mul_hi_u32 s97, s0, s78
	s_add_u32 s79, s80, s79
	s_mul_i32 s78, s0, s78
	s_addc_u32 s79, s81, s82
	s_addc_u32 s80, s97, 0
	s_add_u32 s78, s79, s78
	s_addc_u32 s79, 0, s80
	s_add_u32 s1, s1, s78
	s_cselect_b32 s78, -1, 0
	s_mul_hi_u32 s80, s2, s1
	s_cmp_lg_u32 s78, 0
	s_mul_i32 s78, s2, s1
	s_addc_u32 s0, s0, s79
	s_mul_i32 s3, s3, s1
	s_mul_i32 s2, s2, s0
	s_mul_hi_u32 s79, s1, s78
	s_add_i32 s2, s80, s2
	s_mul_hi_u32 s80, s0, s78
	s_add_i32 s2, s2, s3
	s_mul_i32 s3, s0, s78
	s_mul_i32 s82, s1, s2
	s_mul_hi_u32 s81, s1, s2
	s_add_u32 s79, s79, s82
	s_addc_u32 s81, 0, s81
	s_mul_hi_u32 s78, s0, s2
	s_add_u32 s3, s79, s3
	s_mul_i32 s2, s0, s2
	s_addc_u32 s3, s81, s80
	s_addc_u32 s78, s78, 0
	s_add_u32 s2, s3, s2
	s_addc_u32 s3, 0, s78
	s_add_u32 s1, s1, s2
	s_cselect_b32 s2, -1, 0
	v_mul_hi_u32 v32, v2, s1
	s_cmp_lg_u32 s2, 0
	s_addc_u32 s2, s0, s3
	v_mad_u64_u32 v[29:30], null, v2, s2, 0
	v_add_co_u32 v32, s0, v32, v29
	v_add_co_ci_u32_e64 v29, null, v4, v31, vcc_lo
	v_add_co_ci_u32_e64 v33, null, 0, v30, s0
	v_xor_b32_e32 v34, v29, v31
	v_mad_u64_u32 v[29:30], null, v34, s1, 0
	v_add_co_u32 v29, vcc_lo, v32, v29
	v_add_co_ci_u32_e32 v32, vcc_lo, v33, v30, vcc_lo
	v_mad_u64_u32 v[29:30], null, v34, s2, 0
	v_add_co_u32 v32, s0, v32, v29
	v_add_co_ci_u32_e32 v29, vcc_lo, 0, v30, vcc_lo
	v_mul_lo_u32 v35, s5, v32
	v_add_co_ci_u32_e64 v33, null, 0, v29, s0
	v_mad_u64_u32 v[29:30], null, s4, v32, 0
	v_mul_lo_u32 v36, s4, v33
	v_sub_co_u32 v2, vcc_lo, v2, v29
	v_add3_u32 v30, v30, v36, v35
	v_cmp_le_u32_e64 s0, s4, v2
	v_sub_co_u32 v2, s1, v2, s4
	v_sub_nc_u32_e32 v29, v34, v30
	v_sub_co_ci_u32_e64 v30, null, v34, v30, vcc_lo
	v_cmp_le_u32_e64 s2, s4, v2
	v_subrev_co_ci_u32_e64 v2, null, s5, v29, vcc_lo
	v_cmp_le_u32_e64 s3, s5, v30
	v_cmp_eq_u32_e64 s4, s5, v30
	v_subrev_co_ci_u32_e64 v2, null, 0, v2, s1
	v_cndmask_b32_e64 v29, 0, -1, s3
	v_cmp_le_u32_e32 vcc_lo, s5, v2
	v_cmp_eq_u32_e64 s1, s5, v2
	v_cndmask_b32_e64 v2, 0, -1, s0
	v_cndmask_b32_e64 v30, 0, -1, vcc_lo
	v_cndmask_b32_e64 v2, v29, v2, s4
	v_cndmask_b32_e64 v29, 0, -1, s2
	v_cmp_ne_u32_e32 vcc_lo, 0, v2
	v_cndmask_b32_e64 v29, v30, v29, s1
	v_add_co_u32 v2, s1, v32, 2
	v_add_co_ci_u32_e64 v30, null, 0, v33, s1
	v_cmp_ne_u32_e64 s0, 0, v29
	v_add_co_u32 v29, s2, v32, 1
	v_add_co_ci_u32_e64 v34, null, 0, v33, s2
	v_cndmask_b32_e64 v2, v29, v2, s0
	v_cndmask_b32_e64 v30, v34, v30, s0
	v_cndmask_b32_e32 v2, v32, v2, vcc_lo
	v_cndmask_b32_e32 v29, v33, v30, vcc_lo
	v_xor_b32_e32 v30, s96, v31
	v_xor_b32_e32 v2, v2, v30
	;; [unrolled: 1-line block ×3, first 2 shown]
	v_sub_co_u32 v29, vcc_lo, v2, v30
	v_sub_co_ci_u32_e64 v30, null, v31, v30, vcc_lo
.LBB19_42:                              ;   in Loop: Header=BB19_4 Depth=1
	s_andn2_saveexec_b32 s0, s77
	s_cbranch_execz .LBB19_44
; %bb.43:                               ;   in Loop: Header=BB19_4 Depth=1
	v_cvt_f32_u32_e32 v2, s48
	s_sub_i32 s1, 0, s48
	v_rcp_iflag_f32_e32 v2, v2
	v_mul_f32_e32 v2, 0x4f7ffffe, v2
	v_cvt_u32_f32_e32 v2, v2
	v_mul_lo_u32 v29, s1, v2
	v_mul_hi_u32 v29, v2, v29
	v_add_nc_u32_e32 v2, v2, v29
	v_mul_hi_u32 v2, v3, v2
	v_mul_lo_u32 v29, v2, s48
	v_sub_nc_u32_e32 v29, v3, v29
	v_cmp_le_u32_e32 vcc_lo, s48, v29
	v_subrev_nc_u32_e32 v30, s48, v29
	v_cndmask_b32_e32 v29, v29, v30, vcc_lo
	v_add_nc_u32_e32 v30, 1, v2
	v_cndmask_b32_e32 v2, v2, v30, vcc_lo
	v_cmp_le_u32_e32 vcc_lo, s48, v29
	v_mov_b32_e32 v30, v1
	v_add_nc_u32_e32 v29, 1, v2
	v_cndmask_b32_e32 v29, v2, v29, vcc_lo
.LBB19_44:                              ;   in Loop: Header=BB19_4 Depth=1
	s_or_b32 exec_lo, exec_lo, s0
	v_mad_u64_u32 v[31:32], null, s67, v29, v[3:4]
	v_mul_lo_u32 v2, s67, v30
	v_mul_lo_u32 v33, s68, v29
	;; [unrolled: 1-line block ×4, first 2 shown]
	v_mad_u64_u32 v[29:30], null, v29, s20, 0
	s_mov_b32 s0, exec_lo
	v_add3_u32 v2, v33, v32, v2
	v_mul_lo_u32 v33, v31, s23
	v_mad_u64_u32 v[31:32], null, v31, s22, 0
	v_add3_u32 v30, v30, v35, v34
	v_mul_lo_u32 v2, v2, s22
	v_lshlrev_b64 v[29:30], 3, v[29:30]
	v_add3_u32 v32, v32, v33, v2
	v_add_co_u32 v2, vcc_lo, s54, v29
	v_add_co_ci_u32_e64 v30, null, s55, v30, vcc_lo
	v_lshlrev_b64 v[31:32], 3, v[31:32]
	v_add_co_u32 v29, vcc_lo, v2, v31
	v_add_co_ci_u32_e64 v30, null, v30, v32, vcc_lo
	v_or_b32_e32 v2, s53, v4
                                        ; implicit-def: $vgpr31_vgpr32
	global_load_dwordx2 v[29:30], v[29:30], off
	v_cmpx_ne_u64_e32 0, v[1:2]
	s_xor_b32 s77, exec_lo, s0
	s_cbranch_execz .LBB19_46
; %bb.45:                               ;   in Loop: Header=BB19_4 Depth=1
	s_ashr_i32 s96, s53, 31
	v_ashrrev_i32_e32 v33, 31, v4
	s_add_u32 s0, s52, s96
	s_mov_b32 s97, s96
	s_addc_u32 s1, s53, s96
	s_xor_b64 s[4:5], s[0:1], s[96:97]
	v_cvt_f32_u32_e32 v2, s4
	v_cvt_f32_u32_e32 v31, s5
	s_sub_u32 s2, 0, s4
	s_subb_u32 s3, 0, s5
	v_fmac_f32_e32 v2, 0x4f800000, v31
	v_rcp_f32_e32 v2, v2
	v_mul_f32_e32 v2, 0x5f7ffffc, v2
	v_mul_f32_e32 v31, 0x2f800000, v2
	v_trunc_f32_e32 v31, v31
	v_fmac_f32_e32 v2, 0xcf800000, v31
	v_cvt_u32_f32_e32 v31, v31
	v_cvt_u32_f32_e32 v2, v2
	v_readfirstlane_b32 s0, v31
	v_add_co_u32 v31, vcc_lo, v3, v33
	v_readfirstlane_b32 s1, v2
	s_mul_i32 s78, s2, s0
	v_xor_b32_e32 v2, v31, v33
	s_mul_hi_u32 s80, s2, s1
	s_mul_i32 s79, s3, s1
	s_add_i32 s78, s80, s78
	s_mul_i32 s81, s2, s1
	s_add_i32 s78, s78, s79
	s_mul_hi_u32 s80, s1, s81
	s_mul_i32 s83, s1, s78
	s_mul_hi_u32 s82, s0, s81
	s_mul_i32 s79, s0, s81
	s_mul_hi_u32 s81, s1, s78
	s_add_u32 s80, s80, s83
	s_addc_u32 s81, 0, s81
	s_mul_hi_u32 s97, s0, s78
	s_add_u32 s79, s80, s79
	s_mul_i32 s78, s0, s78
	s_addc_u32 s79, s81, s82
	s_addc_u32 s80, s97, 0
	s_add_u32 s78, s79, s78
	s_addc_u32 s79, 0, s80
	s_add_u32 s1, s1, s78
	s_cselect_b32 s78, -1, 0
	s_mul_hi_u32 s80, s2, s1
	s_cmp_lg_u32 s78, 0
	s_mul_i32 s78, s2, s1
	s_addc_u32 s0, s0, s79
	s_mul_i32 s3, s3, s1
	s_mul_i32 s2, s2, s0
	s_mul_hi_u32 s79, s1, s78
	s_add_i32 s2, s80, s2
	s_mul_hi_u32 s80, s0, s78
	s_add_i32 s2, s2, s3
	s_mul_i32 s3, s0, s78
	s_mul_i32 s82, s1, s2
	s_mul_hi_u32 s81, s1, s2
	s_add_u32 s79, s79, s82
	s_addc_u32 s81, 0, s81
	s_mul_hi_u32 s78, s0, s2
	s_add_u32 s3, s79, s3
	s_mul_i32 s2, s0, s2
	s_addc_u32 s3, s81, s80
	s_addc_u32 s78, s78, 0
	s_add_u32 s2, s3, s2
	s_addc_u32 s3, 0, s78
	s_add_u32 s1, s1, s2
	s_cselect_b32 s2, -1, 0
	v_mul_hi_u32 v34, v2, s1
	s_cmp_lg_u32 s2, 0
	s_addc_u32 s2, s0, s3
	v_mad_u64_u32 v[31:32], null, v2, s2, 0
	v_add_co_u32 v34, s0, v34, v31
	v_add_co_ci_u32_e64 v31, null, v4, v33, vcc_lo
	v_add_co_ci_u32_e64 v35, null, 0, v32, s0
	v_xor_b32_e32 v36, v31, v33
	v_mad_u64_u32 v[31:32], null, v36, s1, 0
	v_add_co_u32 v31, vcc_lo, v34, v31
	v_add_co_ci_u32_e32 v34, vcc_lo, v35, v32, vcc_lo
	v_mad_u64_u32 v[31:32], null, v36, s2, 0
	v_add_co_u32 v34, s0, v34, v31
	v_add_co_ci_u32_e32 v31, vcc_lo, 0, v32, vcc_lo
	v_mul_lo_u32 v37, s5, v34
	v_add_co_ci_u32_e64 v35, null, 0, v31, s0
	v_mad_u64_u32 v[31:32], null, s4, v34, 0
	v_mul_lo_u32 v38, s4, v35
	v_sub_co_u32 v2, vcc_lo, v2, v31
	v_add3_u32 v32, v32, v38, v37
	v_cmp_le_u32_e64 s0, s4, v2
	v_sub_co_u32 v2, s1, v2, s4
	v_sub_nc_u32_e32 v31, v36, v32
	v_sub_co_ci_u32_e64 v32, null, v36, v32, vcc_lo
	v_cmp_le_u32_e64 s2, s4, v2
	v_subrev_co_ci_u32_e64 v2, null, s5, v31, vcc_lo
	v_cmp_le_u32_e64 s3, s5, v32
	v_cmp_eq_u32_e64 s4, s5, v32
	v_subrev_co_ci_u32_e64 v2, null, 0, v2, s1
	v_cndmask_b32_e64 v31, 0, -1, s3
	v_cmp_le_u32_e32 vcc_lo, s5, v2
	v_cmp_eq_u32_e64 s1, s5, v2
	v_cndmask_b32_e64 v2, 0, -1, s0
	v_cndmask_b32_e64 v32, 0, -1, vcc_lo
	v_cndmask_b32_e64 v2, v31, v2, s4
	v_cndmask_b32_e64 v31, 0, -1, s2
	v_cmp_ne_u32_e32 vcc_lo, 0, v2
	v_cndmask_b32_e64 v31, v32, v31, s1
	v_add_co_u32 v2, s1, v34, 2
	v_add_co_ci_u32_e64 v32, null, 0, v35, s1
	v_cmp_ne_u32_e64 s0, 0, v31
	v_add_co_u32 v31, s2, v34, 1
	v_add_co_ci_u32_e64 v36, null, 0, v35, s2
	v_cndmask_b32_e64 v2, v31, v2, s0
	v_cndmask_b32_e64 v32, v36, v32, s0
	v_cndmask_b32_e32 v2, v34, v2, vcc_lo
	v_cndmask_b32_e32 v31, v35, v32, vcc_lo
	v_xor_b32_e32 v32, s96, v33
	v_xor_b32_e32 v2, v2, v32
	v_xor_b32_e32 v33, v31, v32
	v_sub_co_u32 v31, vcc_lo, v2, v32
	v_sub_co_ci_u32_e64 v32, null, v33, v32, vcc_lo
.LBB19_46:                              ;   in Loop: Header=BB19_4 Depth=1
	s_andn2_saveexec_b32 s0, s77
	s_cbranch_execz .LBB19_48
; %bb.47:                               ;   in Loop: Header=BB19_4 Depth=1
	v_cvt_f32_u32_e32 v2, s52
	s_sub_i32 s1, 0, s52
	v_rcp_iflag_f32_e32 v2, v2
	v_mul_f32_e32 v2, 0x4f7ffffe, v2
	v_cvt_u32_f32_e32 v2, v2
	v_mul_lo_u32 v31, s1, v2
	v_mul_hi_u32 v31, v2, v31
	v_add_nc_u32_e32 v2, v2, v31
	v_mul_hi_u32 v2, v3, v2
	v_mul_lo_u32 v31, v2, s52
	v_sub_nc_u32_e32 v31, v3, v31
	v_cmp_le_u32_e32 vcc_lo, s52, v31
	v_subrev_nc_u32_e32 v32, s52, v31
	v_cndmask_b32_e32 v31, v31, v32, vcc_lo
	v_add_nc_u32_e32 v32, 1, v2
	v_cndmask_b32_e32 v2, v2, v32, vcc_lo
	v_cmp_le_u32_e32 vcc_lo, s52, v31
	v_mov_b32_e32 v32, v1
	v_add_nc_u32_e32 v31, 1, v2
	v_cndmask_b32_e32 v31, v2, v31, vcc_lo
.LBB19_48:                              ;   in Loop: Header=BB19_4 Depth=1
	s_or_b32 exec_lo, exec_lo, s0
	v_mad_u64_u32 v[33:34], null, s69, v31, v[3:4]
	v_mul_lo_u32 v2, s69, v32
	v_mul_lo_u32 v35, s70, v31
	;; [unrolled: 1-line block ×4, first 2 shown]
	v_mad_u64_u32 v[31:32], null, v31, s24, 0
	s_mov_b32 s0, exec_lo
	v_add3_u32 v2, v35, v34, v2
	v_mul_lo_u32 v35, v33, s27
	v_mad_u64_u32 v[33:34], null, v33, s26, 0
	v_add3_u32 v32, v32, v37, v36
	v_mul_lo_u32 v2, v2, s26
	v_lshlrev_b64 v[31:32], 3, v[31:32]
	v_add3_u32 v34, v34, v35, v2
	v_add_co_u32 v2, vcc_lo, s64, v31
	v_add_co_ci_u32_e64 v32, null, s65, v32, vcc_lo
	v_lshlrev_b64 v[33:34], 3, v[33:34]
	v_add_co_u32 v31, vcc_lo, v2, v33
	v_add_co_ci_u32_e64 v32, null, v32, v34, vcc_lo
	v_or_b32_e32 v2, s57, v4
                                        ; implicit-def: $vgpr33_vgpr34
	global_load_dwordx2 v[31:32], v[31:32], off
	v_cmpx_ne_u64_e32 0, v[1:2]
	s_xor_b32 s77, exec_lo, s0
	s_cbranch_execnz .LBB19_60
; %bb.49:                               ;   in Loop: Header=BB19_4 Depth=1
	s_andn2_saveexec_b32 s0, s77
	s_cbranch_execnz .LBB19_61
.LBB19_50:                              ;   in Loop: Header=BB19_4 Depth=1
	s_or_b32 exec_lo, exec_lo, s0
	s_andn2_b32 vcc_lo, exec_lo, s98
	s_cbranch_vccnz .LBB19_62
.LBB19_51:                              ;   in Loop: Header=BB19_4 Depth=1
	v_or_b32_e32 v2, s61, v4
                                        ; implicit-def: $vgpr35_vgpr36
	s_mov_b32 s0, exec_lo
	v_cmpx_ne_u64_e32 0, v[1:2]
	s_xor_b32 s77, exec_lo, s0
	s_cbranch_execz .LBB19_53
; %bb.52:                               ;   in Loop: Header=BB19_4 Depth=1
	s_ashr_i32 s96, s61, 31
	v_ashrrev_i32_e32 v37, 31, v4
	s_add_u32 s0, s60, s96
	s_mov_b32 s97, s96
	s_addc_u32 s1, s61, s96
	s_xor_b64 s[4:5], s[0:1], s[96:97]
	v_cvt_f32_u32_e32 v2, s4
	v_cvt_f32_u32_e32 v35, s5
	s_sub_u32 s2, 0, s4
	s_subb_u32 s3, 0, s5
	v_fmac_f32_e32 v2, 0x4f800000, v35
	v_rcp_f32_e32 v2, v2
	v_mul_f32_e32 v2, 0x5f7ffffc, v2
	v_mul_f32_e32 v35, 0x2f800000, v2
	v_trunc_f32_e32 v35, v35
	v_fmac_f32_e32 v2, 0xcf800000, v35
	v_cvt_u32_f32_e32 v35, v35
	v_cvt_u32_f32_e32 v2, v2
	v_readfirstlane_b32 s0, v35
	v_add_co_u32 v35, vcc_lo, v3, v37
	v_readfirstlane_b32 s1, v2
	s_mul_i32 s78, s2, s0
	v_xor_b32_e32 v2, v35, v37
	s_mul_hi_u32 s80, s2, s1
	s_mul_i32 s79, s3, s1
	s_add_i32 s78, s80, s78
	s_mul_i32 s81, s2, s1
	s_add_i32 s78, s78, s79
	s_mul_hi_u32 s80, s1, s81
	s_mul_i32 s83, s1, s78
	s_mul_hi_u32 s82, s0, s81
	s_mul_i32 s79, s0, s81
	s_mul_hi_u32 s81, s1, s78
	s_add_u32 s80, s80, s83
	s_addc_u32 s81, 0, s81
	s_mul_hi_u32 s97, s0, s78
	s_add_u32 s79, s80, s79
	s_mul_i32 s78, s0, s78
	s_addc_u32 s79, s81, s82
	s_addc_u32 s80, s97, 0
	s_add_u32 s78, s79, s78
	s_addc_u32 s79, 0, s80
	s_add_u32 s1, s1, s78
	s_cselect_b32 s78, -1, 0
	s_mul_hi_u32 s80, s2, s1
	s_cmp_lg_u32 s78, 0
	s_mul_i32 s78, s2, s1
	s_addc_u32 s0, s0, s79
	s_mul_i32 s3, s3, s1
	s_mul_i32 s2, s2, s0
	s_mul_hi_u32 s79, s1, s78
	s_add_i32 s2, s80, s2
	s_mul_hi_u32 s80, s0, s78
	s_add_i32 s2, s2, s3
	s_mul_i32 s3, s0, s78
	s_mul_i32 s82, s1, s2
	s_mul_hi_u32 s81, s1, s2
	s_add_u32 s79, s79, s82
	s_addc_u32 s81, 0, s81
	s_mul_hi_u32 s78, s0, s2
	s_add_u32 s3, s79, s3
	s_mul_i32 s2, s0, s2
	s_addc_u32 s3, s81, s80
	s_addc_u32 s78, s78, 0
	s_add_u32 s2, s3, s2
	s_addc_u32 s3, 0, s78
	s_add_u32 s1, s1, s2
	s_cselect_b32 s2, -1, 0
	v_mul_hi_u32 v38, v2, s1
	s_cmp_lg_u32 s2, 0
	s_addc_u32 s2, s0, s3
	v_mad_u64_u32 v[35:36], null, v2, s2, 0
	v_add_co_u32 v38, s0, v38, v35
	v_add_co_ci_u32_e64 v35, null, v4, v37, vcc_lo
	v_add_co_ci_u32_e64 v39, null, 0, v36, s0
	v_xor_b32_e32 v40, v35, v37
	v_mad_u64_u32 v[35:36], null, v40, s1, 0
	v_add_co_u32 v35, vcc_lo, v38, v35
	v_add_co_ci_u32_e32 v38, vcc_lo, v39, v36, vcc_lo
	v_mad_u64_u32 v[35:36], null, v40, s2, 0
	v_add_co_u32 v38, s0, v38, v35
	v_add_co_ci_u32_e32 v35, vcc_lo, 0, v36, vcc_lo
	v_mul_lo_u32 v41, s5, v38
	v_add_co_ci_u32_e64 v39, null, 0, v35, s0
	v_mad_u64_u32 v[35:36], null, s4, v38, 0
	v_mul_lo_u32 v42, s4, v39
	v_sub_co_u32 v2, vcc_lo, v2, v35
	v_add3_u32 v36, v36, v42, v41
	v_cmp_le_u32_e64 s0, s4, v2
	v_sub_co_u32 v2, s1, v2, s4
	v_sub_nc_u32_e32 v35, v40, v36
	v_sub_co_ci_u32_e64 v36, null, v40, v36, vcc_lo
	v_cmp_le_u32_e64 s2, s4, v2
	v_subrev_co_ci_u32_e64 v2, null, s5, v35, vcc_lo
	v_cmp_le_u32_e64 s3, s5, v36
	v_cmp_eq_u32_e64 s4, s5, v36
	v_subrev_co_ci_u32_e64 v2, null, 0, v2, s1
	v_cndmask_b32_e64 v35, 0, -1, s3
	v_cmp_le_u32_e32 vcc_lo, s5, v2
	v_cmp_eq_u32_e64 s1, s5, v2
	v_cndmask_b32_e64 v2, 0, -1, s0
	v_cndmask_b32_e64 v36, 0, -1, vcc_lo
	v_cndmask_b32_e64 v2, v35, v2, s4
	v_cndmask_b32_e64 v35, 0, -1, s2
	v_cmp_ne_u32_e32 vcc_lo, 0, v2
	v_cndmask_b32_e64 v35, v36, v35, s1
	v_add_co_u32 v2, s1, v38, 2
	v_add_co_ci_u32_e64 v36, null, 0, v39, s1
	v_cmp_ne_u32_e64 s0, 0, v35
	v_add_co_u32 v35, s2, v38, 1
	v_add_co_ci_u32_e64 v40, null, 0, v39, s2
	v_cndmask_b32_e64 v2, v35, v2, s0
	v_cndmask_b32_e64 v36, v40, v36, s0
	v_cndmask_b32_e32 v2, v38, v2, vcc_lo
	v_cndmask_b32_e32 v35, v39, v36, vcc_lo
	v_xor_b32_e32 v36, s96, v37
	v_xor_b32_e32 v2, v2, v36
	;; [unrolled: 1-line block ×3, first 2 shown]
	v_sub_co_u32 v35, vcc_lo, v2, v36
	v_sub_co_ci_u32_e64 v36, null, v37, v36, vcc_lo
.LBB19_53:                              ;   in Loop: Header=BB19_4 Depth=1
	s_andn2_saveexec_b32 s0, s77
	s_cbranch_execz .LBB19_55
; %bb.54:                               ;   in Loop: Header=BB19_4 Depth=1
	v_cvt_f32_u32_e32 v2, s60
	s_sub_i32 s1, 0, s60
	v_rcp_iflag_f32_e32 v2, v2
	v_mul_f32_e32 v2, 0x4f7ffffe, v2
	v_cvt_u32_f32_e32 v2, v2
	v_mul_lo_u32 v35, s1, v2
	v_mul_hi_u32 v35, v2, v35
	v_add_nc_u32_e32 v2, v2, v35
	v_mul_hi_u32 v2, v3, v2
	v_mul_lo_u32 v35, v2, s60
	v_sub_nc_u32_e32 v35, v3, v35
	v_cmp_le_u32_e32 vcc_lo, s60, v35
	v_subrev_nc_u32_e32 v36, s60, v35
	v_cndmask_b32_e32 v35, v35, v36, vcc_lo
	v_add_nc_u32_e32 v36, 1, v2
	v_cndmask_b32_e32 v2, v2, v36, vcc_lo
	v_cmp_le_u32_e32 vcc_lo, s60, v35
	v_mov_b32_e32 v36, v1
	v_add_nc_u32_e32 v35, 1, v2
	v_cndmask_b32_e32 v35, v2, v35, vcc_lo
.LBB19_55:                              ;   in Loop: Header=BB19_4 Depth=1
	s_or_b32 exec_lo, exec_lo, s0
	v_mad_u64_u32 v[37:38], null, s73, v35, v[3:4]
	v_mul_lo_u32 v2, s73, v36
	v_mul_lo_u32 v39, s74, v35
	;; [unrolled: 1-line block ×4, first 2 shown]
	v_mad_u64_u32 v[35:36], null, v35, s12, 0
	v_add3_u32 v2, v39, v38, v2
	v_mul_lo_u32 v39, v37, s15
	v_mad_u64_u32 v[37:38], null, v37, s14, 0
	v_add3_u32 v36, v36, v41, v40
	v_mul_lo_u32 v2, v2, s14
	v_lshlrev_b64 v[35:36], 3, v[35:36]
	v_add3_u32 v38, v38, v39, v2
	v_add_co_u32 v2, vcc_lo, s6, v35
	v_add_co_ci_u32_e64 v36, null, s7, v36, vcc_lo
	v_lshlrev_b64 v[37:38], 3, v[37:38]
	v_add_co_u32 v35, vcc_lo, v2, v37
	v_add_co_ci_u32_e64 v36, null, v36, v38, vcc_lo
	global_load_dwordx2 v[35:36], v[35:36], off
	s_andn2_b32 vcc_lo, exec_lo, s104
	s_cbranch_vccnz .LBB19_63
.LBB19_56:                              ;   in Loop: Header=BB19_4 Depth=1
	v_or_b32_e32 v2, s63, v4
                                        ; implicit-def: $vgpr37_vgpr38
	s_mov_b32 s0, exec_lo
	v_cmpx_ne_u64_e32 0, v[1:2]
	s_xor_b32 s77, exec_lo, s0
	s_cbranch_execz .LBB19_58
; %bb.57:                               ;   in Loop: Header=BB19_4 Depth=1
	s_ashr_i32 s96, s63, 31
	v_ashrrev_i32_e32 v39, 31, v4
	s_add_u32 s0, s62, s96
	s_mov_b32 s97, s96
	s_addc_u32 s1, s63, s96
	s_xor_b64 s[4:5], s[0:1], s[96:97]
	v_cvt_f32_u32_e32 v2, s4
	v_cvt_f32_u32_e32 v37, s5
	s_sub_u32 s2, 0, s4
	s_subb_u32 s3, 0, s5
	v_fmac_f32_e32 v2, 0x4f800000, v37
	v_rcp_f32_e32 v2, v2
	v_mul_f32_e32 v2, 0x5f7ffffc, v2
	v_mul_f32_e32 v37, 0x2f800000, v2
	v_trunc_f32_e32 v37, v37
	v_fmac_f32_e32 v2, 0xcf800000, v37
	v_cvt_u32_f32_e32 v37, v37
	v_cvt_u32_f32_e32 v2, v2
	v_readfirstlane_b32 s0, v37
	v_add_co_u32 v37, vcc_lo, v3, v39
	v_readfirstlane_b32 s1, v2
	s_mul_i32 s78, s2, s0
	v_xor_b32_e32 v2, v37, v39
	s_mul_hi_u32 s80, s2, s1
	s_mul_i32 s79, s3, s1
	s_add_i32 s78, s80, s78
	s_mul_i32 s81, s2, s1
	s_add_i32 s78, s78, s79
	s_mul_hi_u32 s80, s1, s81
	s_mul_i32 s83, s1, s78
	s_mul_hi_u32 s82, s0, s81
	s_mul_i32 s79, s0, s81
	s_mul_hi_u32 s81, s1, s78
	s_add_u32 s80, s80, s83
	s_addc_u32 s81, 0, s81
	s_mul_hi_u32 s97, s0, s78
	s_add_u32 s79, s80, s79
	s_mul_i32 s78, s0, s78
	s_addc_u32 s79, s81, s82
	s_addc_u32 s80, s97, 0
	s_add_u32 s78, s79, s78
	s_addc_u32 s79, 0, s80
	s_add_u32 s1, s1, s78
	s_cselect_b32 s78, -1, 0
	s_mul_hi_u32 s80, s2, s1
	s_cmp_lg_u32 s78, 0
	s_mul_i32 s78, s2, s1
	s_addc_u32 s0, s0, s79
	s_mul_i32 s3, s3, s1
	s_mul_i32 s2, s2, s0
	s_mul_hi_u32 s79, s1, s78
	s_add_i32 s2, s80, s2
	s_mul_hi_u32 s80, s0, s78
	s_add_i32 s2, s2, s3
	s_mul_i32 s3, s0, s78
	s_mul_i32 s82, s1, s2
	s_mul_hi_u32 s81, s1, s2
	s_add_u32 s79, s79, s82
	s_addc_u32 s81, 0, s81
	s_mul_hi_u32 s78, s0, s2
	s_add_u32 s3, s79, s3
	s_mul_i32 s2, s0, s2
	s_addc_u32 s3, s81, s80
	s_addc_u32 s78, s78, 0
	s_add_u32 s2, s3, s2
	s_addc_u32 s3, 0, s78
	s_add_u32 s1, s1, s2
	s_cselect_b32 s2, -1, 0
	v_mul_hi_u32 v40, v2, s1
	s_cmp_lg_u32 s2, 0
	s_addc_u32 s2, s0, s3
	v_mad_u64_u32 v[37:38], null, v2, s2, 0
	v_add_co_u32 v40, s0, v40, v37
	v_add_co_ci_u32_e64 v37, null, v4, v39, vcc_lo
	v_add_co_ci_u32_e64 v41, null, 0, v38, s0
	v_xor_b32_e32 v42, v37, v39
	v_mad_u64_u32 v[37:38], null, v42, s1, 0
	v_add_co_u32 v37, vcc_lo, v40, v37
	v_add_co_ci_u32_e32 v40, vcc_lo, v41, v38, vcc_lo
	v_mad_u64_u32 v[37:38], null, v42, s2, 0
	v_add_co_u32 v40, s0, v40, v37
	v_add_co_ci_u32_e32 v37, vcc_lo, 0, v38, vcc_lo
	v_mul_lo_u32 v43, s5, v40
	v_add_co_ci_u32_e64 v41, null, 0, v37, s0
	v_mad_u64_u32 v[37:38], null, s4, v40, 0
	v_mul_lo_u32 v44, s4, v41
	v_sub_co_u32 v2, vcc_lo, v2, v37
	v_add3_u32 v38, v38, v44, v43
	v_cmp_le_u32_e64 s0, s4, v2
	v_sub_co_u32 v2, s1, v2, s4
	v_sub_nc_u32_e32 v37, v42, v38
	v_sub_co_ci_u32_e64 v38, null, v42, v38, vcc_lo
	v_cmp_le_u32_e64 s2, s4, v2
	v_subrev_co_ci_u32_e64 v2, null, s5, v37, vcc_lo
	v_cmp_le_u32_e64 s3, s5, v38
	v_cmp_eq_u32_e64 s4, s5, v38
	v_subrev_co_ci_u32_e64 v2, null, 0, v2, s1
	v_cndmask_b32_e64 v37, 0, -1, s3
	v_cmp_le_u32_e32 vcc_lo, s5, v2
	v_cmp_eq_u32_e64 s1, s5, v2
	v_cndmask_b32_e64 v2, 0, -1, s0
	v_cndmask_b32_e64 v38, 0, -1, vcc_lo
	v_cndmask_b32_e64 v2, v37, v2, s4
	v_cndmask_b32_e64 v37, 0, -1, s2
	v_cmp_ne_u32_e32 vcc_lo, 0, v2
	v_cndmask_b32_e64 v37, v38, v37, s1
	v_add_co_u32 v2, s1, v40, 2
	v_add_co_ci_u32_e64 v38, null, 0, v41, s1
	v_cmp_ne_u32_e64 s0, 0, v37
	v_add_co_u32 v37, s2, v40, 1
	v_add_co_ci_u32_e64 v42, null, 0, v41, s2
	v_cndmask_b32_e64 v2, v37, v2, s0
	v_cndmask_b32_e64 v38, v42, v38, s0
	v_cndmask_b32_e32 v2, v40, v2, vcc_lo
	v_cndmask_b32_e32 v37, v41, v38, vcc_lo
	v_xor_b32_e32 v38, s96, v39
	v_xor_b32_e32 v2, v2, v38
	;; [unrolled: 1-line block ×3, first 2 shown]
	v_sub_co_u32 v37, vcc_lo, v2, v38
	v_sub_co_ci_u32_e64 v38, null, v39, v38, vcc_lo
.LBB19_58:                              ;   in Loop: Header=BB19_4 Depth=1
	s_andn2_saveexec_b32 s0, s77
	s_cbranch_execz .LBB19_2
; %bb.59:                               ;   in Loop: Header=BB19_4 Depth=1
	v_cvt_f32_u32_e32 v2, s62
	s_sub_i32 s1, 0, s62
	v_rcp_iflag_f32_e32 v2, v2
	v_mul_f32_e32 v2, 0x4f7ffffe, v2
	v_cvt_u32_f32_e32 v2, v2
	v_mul_lo_u32 v37, s1, v2
	v_mul_hi_u32 v37, v2, v37
	v_add_nc_u32_e32 v2, v2, v37
	v_mul_hi_u32 v2, v3, v2
	v_mul_lo_u32 v37, v2, s62
	v_sub_nc_u32_e32 v37, v3, v37
	v_cmp_le_u32_e32 vcc_lo, s62, v37
	v_subrev_nc_u32_e32 v38, s62, v37
	v_cndmask_b32_e32 v37, v37, v38, vcc_lo
	v_add_nc_u32_e32 v38, 1, v2
	v_cndmask_b32_e32 v2, v2, v38, vcc_lo
	v_cmp_le_u32_e32 vcc_lo, s62, v37
	v_mov_b32_e32 v38, v1
	v_add_nc_u32_e32 v37, 1, v2
	v_cndmask_b32_e32 v37, v2, v37, vcc_lo
	s_branch .LBB19_2
.LBB19_60:                              ;   in Loop: Header=BB19_4 Depth=1
	s_ashr_i32 s96, s57, 31
	v_ashrrev_i32_e32 v35, 31, v4
	s_add_u32 s0, s56, s96
	s_mov_b32 s97, s96
	s_addc_u32 s1, s57, s96
	s_xor_b64 s[4:5], s[0:1], s[96:97]
	v_cvt_f32_u32_e32 v2, s4
	v_cvt_f32_u32_e32 v33, s5
	s_sub_u32 s2, 0, s4
	s_subb_u32 s3, 0, s5
	v_fmac_f32_e32 v2, 0x4f800000, v33
	v_rcp_f32_e32 v2, v2
	v_mul_f32_e32 v2, 0x5f7ffffc, v2
	v_mul_f32_e32 v33, 0x2f800000, v2
	v_trunc_f32_e32 v33, v33
	v_fmac_f32_e32 v2, 0xcf800000, v33
	v_cvt_u32_f32_e32 v33, v33
	v_cvt_u32_f32_e32 v2, v2
	v_readfirstlane_b32 s0, v33
	v_add_co_u32 v33, vcc_lo, v3, v35
	v_readfirstlane_b32 s1, v2
	s_mul_i32 s78, s2, s0
	v_xor_b32_e32 v2, v33, v35
	s_mul_hi_u32 s80, s2, s1
	s_mul_i32 s79, s3, s1
	s_add_i32 s78, s80, s78
	s_mul_i32 s81, s2, s1
	s_add_i32 s78, s78, s79
	s_mul_hi_u32 s80, s1, s81
	s_mul_i32 s83, s1, s78
	s_mul_hi_u32 s82, s0, s81
	s_mul_i32 s79, s0, s81
	s_mul_hi_u32 s81, s1, s78
	s_add_u32 s80, s80, s83
	s_addc_u32 s81, 0, s81
	s_mul_hi_u32 s97, s0, s78
	s_add_u32 s79, s80, s79
	s_mul_i32 s78, s0, s78
	s_addc_u32 s79, s81, s82
	s_addc_u32 s80, s97, 0
	s_add_u32 s78, s79, s78
	s_addc_u32 s79, 0, s80
	s_add_u32 s1, s1, s78
	s_cselect_b32 s78, -1, 0
	s_mul_hi_u32 s80, s2, s1
	s_cmp_lg_u32 s78, 0
	s_mul_i32 s78, s2, s1
	s_addc_u32 s0, s0, s79
	s_mul_i32 s3, s3, s1
	s_mul_i32 s2, s2, s0
	s_mul_hi_u32 s79, s1, s78
	s_add_i32 s2, s80, s2
	s_mul_hi_u32 s80, s0, s78
	s_add_i32 s2, s2, s3
	s_mul_i32 s3, s0, s78
	s_mul_i32 s82, s1, s2
	s_mul_hi_u32 s81, s1, s2
	s_add_u32 s79, s79, s82
	s_addc_u32 s81, 0, s81
	s_mul_hi_u32 s78, s0, s2
	s_add_u32 s3, s79, s3
	s_mul_i32 s2, s0, s2
	s_addc_u32 s3, s81, s80
	s_addc_u32 s78, s78, 0
	s_add_u32 s2, s3, s2
	s_addc_u32 s3, 0, s78
	s_add_u32 s1, s1, s2
	s_cselect_b32 s2, -1, 0
	v_mul_hi_u32 v36, v2, s1
	s_cmp_lg_u32 s2, 0
	s_addc_u32 s2, s0, s3
	v_mad_u64_u32 v[33:34], null, v2, s2, 0
	v_add_co_u32 v36, s0, v36, v33
	v_add_co_ci_u32_e64 v33, null, v4, v35, vcc_lo
	v_add_co_ci_u32_e64 v37, null, 0, v34, s0
	v_xor_b32_e32 v38, v33, v35
	v_mad_u64_u32 v[33:34], null, v38, s1, 0
	v_add_co_u32 v33, vcc_lo, v36, v33
	v_add_co_ci_u32_e32 v36, vcc_lo, v37, v34, vcc_lo
	v_mad_u64_u32 v[33:34], null, v38, s2, 0
	v_add_co_u32 v36, s0, v36, v33
	v_add_co_ci_u32_e32 v33, vcc_lo, 0, v34, vcc_lo
	v_mul_lo_u32 v39, s5, v36
	v_add_co_ci_u32_e64 v37, null, 0, v33, s0
	v_mad_u64_u32 v[33:34], null, s4, v36, 0
	v_mul_lo_u32 v40, s4, v37
	v_sub_co_u32 v2, vcc_lo, v2, v33
	v_add3_u32 v34, v34, v40, v39
	v_cmp_le_u32_e64 s0, s4, v2
	v_sub_co_u32 v2, s1, v2, s4
	v_sub_nc_u32_e32 v33, v38, v34
	v_sub_co_ci_u32_e64 v34, null, v38, v34, vcc_lo
	v_cmp_le_u32_e64 s2, s4, v2
	v_subrev_co_ci_u32_e64 v2, null, s5, v33, vcc_lo
	v_cmp_le_u32_e64 s3, s5, v34
	v_cmp_eq_u32_e64 s4, s5, v34
	v_subrev_co_ci_u32_e64 v2, null, 0, v2, s1
	v_cndmask_b32_e64 v33, 0, -1, s3
	v_cmp_le_u32_e32 vcc_lo, s5, v2
	v_cmp_eq_u32_e64 s1, s5, v2
	v_cndmask_b32_e64 v2, 0, -1, s0
	v_cndmask_b32_e64 v34, 0, -1, vcc_lo
	v_cndmask_b32_e64 v2, v33, v2, s4
	v_cndmask_b32_e64 v33, 0, -1, s2
	v_cmp_ne_u32_e32 vcc_lo, 0, v2
	v_cndmask_b32_e64 v33, v34, v33, s1
	v_add_co_u32 v2, s1, v36, 2
	v_add_co_ci_u32_e64 v34, null, 0, v37, s1
	v_cmp_ne_u32_e64 s0, 0, v33
	v_add_co_u32 v33, s2, v36, 1
	v_add_co_ci_u32_e64 v38, null, 0, v37, s2
	v_cndmask_b32_e64 v2, v33, v2, s0
	v_cndmask_b32_e64 v34, v38, v34, s0
	v_cndmask_b32_e32 v2, v36, v2, vcc_lo
	v_cndmask_b32_e32 v33, v37, v34, vcc_lo
	v_xor_b32_e32 v34, s96, v35
	v_xor_b32_e32 v2, v2, v34
	;; [unrolled: 1-line block ×3, first 2 shown]
	v_sub_co_u32 v33, vcc_lo, v2, v34
	v_sub_co_ci_u32_e64 v34, null, v35, v34, vcc_lo
	s_andn2_saveexec_b32 s0, s77
	s_cbranch_execz .LBB19_50
.LBB19_61:                              ;   in Loop: Header=BB19_4 Depth=1
	v_cvt_f32_u32_e32 v2, s56
	s_sub_i32 s1, 0, s56
	v_rcp_iflag_f32_e32 v2, v2
	v_mul_f32_e32 v2, 0x4f7ffffe, v2
	v_cvt_u32_f32_e32 v2, v2
	v_mul_lo_u32 v33, s1, v2
	v_mul_hi_u32 v33, v2, v33
	v_add_nc_u32_e32 v2, v2, v33
	v_mul_hi_u32 v2, v3, v2
	v_mul_lo_u32 v33, v2, s56
	v_sub_nc_u32_e32 v33, v3, v33
	v_cmp_le_u32_e32 vcc_lo, s56, v33
	v_subrev_nc_u32_e32 v34, s56, v33
	v_cndmask_b32_e32 v33, v33, v34, vcc_lo
	v_add_nc_u32_e32 v34, 1, v2
	v_cndmask_b32_e32 v2, v2, v34, vcc_lo
	v_cmp_le_u32_e32 vcc_lo, s56, v33
	v_mov_b32_e32 v34, v1
	v_add_nc_u32_e32 v33, 1, v2
	v_cndmask_b32_e32 v33, v2, v33, vcc_lo
	s_or_b32 exec_lo, exec_lo, s0
	s_andn2_b32 vcc_lo, exec_lo, s98
	s_cbranch_vccz .LBB19_51
.LBB19_62:                              ;   in Loop: Header=BB19_4 Depth=1
	v_mov_b32_e32 v35, 0
	v_mov_b32_e32 v36, 0
	s_andn2_b32 vcc_lo, exec_lo, s104
	s_cbranch_vccz .LBB19_56
.LBB19_63:                              ;   in Loop: Header=BB19_4 Depth=1
	v_mov_b32_e32 v37, 0
	v_mov_b32_e32 v38, 0
	s_branch .LBB19_3
.LBB19_64:
	s_endpgm
	.section	.rodata,"a",@progbits
	.p2align	6, 0x0
	.amdhsa_kernel _ZN2at6native12_GLOBAL__N_16kernel18lstm_cell_backwardIddlLi2EEEvNS_4cuda6detail10TensorInfoIT_T1_EES9_S9_S9_S9_S9_S9_S8_S8_
		.amdhsa_group_segment_fixed_size 0
		.amdhsa_private_segment_fixed_size 0
		.amdhsa_kernarg_size 3184
		.amdhsa_user_sgpr_count 6
		.amdhsa_user_sgpr_private_segment_buffer 1
		.amdhsa_user_sgpr_dispatch_ptr 0
		.amdhsa_user_sgpr_queue_ptr 0
		.amdhsa_user_sgpr_kernarg_segment_ptr 1
		.amdhsa_user_sgpr_dispatch_id 0
		.amdhsa_user_sgpr_flat_scratch_init 0
		.amdhsa_user_sgpr_private_segment_size 0
		.amdhsa_wavefront_size32 1
		.amdhsa_uses_dynamic_stack 0
		.amdhsa_system_sgpr_private_segment_wavefront_offset 0
		.amdhsa_system_sgpr_workgroup_id_x 1
		.amdhsa_system_sgpr_workgroup_id_y 0
		.amdhsa_system_sgpr_workgroup_id_z 0
		.amdhsa_system_sgpr_workgroup_info 0
		.amdhsa_system_vgpr_workitem_id 0
		.amdhsa_next_free_vgpr 59
		.amdhsa_next_free_sgpr 105
		.amdhsa_reserve_vcc 1
		.amdhsa_reserve_flat_scratch 0
		.amdhsa_float_round_mode_32 0
		.amdhsa_float_round_mode_16_64 0
		.amdhsa_float_denorm_mode_32 3
		.amdhsa_float_denorm_mode_16_64 3
		.amdhsa_dx10_clamp 1
		.amdhsa_ieee_mode 1
		.amdhsa_fp16_overflow 0
		.amdhsa_workgroup_processor_mode 1
		.amdhsa_memory_ordered 1
		.amdhsa_forward_progress 1
		.amdhsa_shared_vgpr_count 0
		.amdhsa_exception_fp_ieee_invalid_op 0
		.amdhsa_exception_fp_denorm_src 0
		.amdhsa_exception_fp_ieee_div_zero 0
		.amdhsa_exception_fp_ieee_overflow 0
		.amdhsa_exception_fp_ieee_underflow 0
		.amdhsa_exception_fp_ieee_inexact 0
		.amdhsa_exception_int_div_zero 0
	.end_amdhsa_kernel
	.section	.text._ZN2at6native12_GLOBAL__N_16kernel18lstm_cell_backwardIddlLi2EEEvNS_4cuda6detail10TensorInfoIT_T1_EES9_S9_S9_S9_S9_S9_S8_S8_,"axG",@progbits,_ZN2at6native12_GLOBAL__N_16kernel18lstm_cell_backwardIddlLi2EEEvNS_4cuda6detail10TensorInfoIT_T1_EES9_S9_S9_S9_S9_S9_S8_S8_,comdat
.Lfunc_end19:
	.size	_ZN2at6native12_GLOBAL__N_16kernel18lstm_cell_backwardIddlLi2EEEvNS_4cuda6detail10TensorInfoIT_T1_EES9_S9_S9_S9_S9_S9_S8_S8_, .Lfunc_end19-_ZN2at6native12_GLOBAL__N_16kernel18lstm_cell_backwardIddlLi2EEEvNS_4cuda6detail10TensorInfoIT_T1_EES9_S9_S9_S9_S9_S9_S8_S8_
                                        ; -- End function
	.set _ZN2at6native12_GLOBAL__N_16kernel18lstm_cell_backwardIddlLi2EEEvNS_4cuda6detail10TensorInfoIT_T1_EES9_S9_S9_S9_S9_S9_S8_S8_.num_vgpr, 59
	.set _ZN2at6native12_GLOBAL__N_16kernel18lstm_cell_backwardIddlLi2EEEvNS_4cuda6detail10TensorInfoIT_T1_EES9_S9_S9_S9_S9_S9_S8_S8_.num_agpr, 0
	.set _ZN2at6native12_GLOBAL__N_16kernel18lstm_cell_backwardIddlLi2EEEvNS_4cuda6detail10TensorInfoIT_T1_EES9_S9_S9_S9_S9_S9_S8_S8_.numbered_sgpr, 105
	.set _ZN2at6native12_GLOBAL__N_16kernel18lstm_cell_backwardIddlLi2EEEvNS_4cuda6detail10TensorInfoIT_T1_EES9_S9_S9_S9_S9_S9_S8_S8_.num_named_barrier, 0
	.set _ZN2at6native12_GLOBAL__N_16kernel18lstm_cell_backwardIddlLi2EEEvNS_4cuda6detail10TensorInfoIT_T1_EES9_S9_S9_S9_S9_S9_S8_S8_.private_seg_size, 0
	.set _ZN2at6native12_GLOBAL__N_16kernel18lstm_cell_backwardIddlLi2EEEvNS_4cuda6detail10TensorInfoIT_T1_EES9_S9_S9_S9_S9_S9_S8_S8_.uses_vcc, 1
	.set _ZN2at6native12_GLOBAL__N_16kernel18lstm_cell_backwardIddlLi2EEEvNS_4cuda6detail10TensorInfoIT_T1_EES9_S9_S9_S9_S9_S9_S8_S8_.uses_flat_scratch, 0
	.set _ZN2at6native12_GLOBAL__N_16kernel18lstm_cell_backwardIddlLi2EEEvNS_4cuda6detail10TensorInfoIT_T1_EES9_S9_S9_S9_S9_S9_S8_S8_.has_dyn_sized_stack, 0
	.set _ZN2at6native12_GLOBAL__N_16kernel18lstm_cell_backwardIddlLi2EEEvNS_4cuda6detail10TensorInfoIT_T1_EES9_S9_S9_S9_S9_S9_S8_S8_.has_recursion, 0
	.set _ZN2at6native12_GLOBAL__N_16kernel18lstm_cell_backwardIddlLi2EEEvNS_4cuda6detail10TensorInfoIT_T1_EES9_S9_S9_S9_S9_S9_S8_S8_.has_indirect_call, 0
	.section	.AMDGPU.csdata,"",@progbits
; Kernel info:
; codeLenInByte = 15448
; TotalNumSgprs: 107
; NumVgprs: 59
; ScratchSize: 0
; MemoryBound: 0
; FloatMode: 240
; IeeeMode: 1
; LDSByteSize: 0 bytes/workgroup (compile time only)
; SGPRBlocks: 0
; VGPRBlocks: 7
; NumSGPRsForWavesPerEU: 107
; NumVGPRsForWavesPerEU: 59
; Occupancy: 16
; WaveLimiterHint : 1
; COMPUTE_PGM_RSRC2:SCRATCH_EN: 0
; COMPUTE_PGM_RSRC2:USER_SGPR: 6
; COMPUTE_PGM_RSRC2:TRAP_HANDLER: 0
; COMPUTE_PGM_RSRC2:TGID_X_EN: 1
; COMPUTE_PGM_RSRC2:TGID_Y_EN: 0
; COMPUTE_PGM_RSRC2:TGID_Z_EN: 0
; COMPUTE_PGM_RSRC2:TIDIG_COMP_CNT: 0
	.section	.text._ZN2at6native12_GLOBAL__N_16kernel18lstm_cell_backwardIffiLi1EEEvNS_4cuda6detail10TensorInfoIT_T1_EES9_S9_S9_S9_S9_S9_S8_S8_,"axG",@progbits,_ZN2at6native12_GLOBAL__N_16kernel18lstm_cell_backwardIffiLi1EEEvNS_4cuda6detail10TensorInfoIT_T1_EES9_S9_S9_S9_S9_S9_S8_S8_,comdat
	.globl	_ZN2at6native12_GLOBAL__N_16kernel18lstm_cell_backwardIffiLi1EEEvNS_4cuda6detail10TensorInfoIT_T1_EES9_S9_S9_S9_S9_S9_S8_S8_ ; -- Begin function _ZN2at6native12_GLOBAL__N_16kernel18lstm_cell_backwardIffiLi1EEEvNS_4cuda6detail10TensorInfoIT_T1_EES9_S9_S9_S9_S9_S9_S8_S8_
	.p2align	8
	.type	_ZN2at6native12_GLOBAL__N_16kernel18lstm_cell_backwardIffiLi1EEEvNS_4cuda6detail10TensorInfoIT_T1_EES9_S9_S9_S9_S9_S9_S8_S8_,@function
_ZN2at6native12_GLOBAL__N_16kernel18lstm_cell_backwardIffiLi1EEEvNS_4cuda6detail10TensorInfoIT_T1_EES9_S9_S9_S9_S9_S9_S8_S8_: ; @_ZN2at6native12_GLOBAL__N_16kernel18lstm_cell_backwardIffiLi1EEEvNS_4cuda6detail10TensorInfoIT_T1_EES9_S9_S9_S9_S9_S9_S8_S8_
; %bb.0:
	s_clause 0x1
	s_load_dword s2, s[4:5], 0x5fc
	s_load_dwordx2 s[0:1], s[4:5], 0x5e8
	s_add_u32 s8, s4, 0x5f0
	s_addc_u32 s9, s5, 0
	s_waitcnt lgkmcnt(0)
	s_and_b32 s23, s2, 0xffff
	s_mov_b32 s2, exec_lo
	v_mad_u64_u32 v[0:1], null, s6, s23, v[0:1]
	v_cmpx_gt_i32_e64 s1, v0
	s_cbranch_execz .LBB20_11
; %bb.1:
	s_clause 0x3
	s_load_dwordx2 s[2:3], s[4:5], 0x360
	s_load_dwordx2 s[6:7], s[4:5], 0x438
	s_load_dword s28, s[4:5], 0x3cc
	s_load_dword s29, s[4:5], 0x4a4
	;; [unrolled: 1-line block ×3, first 2 shown]
	s_clause 0x5
	s_load_dword s25, s[4:5], 0x21c
	s_load_dword s26, s[4:5], 0x2f4
	;; [unrolled: 1-line block ×3, first 2 shown]
	s_load_dwordx2 s[12:13], s[4:5], 0x510
	s_load_dwordx2 s[8:9], s[4:5], 0x1b0
	;; [unrolled: 1-line block ×3, first 2 shown]
	s_mul_i32 s22, s0, 3
	s_mov_b32 s30, 0xbbbac73d
	s_waitcnt lgkmcnt(0)
	s_cmp_lg_u64 s[2:3], 0
	s_mul_i32 s23, s24, s23
	s_cselect_b32 s18, -1, 0
	s_cmp_lg_u64 s[6:7], 0
	v_mul_lo_u32 v3, v0, s26
	s_cselect_b32 s19, -1, 0
	s_abs_i32 s20, s0
	v_mul_lo_u32 v5, v0, s27
	v_cvt_f32_u32_e32 v1, s20
	s_sub_i32 s14, 0, s20
	v_mul_lo_u32 v7, v0, s28
	v_mul_lo_u32 v9, v0, s29
	s_mul_i32 s24, s23, s25
	v_rcp_iflag_f32_e32 v1, v1
	s_mul_i32 s28, s23, s28
	s_mul_i32 s29, s23, s29
	v_mul_f32_e32 v1, 0x4f7ffffe, v1
	v_cvt_u32_f32_e32 v2, v1
	v_mul_lo_u32 v1, v0, s25
	s_mul_i32 s25, s23, s26
	s_mul_i32 s26, s23, s27
	s_ashr_i32 s27, s0, 31
	v_mul_lo_u32 v4, s14, v2
	s_clause 0x3
	s_load_dwordx2 s[14:15], s[4:5], 0x0
	s_load_dword s21, s[4:5], 0x6c
	s_load_dwordx2 s[16:17], s[4:5], 0xd8
	s_load_dword s4, s[4:5], 0x144
	s_mov_b32 s5, 0
	v_mul_hi_u32 v4, v2, v4
	v_add_nc_u32_e32 v16, v2, v4
	s_branch .LBB20_3
.LBB20_2:                               ;   in Loop: Header=BB20_3 Depth=1
	s_or_b32 exec_lo, exec_lo, s31
	v_mul_lo_u32 v11, v11, s4
	v_mul_lo_u32 v20, v6, s4
	;; [unrolled: 1-line block ×4, first 2 shown]
	v_ashrrev_i32_e32 v6, 31, v5
	v_bfi_b32 v14, 0x7fffffff, v19, v18
	v_sub_f32_e32 v27, 1.0, v4
	v_add_nc_u32_e32 v0, s23, v0
	v_ashrrev_i32_e32 v12, 31, v11
	v_ashrrev_i32_e32 v21, 31, v20
	;; [unrolled: 1-line block ×3, first 2 shown]
	v_fma_f32 v26, -v14, v14, 1.0
	v_ashrrev_i32_e32 v25, 31, v24
	v_lshlrev_b64 v[11:12], 2, v[11:12]
	v_lshlrev_b64 v[20:21], 2, v[20:21]
	;; [unrolled: 1-line block ×3, first 2 shown]
	v_add_nc_u32_e32 v1, s24, v1
	v_lshlrev_b64 v[24:25], 2, v[24:25]
	v_add_nc_u32_e32 v3, s25, v3
	v_add_co_u32 v11, vcc_lo, s16, v11
	v_add_co_ci_u32_e64 v12, null, s17, v12, vcc_lo
	v_add_co_u32 v20, vcc_lo, s16, v20
	v_add_co_ci_u32_e64 v21, null, s17, v21, vcc_lo
	;; [unrolled: 2-line block ×3, first 2 shown]
	v_lshlrev_b64 v[22:23], 2, v[5:6]
	v_mul_f32_e32 v6, v13, v8
	v_mul_f32_e32 v8, v8, v14
	v_sub_f32_e32 v14, 1.0, v13
	v_add_co_u32 v24, vcc_lo, s16, v24
	s_waitcnt vmcnt(0)
	v_fmac_f32_e32 v10, v6, v26
	v_sub_f32_e32 v26, 1.0, v2
	v_mul_f32_e32 v8, v14, v8
	v_add_co_ci_u32_e64 v25, null, s17, v25, vcc_lo
	v_mul_f32_e32 v6, v15, v10
	v_mul_f32_e32 v17, v17, v10
	v_mul_f32_e32 v28, v2, v10
	v_fma_f32 v15, -v15, v15, 1.0
	v_add_co_u32 v22, vcc_lo, s12, v22
	v_mul_f32_e32 v6, v26, v6
	v_mul_f32_e32 v17, v27, v17
	v_add_co_ci_u32_e64 v23, null, s13, v23, vcc_lo
	v_cmp_le_i32_e32 vcc_lo, s1, v0
	v_mul_f32_e32 v2, v2, v6
	v_mul_f32_e32 v6, v15, v28
	;; [unrolled: 1-line block ×3, first 2 shown]
	v_add_nc_u32_e32 v5, s26, v5
	v_add_nc_u32_e32 v7, s28, v7
	;; [unrolled: 1-line block ×3, first 2 shown]
	v_mul_f32_e32 v10, v4, v10
	v_mul_f32_e32 v4, v4, v17
	s_or_b32 s5, vcc_lo, s5
	global_store_dword v[11:12], v2, off
	global_store_dword v[20:21], v4, off
	;; [unrolled: 1-line block ×5, first 2 shown]
	s_andn2_b32 exec_lo, exec_lo, s5
	s_cbranch_execz .LBB20_11
.LBB20_3:                               ; =>This Inner Loop Header: Depth=1
	v_sub_nc_u32_e32 v2, 0, v0
	v_max_i32_e32 v2, v0, v2
	v_mul_hi_u32 v4, v2, v16
	v_mul_lo_u32 v6, v4, s20
	v_sub_nc_u32_e32 v2, v2, v6
	v_add_nc_u32_e32 v6, 1, v4
	v_subrev_nc_u32_e32 v8, s20, v2
	v_cmp_le_u32_e32 vcc_lo, s20, v2
	v_cndmask_b32_e32 v4, v4, v6, vcc_lo
	v_cndmask_b32_e32 v2, v2, v8, vcc_lo
	v_ashrrev_i32_e32 v6, 31, v0
	v_add_nc_u32_e32 v8, 1, v4
	v_cmp_le_u32_e32 vcc_lo, s20, v2
	v_xor_b32_e32 v6, s27, v6
	v_cndmask_b32_e32 v2, v4, v8, vcc_lo
	v_mul_i32_i24_e32 v4, 3, v6
	v_xor_b32_e32 v2, v2, v6
	v_lshl_add_u32 v8, v2, 1, v2
	v_sub_nc_u32_e32 v2, v2, v6
	v_sub_nc_u32_e32 v6, v8, v4
	v_mad_u64_u32 v[11:12], null, s22, v2, v[0:1]
	v_ashrrev_i32_e32 v2, 31, v1
	v_ashrrev_i32_e32 v4, 31, v3
	v_mul_lo_u32 v8, s0, v6
	v_lshlrev_b64 v[17:18], 2, v[1:2]
	v_add_nc_u32_e32 v2, 2, v6
	v_lshlrev_b64 v[21:22], 2, v[3:4]
	v_add_nc_u32_e32 v4, 3, v6
	s_waitcnt lgkmcnt(0)
	v_mul_lo_u32 v19, v11, s21
	v_add3_u32 v6, v8, s0, v0
	v_mad_u64_u32 v[14:15], null, s0, v2, v[0:1]
	v_mad_u64_u32 v[12:13], null, s0, v4, v[0:1]
	v_mul_lo_u32 v23, v6, s21
	v_add_co_u32 v17, vcc_lo, s8, v17
	v_ashrrev_i32_e32 v20, 31, v19
	v_mul_lo_u32 v25, v14, s21
	v_add_co_ci_u32_e64 v18, null, s9, v18, vcc_lo
	v_mul_lo_u32 v27, v12, s21
	v_ashrrev_i32_e32 v24, 31, v23
	v_lshlrev_b64 v[19:20], 2, v[19:20]
	v_add_co_u32 v21, vcc_lo, s10, v21
	v_ashrrev_i32_e32 v26, 31, v25
	v_lshlrev_b64 v[23:24], 2, v[23:24]
	v_add_co_ci_u32_e64 v22, null, s11, v22, vcc_lo
	v_ashrrev_i32_e32 v28, 31, v27
	v_lshlrev_b64 v[25:26], 2, v[25:26]
	v_add_co_u32 v19, vcc_lo, s14, v19
	v_add_co_ci_u32_e64 v20, null, s15, v20, vcc_lo
	v_lshlrev_b64 v[27:28], 2, v[27:28]
	v_add_co_u32 v23, vcc_lo, s14, v23
	v_add_co_ci_u32_e64 v24, null, s15, v24, vcc_lo
	v_add_co_u32 v25, vcc_lo, s14, v25
	v_add_co_ci_u32_e64 v26, null, s15, v26, vcc_lo
	;; [unrolled: 2-line block ×3, first 2 shown]
	global_load_dword v17, v[17:18], off
	s_clause 0x3
	global_load_dword v2, v[19:20], off
	global_load_dword v4, v[23:24], off
	;; [unrolled: 1-line block ×5, first 2 shown]
	v_mov_b32_e32 v8, 0
	s_andn2_b32 vcc_lo, exec_lo, s18
	s_cbranch_vccnz .LBB20_5
; %bb.4:                                ;   in Loop: Header=BB20_3 Depth=1
	v_ashrrev_i32_e32 v8, 31, v7
	v_lshlrev_b64 v[19:20], 2, v[7:8]
	v_add_co_u32 v19, vcc_lo, s2, v19
	v_add_co_ci_u32_e64 v20, null, s3, v20, vcc_lo
	global_load_dword v8, v[19:20], off
.LBB20_5:                               ;   in Loop: Header=BB20_3 Depth=1
	s_andn2_b32 vcc_lo, exec_lo, s19
	s_cbranch_vccnz .LBB20_10
; %bb.6:                                ;   in Loop: Header=BB20_3 Depth=1
	v_ashrrev_i32_e32 v10, 31, v9
	v_lshlrev_b64 v[19:20], 2, v[9:10]
	v_add_co_u32 v19, vcc_lo, s6, v19
	v_add_co_ci_u32_e64 v20, null, s7, v20, vcc_lo
	global_load_dword v10, v[19:20], off
	s_waitcnt vmcnt(1)
	v_cmp_ngt_f32_e64 s31, 0x3f200000, |v18|
                                        ; implicit-def: $vgpr19
	s_and_saveexec_b32 s33, s31
	s_xor_b32 s31, exec_lo, s33
	s_cbranch_execz .LBB20_8
.LBB20_7:                               ;   in Loop: Header=BB20_3 Depth=1
	v_add_f32_e64 v19, |v18|, |v18|
	v_mul_f32_e32 v20, 0x3fb8aa3b, v19
	v_cmp_ngt_f32_e32 vcc_lo, 0xc2ce8ed0, v19
	v_rndne_f32_e32 v21, v20
	v_fma_f32 v22, 0x3fb8aa3b, v19, -v20
	v_sub_f32_e32 v20, v20, v21
	v_fmac_f32_e32 v22, 0x32a5705f, v19
	v_cvt_i32_f32_e32 v21, v21
	v_add_f32_e32 v20, v20, v22
	v_exp_f32_e32 v20, v20
	v_ldexp_f32 v20, v20, v21
	v_cndmask_b32_e32 v20, 0, v20, vcc_lo
	v_cmp_nlt_f32_e32 vcc_lo, 0x42b17218, v19
	v_cndmask_b32_e32 v19, 0x7f800000, v20, vcc_lo
	v_add_f32_e32 v19, 1.0, v19
	v_rcp_f32_e32 v19, v19
	v_fma_f32 v19, v19, -2.0, 1.0
.LBB20_8:                               ;   in Loop: Header=BB20_3 Depth=1
	s_andn2_saveexec_b32 s31, s31
	s_cbranch_execz .LBB20_2
; %bb.9:                                ;   in Loop: Header=BB20_3 Depth=1
	v_mul_f32_e32 v19, v18, v18
	v_fmaak_f32 v20, s30, v19, 0x3ca908c9
	v_fmaak_f32 v20, v19, v20, 0xbd5c1c4e
	;; [unrolled: 1-line block ×4, first 2 shown]
	v_mul_f32_e64 v20, |v18|, v20
	v_fma_f32 v19, v19, v20, |v18|
	s_branch .LBB20_2
.LBB20_10:                              ;   in Loop: Header=BB20_3 Depth=1
	v_mov_b32_e32 v10, 0
	s_waitcnt vmcnt(0)
	v_cmp_ngt_f32_e64 s31, 0x3f200000, |v18|
                                        ; implicit-def: $vgpr19
	s_and_saveexec_b32 s33, s31
	s_xor_b32 s31, exec_lo, s33
	s_cbranch_execz .LBB20_8
	s_branch .LBB20_7
.LBB20_11:
	s_endpgm
	.section	.rodata,"a",@progbits
	.p2align	6, 0x0
	.amdhsa_kernel _ZN2at6native12_GLOBAL__N_16kernel18lstm_cell_backwardIffiLi1EEEvNS_4cuda6detail10TensorInfoIT_T1_EES9_S9_S9_S9_S9_S9_S8_S8_
		.amdhsa_group_segment_fixed_size 0
		.amdhsa_private_segment_fixed_size 0
		.amdhsa_kernarg_size 1776
		.amdhsa_user_sgpr_count 6
		.amdhsa_user_sgpr_private_segment_buffer 1
		.amdhsa_user_sgpr_dispatch_ptr 0
		.amdhsa_user_sgpr_queue_ptr 0
		.amdhsa_user_sgpr_kernarg_segment_ptr 1
		.amdhsa_user_sgpr_dispatch_id 0
		.amdhsa_user_sgpr_flat_scratch_init 0
		.amdhsa_user_sgpr_private_segment_size 0
		.amdhsa_wavefront_size32 1
		.amdhsa_uses_dynamic_stack 0
		.amdhsa_system_sgpr_private_segment_wavefront_offset 0
		.amdhsa_system_sgpr_workgroup_id_x 1
		.amdhsa_system_sgpr_workgroup_id_y 0
		.amdhsa_system_sgpr_workgroup_id_z 0
		.amdhsa_system_sgpr_workgroup_info 0
		.amdhsa_system_vgpr_workitem_id 0
		.amdhsa_next_free_vgpr 29
		.amdhsa_next_free_sgpr 34
		.amdhsa_reserve_vcc 1
		.amdhsa_reserve_flat_scratch 0
		.amdhsa_float_round_mode_32 0
		.amdhsa_float_round_mode_16_64 0
		.amdhsa_float_denorm_mode_32 3
		.amdhsa_float_denorm_mode_16_64 3
		.amdhsa_dx10_clamp 1
		.amdhsa_ieee_mode 1
		.amdhsa_fp16_overflow 0
		.amdhsa_workgroup_processor_mode 1
		.amdhsa_memory_ordered 1
		.amdhsa_forward_progress 1
		.amdhsa_shared_vgpr_count 0
		.amdhsa_exception_fp_ieee_invalid_op 0
		.amdhsa_exception_fp_denorm_src 0
		.amdhsa_exception_fp_ieee_div_zero 0
		.amdhsa_exception_fp_ieee_overflow 0
		.amdhsa_exception_fp_ieee_underflow 0
		.amdhsa_exception_fp_ieee_inexact 0
		.amdhsa_exception_int_div_zero 0
	.end_amdhsa_kernel
	.section	.text._ZN2at6native12_GLOBAL__N_16kernel18lstm_cell_backwardIffiLi1EEEvNS_4cuda6detail10TensorInfoIT_T1_EES9_S9_S9_S9_S9_S9_S8_S8_,"axG",@progbits,_ZN2at6native12_GLOBAL__N_16kernel18lstm_cell_backwardIffiLi1EEEvNS_4cuda6detail10TensorInfoIT_T1_EES9_S9_S9_S9_S9_S9_S8_S8_,comdat
.Lfunc_end20:
	.size	_ZN2at6native12_GLOBAL__N_16kernel18lstm_cell_backwardIffiLi1EEEvNS_4cuda6detail10TensorInfoIT_T1_EES9_S9_S9_S9_S9_S9_S8_S8_, .Lfunc_end20-_ZN2at6native12_GLOBAL__N_16kernel18lstm_cell_backwardIffiLi1EEEvNS_4cuda6detail10TensorInfoIT_T1_EES9_S9_S9_S9_S9_S9_S8_S8_
                                        ; -- End function
	.set _ZN2at6native12_GLOBAL__N_16kernel18lstm_cell_backwardIffiLi1EEEvNS_4cuda6detail10TensorInfoIT_T1_EES9_S9_S9_S9_S9_S9_S8_S8_.num_vgpr, 29
	.set _ZN2at6native12_GLOBAL__N_16kernel18lstm_cell_backwardIffiLi1EEEvNS_4cuda6detail10TensorInfoIT_T1_EES9_S9_S9_S9_S9_S9_S8_S8_.num_agpr, 0
	.set _ZN2at6native12_GLOBAL__N_16kernel18lstm_cell_backwardIffiLi1EEEvNS_4cuda6detail10TensorInfoIT_T1_EES9_S9_S9_S9_S9_S9_S8_S8_.numbered_sgpr, 34
	.set _ZN2at6native12_GLOBAL__N_16kernel18lstm_cell_backwardIffiLi1EEEvNS_4cuda6detail10TensorInfoIT_T1_EES9_S9_S9_S9_S9_S9_S8_S8_.num_named_barrier, 0
	.set _ZN2at6native12_GLOBAL__N_16kernel18lstm_cell_backwardIffiLi1EEEvNS_4cuda6detail10TensorInfoIT_T1_EES9_S9_S9_S9_S9_S9_S8_S8_.private_seg_size, 0
	.set _ZN2at6native12_GLOBAL__N_16kernel18lstm_cell_backwardIffiLi1EEEvNS_4cuda6detail10TensorInfoIT_T1_EES9_S9_S9_S9_S9_S9_S8_S8_.uses_vcc, 1
	.set _ZN2at6native12_GLOBAL__N_16kernel18lstm_cell_backwardIffiLi1EEEvNS_4cuda6detail10TensorInfoIT_T1_EES9_S9_S9_S9_S9_S9_S8_S8_.uses_flat_scratch, 0
	.set _ZN2at6native12_GLOBAL__N_16kernel18lstm_cell_backwardIffiLi1EEEvNS_4cuda6detail10TensorInfoIT_T1_EES9_S9_S9_S9_S9_S9_S8_S8_.has_dyn_sized_stack, 0
	.set _ZN2at6native12_GLOBAL__N_16kernel18lstm_cell_backwardIffiLi1EEEvNS_4cuda6detail10TensorInfoIT_T1_EES9_S9_S9_S9_S9_S9_S8_S8_.has_recursion, 0
	.set _ZN2at6native12_GLOBAL__N_16kernel18lstm_cell_backwardIffiLi1EEEvNS_4cuda6detail10TensorInfoIT_T1_EES9_S9_S9_S9_S9_S9_S8_S8_.has_indirect_call, 0
	.section	.AMDGPU.csdata,"",@progbits
; Kernel info:
; codeLenInByte = 1440
; TotalNumSgprs: 36
; NumVgprs: 29
; ScratchSize: 0
; MemoryBound: 0
; FloatMode: 240
; IeeeMode: 1
; LDSByteSize: 0 bytes/workgroup (compile time only)
; SGPRBlocks: 0
; VGPRBlocks: 3
; NumSGPRsForWavesPerEU: 36
; NumVGPRsForWavesPerEU: 29
; Occupancy: 16
; WaveLimiterHint : 1
; COMPUTE_PGM_RSRC2:SCRATCH_EN: 0
; COMPUTE_PGM_RSRC2:USER_SGPR: 6
; COMPUTE_PGM_RSRC2:TRAP_HANDLER: 0
; COMPUTE_PGM_RSRC2:TGID_X_EN: 1
; COMPUTE_PGM_RSRC2:TGID_Y_EN: 0
; COMPUTE_PGM_RSRC2:TGID_Z_EN: 0
; COMPUTE_PGM_RSRC2:TIDIG_COMP_CNT: 0
	.section	.text._ZN2at6native12_GLOBAL__N_16kernel18lstm_cell_backwardIffiLi2EEEvNS_4cuda6detail10TensorInfoIT_T1_EES9_S9_S9_S9_S9_S9_S8_S8_,"axG",@progbits,_ZN2at6native12_GLOBAL__N_16kernel18lstm_cell_backwardIffiLi2EEEvNS_4cuda6detail10TensorInfoIT_T1_EES9_S9_S9_S9_S9_S9_S8_S8_,comdat
	.globl	_ZN2at6native12_GLOBAL__N_16kernel18lstm_cell_backwardIffiLi2EEEvNS_4cuda6detail10TensorInfoIT_T1_EES9_S9_S9_S9_S9_S9_S8_S8_ ; -- Begin function _ZN2at6native12_GLOBAL__N_16kernel18lstm_cell_backwardIffiLi2EEEvNS_4cuda6detail10TensorInfoIT_T1_EES9_S9_S9_S9_S9_S9_S8_S8_
	.p2align	8
	.type	_ZN2at6native12_GLOBAL__N_16kernel18lstm_cell_backwardIffiLi2EEEvNS_4cuda6detail10TensorInfoIT_T1_EES9_S9_S9_S9_S9_S9_S8_S8_,@function
_ZN2at6native12_GLOBAL__N_16kernel18lstm_cell_backwardIffiLi2EEEvNS_4cuda6detail10TensorInfoIT_T1_EES9_S9_S9_S9_S9_S9_S8_S8_: ; @_ZN2at6native12_GLOBAL__N_16kernel18lstm_cell_backwardIffiLi2EEEvNS_4cuda6detail10TensorInfoIT_T1_EES9_S9_S9_S9_S9_S9_S8_S8_
; %bb.0:
	s_clause 0x1
	s_load_dword s7, s[4:5], 0x5fc
	s_load_dwordx2 s[2:3], s[4:5], 0x5e8
	s_add_u32 s0, s4, 0x5f0
	s_addc_u32 s1, s5, 0
	s_waitcnt lgkmcnt(0)
	s_and_b32 s40, s7, 0xffff
	v_mad_u64_u32 v[0:1], null, s6, s40, v[0:1]
	s_mov_b32 s6, exec_lo
	v_cmpx_gt_i32_e64 s3, v0
	s_cbranch_execz .LBB21_11
; %bb.1:
	s_clause 0xb
	s_load_dwordx2 s[6:7], s[4:5], 0x360
	s_load_dwordx2 s[8:9], s[4:5], 0x438
	s_load_dword s33, s[4:5], 0xc
	s_load_dword s59, s[4:5], 0x36c
	s_load_dwordx2 s[10:11], s[4:5], 0x3cc
	s_load_dwordx2 s[12:13], s[4:5], 0x0
	;; [unrolled: 1-line block ×4, first 2 shown]
	s_load_dword s34, s[4:5], 0xe4
	s_load_dwordx2 s[18:19], s[4:5], 0x144
	s_load_dwordx2 s[20:21], s[4:5], 0x1b0
	s_load_dword s56, s[4:5], 0x1bc
	s_load_dword s0, s[0:1], 0x0
	s_clause 0x8
	s_load_dword s1, s[4:5], 0x294
	s_load_dword s60, s[4:5], 0x444
	s_load_dwordx2 s[22:23], s[4:5], 0x4a4
	s_load_dwordx2 s[24:25], s[4:5], 0x510
	s_load_dword s58, s[4:5], 0x51c
	s_load_dwordx2 s[26:27], s[4:5], 0x21c
	s_load_dwordx2 s[28:29], s[4:5], 0x288
	;; [unrolled: 1-line block ×4, first 2 shown]
	s_mov_b32 s39, 0
	s_mul_i32 s55, s2, 3
	s_mov_b32 s61, 0xbbbac73d
	s_waitcnt lgkmcnt(0)
	s_cmp_lg_u64 s[6:7], 0
	s_cselect_b32 s35, -1, 0
	s_cmp_lg_u64 s[8:9], 0
	s_cselect_b32 s36, -1, 0
	s_abs_i32 s37, s2
	s_abs_i32 s38, s33
	v_cvt_f32_u32_e32 v1, s37
	v_cvt_f32_u32_e32 v2, s38
	s_abs_i32 s42, s34
	s_sub_i32 s49, 0, s38
	v_cvt_f32_u32_e32 v3, s42
	v_rcp_iflag_f32_e32 v1, v1
	v_rcp_iflag_f32_e32 v2, v2
	s_mul_i32 s40, s0, s40
	s_sub_i32 s0, 0, s37
	v_rcp_iflag_f32_e32 v3, v3
	s_abs_i32 s44, s56
	s_abs_i32 s45, s1
	v_cvt_f32_u32_e32 v4, s44
	v_cvt_f32_u32_e32 v7, s45
	s_abs_i32 s46, s58
	v_mul_f32_e32 v1, 0x4f7ffffe, v1
	v_mul_f32_e32 v2, 0x4f7ffffe, v2
	v_rcp_iflag_f32_e32 v4, v4
	s_abs_i32 s47, s59
	v_mul_f32_e32 v3, 0x4f7ffffe, v3
	v_cvt_u32_f32_e32 v1, v1
	v_cvt_u32_f32_e32 v2, v2
	s_abs_i32 s48, s60
	v_cvt_f32_u32_e32 v8, s46
	v_cvt_u32_f32_e32 v9, v3
	v_mul_lo_u32 v5, s0, v1
	v_mul_lo_u32 v6, s49, v2
	v_cvt_f32_u32_e32 v10, s48
	v_rcp_iflag_f32_e32 v8, v8
	v_mul_f32_e32 v12, 0x4f7ffffe, v4
	s_sub_i32 s0, 0, s42
	s_sub_i32 s49, 0, s45
	v_mul_lo_u32 v11, s0, v9
	v_mul_hi_u32 v3, v1, v5
	v_rcp_iflag_f32_e32 v5, v7
	v_mul_hi_u32 v6, v2, v6
	v_cvt_f32_u32_e32 v7, s47
	s_sub_i32 s0, 0, s44
	v_mul_f32_e32 v8, 0x4f7ffffe, v8
	s_ashr_i32 s41, s2, 31
	s_ashr_i32 s43, s33, 31
	v_add_nc_u32_e32 v3, v1, v3
	v_rcp_iflag_f32_e32 v1, v7
	v_add_nc_u32_e32 v4, v2, v6
	v_mul_f32_e32 v2, 0x4f7ffffe, v5
	v_rcp_iflag_f32_e32 v5, v10
	v_cvt_u32_f32_e32 v7, v12
	v_cvt_u32_f32_e32 v8, v8
	v_mul_hi_u32 v6, v9, v11
	v_cvt_u32_f32_e32 v2, v2
	s_ashr_i32 s50, s56, 31
	v_mul_lo_u32 v10, s0, v7
	v_mul_f32_e32 v1, 0x4f7ffffe, v1
	s_sub_i32 s0, 0, s46
	v_mul_lo_u32 v11, s49, v2
	v_mul_f32_e32 v5, 0x4f7ffffe, v5
	s_sub_i32 s49, 0, s47
	v_cvt_u32_f32_e32 v1, v1
	v_mul_lo_u32 v13, s0, v8
	s_sub_i32 s0, 0, s48
	v_cvt_u32_f32_e32 v12, v5
	v_mul_hi_u32 v10, v7, v10
	v_mul_lo_u32 v14, s49, v1
	v_mul_hi_u32 v11, v2, v11
	v_add_nc_u32_e32 v5, v9, v6
	v_mul_lo_u32 v15, s0, v12
	v_mul_hi_u32 v9, v8, v13
	s_ashr_i32 s49, s34, 31
	s_ashr_i32 s51, s1, 31
	v_add_nc_u32_e32 v6, v7, v10
	v_mul_hi_u32 v13, v1, v14
	v_add_nc_u32_e32 v7, v2, v11
	s_ashr_i32 s52, s58, 31
	v_mul_hi_u32 v10, v12, v15
	v_add_nc_u32_e32 v8, v8, v9
	s_ashr_i32 s53, s59, 31
	s_ashr_i32 s54, s60, 31
	s_sub_i32 s56, 0, s56
	v_add_nc_u32_e32 v9, v1, v13
	s_sub_i32 s57, 0, s1
	s_sub_i32 s58, 0, s58
	v_add_nc_u32_e32 v10, v12, v10
	s_sub_i32 s59, 0, s59
	s_sub_i32 s60, 0, s60
	s_branch .LBB21_3
.LBB21_2:                               ;   in Loop: Header=BB21_3 Depth=1
	s_or_b32 exec_lo, exec_lo, s0
	v_mul_hi_u32 v32, v19, v5
	v_mul_hi_u32 v33, v20, v5
	;; [unrolled: 1-line block ×4, first 2 shown]
	v_xor_b32_e32 v30, s49, v30
	v_mul_hi_u32 v37, v11, v8
	v_xor_b32_e32 v29, s49, v29
	v_xor_b32_e32 v27, s49, v27
	v_mul_lo_u32 v35, v32, s42
	v_add_nc_u32_e32 v38, 1, v32
	v_mul_lo_u32 v39, v33, s42
	v_mul_lo_u32 v41, v34, s42
	v_add_nc_u32_e32 v40, 1, v33
	v_mul_lo_u32 v42, v36, s42
	v_mul_lo_u32 v44, v37, s46
	v_add_nc_u32_e32 v43, 1, v36
	v_sub_nc_u32_e32 v19, v19, v35
	v_add_nc_u32_e32 v35, 1, v34
	v_sub_nc_u32_e32 v20, v20, v39
	v_sub_nc_u32_e32 v21, v21, v41
	v_xor_b32_e32 v25, s49, v25
	v_subrev_nc_u32_e32 v45, s42, v19
	v_cmp_le_u32_e32 vcc_lo, s42, v19
	v_subrev_nc_u32_e32 v39, s42, v20
	v_sub_nc_u32_e32 v22, v22, v42
	v_bfi_b32 v24, 0x7fffffff, v31, v24
	v_cndmask_b32_e32 v32, v32, v38, vcc_lo
	v_cndmask_b32_e32 v19, v19, v45, vcc_lo
	v_cmp_le_u32_e32 vcc_lo, s42, v20
	v_add_nc_u32_e32 v38, 1, v32
	v_cmp_le_u32_e64 s0, s42, v19
	v_cndmask_b32_e32 v33, v33, v40, vcc_lo
	v_cndmask_b32_e32 v20, v20, v39, vcc_lo
	v_cndmask_b32_e64 v19, v32, v38, s0
	v_cmp_le_u32_e64 s0, s42, v21
	v_add_nc_u32_e32 v38, 1, v33
	v_cmp_le_u32_e32 vcc_lo, s42, v20
	v_xor_b32_e32 v19, v19, v30
	v_cndmask_b32_e64 v32, v34, v35, s0
	v_subrev_nc_u32_e32 v34, s42, v21
	v_cndmask_b32_e32 v20, v33, v38, vcc_lo
	v_subrev_nc_u32_e32 v35, s42, v22
	v_sub_nc_u32_e32 v19, v19, v30
	v_sub_nc_u32_e32 v33, v11, v44
	v_cndmask_b32_e64 v21, v21, v34, s0
	v_add_nc_u32_e32 v34, 1, v32
	v_xor_b32_e32 v11, v20, v29
	v_mul_lo_u32 v30, v19, s34
	v_cmp_le_u32_e32 vcc_lo, s42, v21
	v_sub_nc_u32_e32 v29, v11, v29
	v_cndmask_b32_e32 v21, v32, v34, vcc_lo
	v_cmp_le_u32_e32 vcc_lo, s42, v22
	v_sub_nc_u32_e32 v14, v14, v30
	v_xor_b32_e32 v20, v21, v27
	v_cndmask_b32_e32 v32, v36, v43, vcc_lo
	v_cndmask_b32_e32 v21, v22, v35, vcc_lo
	v_add_nc_u32_e32 v14, v0, v14
	v_sub_nc_u32_e32 v20, v20, v27
	v_add_nc_u32_e32 v22, 1, v32
	v_cmp_le_u32_e32 vcc_lo, s42, v21
	v_mul_lo_u32 v21, v29, s34
	v_mul_lo_u32 v27, v20, s34
	v_cndmask_b32_e32 v11, v32, v22, vcc_lo
	v_add_nc_u32_e32 v22, 1, v37
	v_cmp_le_u32_e32 vcc_lo, s46, v33
	v_subrev_nc_u32_e32 v32, s46, v33
	v_sub_nc_u32_e32 v1, v1, v21
	v_xor_b32_e32 v30, v11, v25
	v_mul_lo_u32 v11, v14, s19
	v_cndmask_b32_e32 v22, v37, v22, vcc_lo
	v_add_nc_u32_e32 v1, v0, v1
	v_sub_nc_u32_e32 v21, v30, v25
	v_sub_nc_u32_e32 v25, v13, v27
	v_fma_f32 v27, -v24, v24, 1.0
	v_mul_f32_e32 v24, v26, v24
	v_mad_u64_u32 v[13:14], null, v19, s18, v[11:12]
	v_cndmask_b32_e32 v11, v33, v32, vcc_lo
	v_add_nc_u32_e32 v14, 1, v22
	v_add_nc_u32_e32 v19, v0, v25
	v_mul_lo_u32 v25, v21, s34
	v_mul_lo_u32 v1, v1, s19
	v_cmp_le_u32_e32 vcc_lo, s46, v11
	v_xor_b32_e32 v12, s52, v12
	v_mul_lo_u32 v11, v19, s19
	v_cndmask_b32_e32 v14, v22, v14, vcc_lo
	v_sub_nc_u32_e32 v22, v2, v25
	v_mad_u64_u32 v[1:2], null, v29, s18, v[1:2]
	v_xor_b32_e32 v19, v14, v12
	v_add_nc_u32_e32 v2, v0, v22
	v_ashrrev_i32_e32 v14, 31, v13
	v_sub_nc_u32_e32 v25, v19, v12
	v_mad_u64_u32 v[11:12], null, v20, s18, v[11:12]
	v_lshlrev_b64 v[13:14], 2, v[13:14]
	v_mad_u64_u32 v[19:20], null, s58, v25, v[0:1]
	v_mul_lo_u32 v20, v2, s19
	v_ashrrev_i32_e32 v2, 31, v1
	v_ashrrev_i32_e32 v12, 31, v11
	v_add_co_u32 v13, vcc_lo, s16, v13
	v_add_co_ci_u32_e64 v14, null, s17, v14, vcc_lo
	v_mul_lo_u32 v19, v19, s5
	v_mad_u64_u32 v[20:21], null, v21, s18, v[20:21]
	v_lshlrev_b64 v[1:2], 2, v[1:2]
	v_lshlrev_b64 v[11:12], 2, v[11:12]
	v_add_nc_u32_e32 v0, s40, v0
	v_mad_u64_u32 v[29:30], null, v25, s4, v[19:20]
	v_mul_f32_e32 v25, v15, v26
	v_ashrrev_i32_e32 v21, 31, v20
	v_add_co_u32 v1, vcc_lo, s16, v1
	v_sub_f32_e32 v26, 1.0, v16
	s_waitcnt vmcnt(0)
	v_fmac_f32_e32 v28, v25, v27
	v_ashrrev_i32_e32 v30, 31, v29
	v_lshlrev_b64 v[19:20], 2, v[20:21]
	v_sub_f32_e32 v27, 1.0, v17
	v_add_co_ci_u32_e64 v2, null, s17, v2, vcc_lo
	v_lshlrev_b64 v[21:22], 2, v[29:30]
	v_mul_f32_e32 v25, v18, v28
	v_sub_f32_e32 v30, 1.0, v15
	v_mul_f32_e32 v23, v23, v28
	v_add_co_u32 v11, vcc_lo, s16, v11
	v_add_co_ci_u32_e64 v12, null, s17, v12, vcc_lo
	v_add_co_u32 v19, vcc_lo, s16, v19
	v_mul_f32_e32 v25, v26, v25
	v_mul_f32_e32 v24, v30, v24
	v_add_co_ci_u32_e64 v20, null, s17, v20, vcc_lo
	v_add_co_u32 v21, vcc_lo, s24, v21
	v_mul_f32_e32 v23, v27, v23
	v_mul_f32_e32 v29, v16, v28
	v_fma_f32 v18, -v18, v18, 1.0
	v_add_co_ci_u32_e64 v22, null, s25, v22, vcc_lo
	v_cmp_le_i32_e32 vcc_lo, s3, v0
	v_mul_f32_e32 v16, v16, v25
	v_mul_f32_e32 v15, v15, v24
	v_mul_f32_e32 v28, v17, v28
	v_mul_f32_e32 v17, v17, v23
	v_mul_f32_e32 v18, v18, v29
	s_or_b32 s39, vcc_lo, s39
	global_store_dword v[13:14], v16, off
	global_store_dword v[1:2], v17, off
	;; [unrolled: 1-line block ×5, first 2 shown]
	s_andn2_b32 exec_lo, exec_lo, s39
	s_cbranch_execz .LBB21_11
.LBB21_3:                               ; =>This Inner Loop Header: Depth=1
	v_sub_nc_u32_e32 v1, 0, v0
	v_max_i32_e32 v11, v0, v1
	v_mul_hi_u32 v1, v11, v3
	v_mul_hi_u32 v13, v11, v6
	;; [unrolled: 1-line block ×3, first 2 shown]
	v_mul_lo_u32 v2, v1, s37
	v_add_nc_u32_e32 v12, 1, v1
	v_mul_lo_u32 v17, v13, s44
	v_add_nc_u32_e32 v20, 1, v15
	v_sub_nc_u32_e32 v2, v11, v2
	v_sub_nc_u32_e32 v17, v11, v17
	v_subrev_nc_u32_e32 v14, s37, v2
	v_cmp_le_u32_e32 vcc_lo, s37, v2
	v_cndmask_b32_e32 v1, v1, v12, vcc_lo
	v_cndmask_b32_e32 v2, v2, v14, vcc_lo
	v_ashrrev_i32_e32 v12, 31, v0
	v_add_nc_u32_e32 v14, 1, v1
	v_cmp_le_u32_e32 vcc_lo, s37, v2
	v_xor_b32_e32 v16, s41, v12
	v_mul_lo_u32 v2, v15, s45
	v_xor_b32_e32 v18, s50, v12
	v_xor_b32_e32 v23, s51, v12
	v_cndmask_b32_e32 v1, v1, v14, vcc_lo
	v_add_nc_u32_e32 v14, 1, v13
	v_cmp_le_u32_e32 vcc_lo, s44, v17
	v_mul_i32_i24_e32 v19, 3, v16
	v_xor_b32_e32 v1, v1, v16
	v_sub_nc_u32_e32 v21, v11, v2
	v_sub_nc_u32_e32 v2, v1, v16
	v_lshl_add_u32 v1, v1, 1, v1
	v_cndmask_b32_e32 v16, v13, v14, vcc_lo
	v_subrev_nc_u32_e32 v13, s44, v17
	v_cmp_le_u32_e64 s0, s45, v21
	v_mul_lo_u32 v14, s55, v2
	v_sub_nc_u32_e32 v19, v1, v19
	v_add_nc_u32_e32 v24, 1, v16
	v_cndmask_b32_e32 v17, v17, v13, vcc_lo
	v_cndmask_b32_e64 v15, v15, v20, s0
	v_subrev_nc_u32_e32 v20, s45, v21
	v_mad_u64_u32 v[1:2], null, s2, v19, s[2:3]
	v_add_nc_u32_e32 v22, v0, v14
	v_add_nc_u32_e32 v2, 2, v19
	;; [unrolled: 1-line block ×3, first 2 shown]
	v_cmp_le_u32_e32 vcc_lo, s44, v17
	v_cndmask_b32_e64 v20, v21, v20, s0
	v_ashrrev_i32_e32 v30, 31, v22
	v_mul_lo_u32 v13, s2, v2
	v_mul_lo_u32 v2, s2, v19
	v_add_nc_u32_e32 v22, v0, v1
	v_cndmask_b32_e32 v16, v16, v24, vcc_lo
	v_add3_u32 v19, v30, v14, v0
	v_add_nc_u32_e32 v21, 1, v15
	v_cmp_le_u32_e32 vcc_lo, s45, v20
	v_ashrrev_i32_e32 v29, 31, v22
	v_add_nc_u32_e32 v22, v0, v13
	v_add_nc_u32_e32 v17, v0, v2
	v_xor_b32_e32 v19, v19, v30
	v_cndmask_b32_e32 v15, v15, v21, vcc_lo
	v_add3_u32 v24, v29, v1, v0
	v_ashrrev_i32_e32 v27, 31, v22
	v_ashrrev_i32_e32 v25, 31, v17
	v_mul_hi_u32 v17, v19, v4
	v_xor_b32_e32 v31, s43, v29
	v_xor_b32_e32 v20, v24, v29
	v_add3_u32 v21, v27, v13, v0
	v_add3_u32 v22, v25, v2, v0
	v_xor_b32_e32 v24, s43, v30
	v_xor_b32_e32 v32, s43, v27
	v_mul_hi_u32 v26, v20, v4
	v_mul_lo_u32 v28, v17, s38
	v_xor_b32_e32 v21, v21, v27
	v_xor_b32_e32 v22, v22, v25
	v_add_nc_u32_e32 v35, 1, v17
	v_xor_b32_e32 v34, s43, v25
	v_xor_b32_e32 v16, v16, v18
	v_mul_hi_u32 v33, v21, v4
	v_mul_lo_u32 v36, v26, s38
	v_sub_nc_u32_e32 v28, v19, v28
	v_mul_hi_u32 v37, v22, v4
	v_add_nc_u32_e32 v38, 1, v26
	v_xor_b32_e32 v15, v15, v23
	v_cmp_le_u32_e32 vcc_lo, s38, v28
	v_subrev_nc_u32_e32 v41, s38, v28
	v_mul_lo_u32 v39, v33, s38
	v_add_nc_u32_e32 v40, 1, v33
	v_add_nc_u32_e32 v42, 1, v37
	v_cndmask_b32_e32 v17, v17, v35, vcc_lo
	v_sub_nc_u32_e32 v35, v20, v36
	v_cndmask_b32_e32 v28, v28, v41, vcc_lo
	v_mul_lo_u32 v36, v37, s38
	v_sub_nc_u32_e32 v39, v21, v39
	v_cmp_le_u32_e32 vcc_lo, s38, v35
	v_add_nc_u32_e32 v41, 1, v17
	v_cmp_le_u32_e64 s0, s38, v28
	v_cndmask_b32_e32 v26, v26, v38, vcc_lo
	v_subrev_nc_u32_e32 v38, s38, v35
	v_sub_nc_u32_e32 v36, v22, v36
	v_cndmask_b32_e64 v17, v17, v41, s0
	v_cndmask_b32_e32 v28, v35, v38, vcc_lo
	v_cmp_le_u32_e32 vcc_lo, s38, v39
	v_subrev_nc_u32_e32 v38, s38, v39
	v_add_nc_u32_e32 v35, 1, v26
	v_cmp_le_u32_e64 s0, s38, v36
	v_cmp_le_u32_e64 s1, s38, v28
	v_cndmask_b32_e32 v33, v33, v40, vcc_lo
	v_subrev_nc_u32_e32 v40, s38, v36
	v_cndmask_b32_e32 v28, v39, v38, vcc_lo
	v_cndmask_b32_e64 v37, v37, v42, s0
	v_xor_b32_e32 v17, v17, v24
	v_cndmask_b32_e64 v26, v26, v35, s1
	v_add_nc_u32_e32 v35, 1, v33
	v_cndmask_b32_e64 v36, v36, v40, s0
	v_cmp_le_u32_e32 vcc_lo, s38, v28
	v_add_nc_u32_e32 v38, 1, v37
	v_sub_nc_u32_e32 v39, v17, v24
	v_xor_b32_e32 v17, v26, v31
	v_cndmask_b32_e32 v24, v33, v35, vcc_lo
	v_cmp_le_u32_e32 vcc_lo, s38, v36
	v_mul_lo_u32 v28, v39, s33
	v_sub_nc_u32_e32 v33, v17, v31
	v_sub_nc_u32_e32 v35, v15, v23
	v_xor_b32_e32 v17, v24, v32
	v_cndmask_b32_e32 v26, v37, v38, vcc_lo
	v_sub_nc_u32_e32 v37, v17, v32
	v_xor_b32_e32 v24, v26, v34
	v_sub_nc_u32_e32 v26, v16, v18
	v_mul_lo_u32 v18, v33, s33
	v_sub_nc_u32_e32 v23, v14, v28
	v_sub_nc_u32_e32 v38, v24, v34
	v_mul_lo_u32 v24, v37, s33
	v_mad_u64_u32 v[15:16], null, s56, v26, v[0:1]
	v_mad_u64_u32 v[16:17], null, s57, v35, v[0:1]
	v_mul_lo_u32 v28, v38, s33
	v_sub_nc_u32_e32 v18, v1, v18
	v_add_nc_u32_e32 v17, v0, v23
	v_sub_nc_u32_e32 v23, v13, v24
	v_mul_lo_u32 v15, v15, s27
	v_add_nc_u32_e32 v18, v0, v18
	v_mul_lo_u32 v17, v17, s15
	v_sub_nc_u32_e32 v24, v2, v28
	v_mul_lo_u32 v16, v16, s31
	v_add_nc_u32_e32 v28, v0, v23
	v_mul_lo_u32 v18, v18, s15
	v_add_nc_u32_e32 v34, v0, v24
	v_mad_u64_u32 v[23:24], null, v26, s26, v[15:16]
	v_mad_u64_u32 v[31:32], null, v39, s14, v[17:18]
	v_mul_lo_u32 v15, v28, s15
	v_mul_lo_u32 v17, v34, s15
	v_mad_u64_u32 v[33:34], null, v33, s14, v[18:19]
	v_ashrrev_i32_e32 v24, 31, v23
	v_mov_b32_e32 v26, 0
	v_ashrrev_i32_e32 v32, 31, v31
	v_mad_u64_u32 v[35:36], null, v35, s30, v[16:17]
	v_mad_u64_u32 v[15:16], null, v37, s14, v[15:16]
	;; [unrolled: 1-line block ×3, first 2 shown]
	v_ashrrev_i32_e32 v34, 31, v33
	v_lshlrev_b64 v[31:32], 2, v[31:32]
	v_ashrrev_i32_e32 v36, 31, v35
	v_lshlrev_b64 v[23:24], 2, v[23:24]
	;; [unrolled: 2-line block ×3, first 2 shown]
	v_ashrrev_i32_e32 v18, 31, v17
	v_add_co_u32 v31, vcc_lo, s12, v31
	v_lshlrev_b64 v[15:16], 2, v[15:16]
	v_add_co_ci_u32_e64 v32, null, s13, v32, vcc_lo
	v_lshlrev_b64 v[17:18], 2, v[17:18]
	v_add_co_u32 v33, vcc_lo, s12, v33
	v_add_co_ci_u32_e64 v34, null, s13, v34, vcc_lo
	v_add_co_u32 v37, vcc_lo, s12, v15
	v_add_co_ci_u32_e64 v38, null, s13, v16, vcc_lo
	v_lshlrev_b64 v[15:16], 2, v[35:36]
	v_add_co_u32 v39, vcc_lo, s12, v17
	v_add_co_ci_u32_e64 v40, null, s13, v18, vcc_lo
	v_add_co_u32 v23, vcc_lo, s20, v23
	v_add_co_ci_u32_e64 v24, null, s21, v24, vcc_lo
	;; [unrolled: 2-line block ×3, first 2 shown]
	s_clause 0x3
	global_load_dword v16, v[31:32], off
	global_load_dword v17, v[33:34], off
	;; [unrolled: 1-line block ×6, first 2 shown]
	s_andn2_b32 vcc_lo, exec_lo, s35
	s_cbranch_vccnz .LBB21_5
; %bb.4:                                ;   in Loop: Header=BB21_3 Depth=1
	v_mul_hi_u32 v26, v11, v9
	v_mul_lo_u32 v28, v26, s47
	v_add_nc_u32_e32 v31, 1, v26
	v_sub_nc_u32_e32 v28, v11, v28
	v_subrev_nc_u32_e32 v32, s47, v28
	v_cmp_le_u32_e32 vcc_lo, s47, v28
	v_cndmask_b32_e32 v26, v26, v31, vcc_lo
	v_cndmask_b32_e32 v28, v28, v32, vcc_lo
	v_xor_b32_e32 v32, s53, v12
	v_add_nc_u32_e32 v31, 1, v26
	v_cmp_le_u32_e32 vcc_lo, s47, v28
	v_cndmask_b32_e32 v26, v26, v31, vcc_lo
	v_xor_b32_e32 v26, v26, v32
	v_sub_nc_u32_e32 v28, v26, v32
	v_mad_u64_u32 v[31:32], null, s59, v28, v[0:1]
	v_mul_lo_u32 v26, v31, s11
	v_mad_u64_u32 v[31:32], null, v28, s10, v[26:27]
	v_ashrrev_i32_e32 v32, 31, v31
	v_lshlrev_b64 v[31:32], 2, v[31:32]
	v_add_co_u32 v31, vcc_lo, s6, v31
	v_add_co_ci_u32_e64 v32, null, s7, v32, vcc_lo
	global_load_dword v26, v[31:32], off
.LBB21_5:                               ;   in Loop: Header=BB21_3 Depth=1
	s_andn2_b32 vcc_lo, exec_lo, s36
	s_cbranch_vccnz .LBB21_10
; %bb.6:                                ;   in Loop: Header=BB21_3 Depth=1
	v_mul_hi_u32 v28, v11, v10
	v_mul_lo_u32 v31, v28, s48
	v_add_nc_u32_e32 v32, 1, v28
	v_sub_nc_u32_e32 v31, v11, v31
	v_subrev_nc_u32_e32 v33, s48, v31
	v_cmp_le_u32_e32 vcc_lo, s48, v31
	v_cndmask_b32_e32 v28, v28, v32, vcc_lo
	v_cndmask_b32_e32 v31, v31, v33, vcc_lo
	v_xor_b32_e32 v33, s54, v12
	v_add_nc_u32_e32 v32, 1, v28
	v_cmp_le_u32_e32 vcc_lo, s48, v31
	v_cndmask_b32_e32 v28, v28, v32, vcc_lo
	v_xor_b32_e32 v28, v28, v33
	v_sub_nc_u32_e32 v33, v28, v33
	v_mad_u64_u32 v[31:32], null, s60, v33, v[0:1]
	v_mul_lo_u32 v28, v31, s23
	v_mad_u64_u32 v[31:32], null, v33, s22, v[28:29]
	v_ashrrev_i32_e32 v32, 31, v31
	v_lshlrev_b64 v[31:32], 2, v[31:32]
	v_add_co_u32 v31, vcc_lo, s8, v31
	v_add_co_ci_u32_e64 v32, null, s9, v32, vcc_lo
	global_load_dword v28, v[31:32], off
	s_waitcnt vmcnt(1)
	v_cmp_ngt_f32_e64 s0, 0x3f200000, |v24|
                                        ; implicit-def: $vgpr31
	s_and_saveexec_b32 s1, s0
	s_xor_b32 s0, exec_lo, s1
	s_cbranch_execz .LBB21_8
.LBB21_7:                               ;   in Loop: Header=BB21_3 Depth=1
	v_add_f32_e64 v31, |v24|, |v24|
	v_mul_f32_e32 v32, 0x3fb8aa3b, v31
	v_cmp_ngt_f32_e32 vcc_lo, 0xc2ce8ed0, v31
	v_rndne_f32_e32 v33, v32
	v_fma_f32 v34, 0x3fb8aa3b, v31, -v32
	v_sub_f32_e32 v32, v32, v33
	v_fmac_f32_e32 v34, 0x32a5705f, v31
	v_cvt_i32_f32_e32 v33, v33
	v_add_f32_e32 v32, v32, v34
	v_exp_f32_e32 v32, v32
	v_ldexp_f32 v32, v32, v33
	v_cndmask_b32_e32 v32, 0, v32, vcc_lo
	v_cmp_nlt_f32_e32 vcc_lo, 0x42b17218, v31
	v_cndmask_b32_e32 v31, 0x7f800000, v32, vcc_lo
	v_add_f32_e32 v31, 1.0, v31
	v_rcp_f32_e32 v31, v31
	v_fma_f32 v31, v31, -2.0, 1.0
.LBB21_8:                               ;   in Loop: Header=BB21_3 Depth=1
	s_andn2_saveexec_b32 s0, s0
	s_cbranch_execz .LBB21_2
; %bb.9:                                ;   in Loop: Header=BB21_3 Depth=1
	v_mul_f32_e32 v31, v24, v24
	v_fmaak_f32 v32, s61, v31, 0x3ca908c9
	v_fmaak_f32 v32, v31, v32, 0xbd5c1c4e
	;; [unrolled: 1-line block ×4, first 2 shown]
	v_mul_f32_e64 v32, |v24|, v32
	v_fma_f32 v31, v31, v32, |v24|
	s_branch .LBB21_2
.LBB21_10:                              ;   in Loop: Header=BB21_3 Depth=1
	v_mov_b32_e32 v28, 0
	s_waitcnt vmcnt(0)
	v_cmp_ngt_f32_e64 s0, 0x3f200000, |v24|
                                        ; implicit-def: $vgpr31
	s_and_saveexec_b32 s1, s0
	s_xor_b32 s0, exec_lo, s1
	s_cbranch_execz .LBB21_8
	s_branch .LBB21_7
.LBB21_11:
	s_endpgm
	.section	.rodata,"a",@progbits
	.p2align	6, 0x0
	.amdhsa_kernel _ZN2at6native12_GLOBAL__N_16kernel18lstm_cell_backwardIffiLi2EEEvNS_4cuda6detail10TensorInfoIT_T1_EES9_S9_S9_S9_S9_S9_S8_S8_
		.amdhsa_group_segment_fixed_size 0
		.amdhsa_private_segment_fixed_size 0
		.amdhsa_kernarg_size 1776
		.amdhsa_user_sgpr_count 6
		.amdhsa_user_sgpr_private_segment_buffer 1
		.amdhsa_user_sgpr_dispatch_ptr 0
		.amdhsa_user_sgpr_queue_ptr 0
		.amdhsa_user_sgpr_kernarg_segment_ptr 1
		.amdhsa_user_sgpr_dispatch_id 0
		.amdhsa_user_sgpr_flat_scratch_init 0
		.amdhsa_user_sgpr_private_segment_size 0
		.amdhsa_wavefront_size32 1
		.amdhsa_uses_dynamic_stack 0
		.amdhsa_system_sgpr_private_segment_wavefront_offset 0
		.amdhsa_system_sgpr_workgroup_id_x 1
		.amdhsa_system_sgpr_workgroup_id_y 0
		.amdhsa_system_sgpr_workgroup_id_z 0
		.amdhsa_system_sgpr_workgroup_info 0
		.amdhsa_system_vgpr_workitem_id 0
		.amdhsa_next_free_vgpr 46
		.amdhsa_next_free_sgpr 62
		.amdhsa_reserve_vcc 1
		.amdhsa_reserve_flat_scratch 0
		.amdhsa_float_round_mode_32 0
		.amdhsa_float_round_mode_16_64 0
		.amdhsa_float_denorm_mode_32 3
		.amdhsa_float_denorm_mode_16_64 3
		.amdhsa_dx10_clamp 1
		.amdhsa_ieee_mode 1
		.amdhsa_fp16_overflow 0
		.amdhsa_workgroup_processor_mode 1
		.amdhsa_memory_ordered 1
		.amdhsa_forward_progress 1
		.amdhsa_shared_vgpr_count 0
		.amdhsa_exception_fp_ieee_invalid_op 0
		.amdhsa_exception_fp_denorm_src 0
		.amdhsa_exception_fp_ieee_div_zero 0
		.amdhsa_exception_fp_ieee_overflow 0
		.amdhsa_exception_fp_ieee_underflow 0
		.amdhsa_exception_fp_ieee_inexact 0
		.amdhsa_exception_int_div_zero 0
	.end_amdhsa_kernel
	.section	.text._ZN2at6native12_GLOBAL__N_16kernel18lstm_cell_backwardIffiLi2EEEvNS_4cuda6detail10TensorInfoIT_T1_EES9_S9_S9_S9_S9_S9_S8_S8_,"axG",@progbits,_ZN2at6native12_GLOBAL__N_16kernel18lstm_cell_backwardIffiLi2EEEvNS_4cuda6detail10TensorInfoIT_T1_EES9_S9_S9_S9_S9_S9_S8_S8_,comdat
.Lfunc_end21:
	.size	_ZN2at6native12_GLOBAL__N_16kernel18lstm_cell_backwardIffiLi2EEEvNS_4cuda6detail10TensorInfoIT_T1_EES9_S9_S9_S9_S9_S9_S8_S8_, .Lfunc_end21-_ZN2at6native12_GLOBAL__N_16kernel18lstm_cell_backwardIffiLi2EEEvNS_4cuda6detail10TensorInfoIT_T1_EES9_S9_S9_S9_S9_S9_S8_S8_
                                        ; -- End function
	.set _ZN2at6native12_GLOBAL__N_16kernel18lstm_cell_backwardIffiLi2EEEvNS_4cuda6detail10TensorInfoIT_T1_EES9_S9_S9_S9_S9_S9_S8_S8_.num_vgpr, 46
	.set _ZN2at6native12_GLOBAL__N_16kernel18lstm_cell_backwardIffiLi2EEEvNS_4cuda6detail10TensorInfoIT_T1_EES9_S9_S9_S9_S9_S9_S8_S8_.num_agpr, 0
	.set _ZN2at6native12_GLOBAL__N_16kernel18lstm_cell_backwardIffiLi2EEEvNS_4cuda6detail10TensorInfoIT_T1_EES9_S9_S9_S9_S9_S9_S8_S8_.numbered_sgpr, 62
	.set _ZN2at6native12_GLOBAL__N_16kernel18lstm_cell_backwardIffiLi2EEEvNS_4cuda6detail10TensorInfoIT_T1_EES9_S9_S9_S9_S9_S9_S8_S8_.num_named_barrier, 0
	.set _ZN2at6native12_GLOBAL__N_16kernel18lstm_cell_backwardIffiLi2EEEvNS_4cuda6detail10TensorInfoIT_T1_EES9_S9_S9_S9_S9_S9_S8_S8_.private_seg_size, 0
	.set _ZN2at6native12_GLOBAL__N_16kernel18lstm_cell_backwardIffiLi2EEEvNS_4cuda6detail10TensorInfoIT_T1_EES9_S9_S9_S9_S9_S9_S8_S8_.uses_vcc, 1
	.set _ZN2at6native12_GLOBAL__N_16kernel18lstm_cell_backwardIffiLi2EEEvNS_4cuda6detail10TensorInfoIT_T1_EES9_S9_S9_S9_S9_S9_S8_S8_.uses_flat_scratch, 0
	.set _ZN2at6native12_GLOBAL__N_16kernel18lstm_cell_backwardIffiLi2EEEvNS_4cuda6detail10TensorInfoIT_T1_EES9_S9_S9_S9_S9_S9_S8_S8_.has_dyn_sized_stack, 0
	.set _ZN2at6native12_GLOBAL__N_16kernel18lstm_cell_backwardIffiLi2EEEvNS_4cuda6detail10TensorInfoIT_T1_EES9_S9_S9_S9_S9_S9_S8_S8_.has_recursion, 0
	.set _ZN2at6native12_GLOBAL__N_16kernel18lstm_cell_backwardIffiLi2EEEvNS_4cuda6detail10TensorInfoIT_T1_EES9_S9_S9_S9_S9_S9_S8_S8_.has_indirect_call, 0
	.section	.AMDGPU.csdata,"",@progbits
; Kernel info:
; codeLenInByte = 3068
; TotalNumSgprs: 64
; NumVgprs: 46
; ScratchSize: 0
; MemoryBound: 0
; FloatMode: 240
; IeeeMode: 1
; LDSByteSize: 0 bytes/workgroup (compile time only)
; SGPRBlocks: 0
; VGPRBlocks: 5
; NumSGPRsForWavesPerEU: 64
; NumVGPRsForWavesPerEU: 46
; Occupancy: 16
; WaveLimiterHint : 1
; COMPUTE_PGM_RSRC2:SCRATCH_EN: 0
; COMPUTE_PGM_RSRC2:USER_SGPR: 6
; COMPUTE_PGM_RSRC2:TRAP_HANDLER: 0
; COMPUTE_PGM_RSRC2:TGID_X_EN: 1
; COMPUTE_PGM_RSRC2:TGID_Y_EN: 0
; COMPUTE_PGM_RSRC2:TGID_Z_EN: 0
; COMPUTE_PGM_RSRC2:TIDIG_COMP_CNT: 0
	.section	.text._ZN2at6native12_GLOBAL__N_16kernel18lstm_cell_backwardIfflLi1EEEvNS_4cuda6detail10TensorInfoIT_T1_EES9_S9_S9_S9_S9_S9_S8_S8_,"axG",@progbits,_ZN2at6native12_GLOBAL__N_16kernel18lstm_cell_backwardIfflLi1EEEvNS_4cuda6detail10TensorInfoIT_T1_EES9_S9_S9_S9_S9_S9_S8_S8_,comdat
	.globl	_ZN2at6native12_GLOBAL__N_16kernel18lstm_cell_backwardIfflLi1EEEvNS_4cuda6detail10TensorInfoIT_T1_EES9_S9_S9_S9_S9_S9_S8_S8_ ; -- Begin function _ZN2at6native12_GLOBAL__N_16kernel18lstm_cell_backwardIfflLi1EEEvNS_4cuda6detail10TensorInfoIT_T1_EES9_S9_S9_S9_S9_S9_S8_S8_
	.p2align	8
	.type	_ZN2at6native12_GLOBAL__N_16kernel18lstm_cell_backwardIfflLi1EEEvNS_4cuda6detail10TensorInfoIT_T1_EES9_S9_S9_S9_S9_S9_S8_S8_,@function
_ZN2at6native12_GLOBAL__N_16kernel18lstm_cell_backwardIfflLi1EEEvNS_4cuda6detail10TensorInfoIT_T1_EES9_S9_S9_S9_S9_S9_S8_S8_: ; @_ZN2at6native12_GLOBAL__N_16kernel18lstm_cell_backwardIfflLi1EEEvNS_4cuda6detail10TensorInfoIT_T1_EES9_S9_S9_S9_S9_S9_S8_S8_
; %bb.0:
	s_clause 0x1
	s_load_dword s0, s[4:5], 0xb7c
	s_load_dwordx4 s[8:11], s[4:5], 0xb60
	v_mov_b32_e32 v1, 0
	s_add_u32 s2, s4, 0xb70
	s_addc_u32 s3, s5, 0
	s_waitcnt lgkmcnt(0)
	s_and_b32 s16, s0, 0xffff
	s_mov_b32 s0, exec_lo
	v_mad_u64_u32 v[3:4], null, s6, s16, v[0:1]
	v_mov_b32_e32 v4, v1
	v_cmpx_gt_i64_e64 s[10:11], v[3:4]
	s_cbranch_execz .LBB22_15
; %bb.1:
	s_clause 0x2
	s_load_dwordx2 s[36:37], s[4:5], 0x410
	s_load_dwordx2 s[20:21], s[4:5], 0x680
	;; [unrolled: 1-line block ×3, first 2 shown]
	s_load_dword s17, s[2:3], 0x0
	s_clause 0xa
	s_load_dwordx2 s[38:39], s[4:5], 0x340
	s_load_dwordx2 s[40:41], s[4:5], 0x4e0
	;; [unrolled: 1-line block ×11, first 2 shown]
	s_mul_i32 s4, s9, 3
	s_mul_hi_u32 s5, s8, 3
	s_mov_b32 s28, 0
	s_mul_i32 s34, s8, 3
	s_waitcnt lgkmcnt(0)
	v_mul_lo_u32 v0, 0, s36
	v_mul_lo_u32 v2, v3, s37
	v_mad_u64_u32 v[5:6], null, v3, s36, 0
	s_cmp_lg_u64 s[20:21], 0
	s_mul_i32 s29, s17, s16
	v_mul_lo_u32 v9, 0, s42
	v_mad_u64_u32 v[7:8], null, v3, s42, 0
	s_cselect_b32 s30, -1, 0
	v_add3_u32 v6, v6, v2, v0
	v_mul_lo_u32 v0, v3, s43
	v_mad_u64_u32 v[11:12], null, v3, s24, 0
	v_mul_lo_u32 v2, v3, s19
	v_mad_u64_u32 v[13:14], null, v3, s22, 0
	v_lshlrev_b64 v[5:6], 2, v[5:6]
	s_cmp_lg_u64 s[0:1], 0
	v_add3_u32 v8, v8, v0, v9
	v_mul_lo_u32 v0, 0, s18
	v_mad_u64_u32 v[9:10], null, v3, s18, 0
	v_add_co_u32 v5, vcc_lo, s38, v5
	v_lshlrev_b64 v[7:8], 2, v[7:8]
	v_add_co_ci_u32_e64 v6, null, s39, v6, vcc_lo
	s_cselect_b32 s31, -1, 0
	v_add3_u32 v10, v10, v2, v0
	v_mul_lo_u32 v0, 0, s24
	v_mul_lo_u32 v2, v3, s25
	v_add_co_u32 v7, vcc_lo, s40, v7
	v_lshlrev_b64 v[9:10], 2, v[9:10]
	v_add_co_ci_u32_e64 v8, null, s41, v8, vcc_lo
	s_add_i32 s33, s5, s4
	s_mul_i32 s4, s29, s37
	v_add3_u32 v12, v12, v2, v0
	v_mul_lo_u32 v0, 0, s22
	v_mul_lo_u32 v2, v3, s23
	v_add_co_u32 v9, vcc_lo, s26, v9
	v_lshlrev_b64 v[11:12], 2, v[11:12]
	v_add_co_ci_u32_e64 v10, null, s27, v10, vcc_lo
	s_mul_hi_u32 s5, s29, s36
	s_mul_i32 s16, s29, s43
	v_add3_u32 v14, v14, v2, v0
	v_add_co_u32 v11, vcc_lo, s20, v11
	v_add_co_ci_u32_e64 v12, null, s21, v12, vcc_lo
	v_lshlrev_b64 v[13:14], 2, v[13:14]
	s_mul_hi_u32 s17, s29, s42
	s_mul_i32 s19, s29, s19
	s_mul_hi_u32 s35, s29, s18
	s_mul_i32 s25, s29, s25
	s_mul_hi_u32 s26, s29, s24
	v_add_co_u32 v13, vcc_lo, s0, v13
	s_mul_i32 s20, s29, s24
	s_mul_i32 s23, s29, s23
	s_mul_hi_u32 s24, s29, s22
	v_add_co_ci_u32_e64 v14, null, s1, v14, vcc_lo
	s_add_i32 s5, s5, s4
	s_mul_i32 s4, s29, s36
	s_add_i32 s17, s17, s16
	s_mul_i32 s16, s29, s42
	;; [unrolled: 2-line block ×3, first 2 shown]
	s_add_i32 s21, s26, s25
	s_add_i32 s23, s24, s23
	s_mul_i32 s22, s29, s22
	s_lshl_b64 s[4:5], s[4:5], 2
	s_lshl_b64 s[16:17], s[16:17], 2
	;; [unrolled: 1-line block ×5, first 2 shown]
	s_ashr_i32 s24, s9, 31
	s_mov_b32 s1, 0xbbbac73d
	s_branch .LBB22_3
.LBB22_2:                               ;   in Loop: Header=BB22_3 Depth=1
	s_or_b32 exec_lo, exec_lo, s0
	v_mul_lo_u32 v21, v21, s14
	v_mul_lo_u32 v32, v15, s15
	v_mad_u64_u32 v[30:31], null, v15, s14, 0
	v_mul_lo_u32 v27, v27, s14
	v_mul_lo_u32 v33, v16, s15
	v_mad_u64_u32 v[15:16], null, v16, s14, 0
	v_add_co_u32 v13, s0, v13, s22
	v_add3_u32 v31, v31, v32, v21
	v_mul_lo_u32 v21, v26, s14
	v_mul_lo_u32 v32, v19, s15
	v_add_co_ci_u32_e64 v14, null, s23, v14, s0
	v_add3_u32 v16, v16, v33, v27
	v_lshlrev_b64 v[26:27], 2, v[30:31]
	v_mad_u64_u32 v[30:31], null, v19, s14, 0
	v_mul_lo_u32 v19, v23, s14
	v_bfi_b32 v23, 0x7fffffff, v29, v28
	v_mad_u64_u32 v[28:29], null, v17, s14, 0
	v_lshlrev_b64 v[15:16], 2, v[15:16]
	v_add_co_u32 v26, vcc_lo, s12, v26
	v_add3_u32 v31, v31, v32, v21
	v_mul_lo_u32 v21, v17, s15
	v_mul_f32_e32 v17, v18, v25
	v_fma_f32 v32, -v23, v23, 1.0
	v_add_co_ci_u32_e64 v27, null, s13, v27, vcc_lo
	v_lshlrev_b64 v[30:31], 2, v[30:31]
	v_add_co_u32 v15, vcc_lo, s12, v15
	v_fmac_f32_e32 v22, v17, v32
	v_add3_u32 v29, v29, v21, v19
	v_sub_f32_e32 v21, 1.0, v2
	v_mul_f32_e32 v23, v25, v23
	v_sub_f32_e32 v25, 1.0, v18
	v_mul_f32_e32 v17, v20, v22
	v_lshlrev_b64 v[28:29], 2, v[28:29]
	v_mul_f32_e32 v19, v24, v22
	v_sub_f32_e32 v24, 1.0, v0
	v_add_co_ci_u32_e64 v16, null, s13, v16, vcc_lo
	v_add_co_u32 v30, vcc_lo, s12, v30
	v_mul_f32_e32 v17, v21, v17
	v_mul_f32_e32 v21, v24, v19
	v_add_co_ci_u32_e64 v31, null, s13, v31, vcc_lo
	v_mul_f32_e32 v32, v2, v22
	v_fma_f32 v24, -v20, v20, 1.0
	v_add_co_u32 v19, vcc_lo, s12, v28
	v_mul_f32_e32 v23, v25, v23
	v_add_co_ci_u32_e64 v20, null, s13, v29, vcc_lo
	v_add_co_u32 v3, vcc_lo, v3, s29
	v_mul_f32_e32 v2, v2, v17
	v_mul_f32_e32 v17, v0, v21
	v_add_co_ci_u32_e64 v4, null, 0, v4, vcc_lo
	v_add_co_u32 v5, vcc_lo, v5, s4
	v_mul_f32_e32 v21, v24, v32
	;; [unrolled: 4-line block ×3, first 2 shown]
	global_store_dword v[26:27], v2, off
	global_store_dword v[15:16], v17, off
	;; [unrolled: 1-line block ×5, first 2 shown]
	v_add_co_ci_u32_e64 v8, null, s17, v8, vcc_lo
	v_add_co_u32 v9, vcc_lo, v9, s18
	v_add_co_ci_u32_e64 v10, null, s19, v10, vcc_lo
	v_add_co_u32 v11, vcc_lo, v11, s20
	v_add_co_ci_u32_e64 v12, null, s21, v12, vcc_lo
	v_cmp_le_i64_e32 vcc_lo, s[10:11], v[3:4]
	s_or_b32 s28, vcc_lo, s28
	s_andn2_b32 exec_lo, exec_lo, s28
	s_cbranch_execz .LBB22_15
.LBB22_3:                               ; =>This Inner Loop Header: Depth=1
	v_or_b32_e32 v2, s9, v4
                                        ; implicit-def: $vgpr17_vgpr18
	s_mov_b32 s0, exec_lo
	v_cmpx_ne_u64_e32 0, v[1:2]
	s_xor_b32 s35, exec_lo, s0
	s_cbranch_execz .LBB22_5
; %bb.4:                                ;   in Loop: Header=BB22_3 Depth=1
	s_add_u32 s26, s8, s24
	s_mov_b32 s25, s24
	s_addc_u32 s27, s9, s24
	v_ashrrev_i32_e32 v21, 31, v4
	s_xor_b64 s[26:27], s[26:27], s[24:25]
	v_cvt_f32_u32_e32 v0, s26
	v_cvt_f32_u32_e32 v2, s27
	s_sub_u32 s0, 0, s26
	s_subb_u32 s37, 0, s27
	v_add_co_u32 v15, vcc_lo, v3, v21
	v_fmac_f32_e32 v0, 0x4f800000, v2
	v_rcp_f32_e32 v0, v0
	v_mul_f32_e32 v0, 0x5f7ffffc, v0
	v_mul_f32_e32 v2, 0x2f800000, v0
	v_trunc_f32_e32 v2, v2
	v_fmac_f32_e32 v0, 0xcf800000, v2
	v_cvt_u32_f32_e32 v2, v2
	v_cvt_u32_f32_e32 v0, v0
	v_readfirstlane_b32 s25, v2
	v_xor_b32_e32 v2, v15, v21
	v_readfirstlane_b32 s36, v0
	s_mul_i32 s38, s0, s25
	v_add_co_ci_u32_e64 v0, null, v4, v21, vcc_lo
	s_mul_hi_u32 s40, s0, s36
	s_mul_i32 s39, s37, s36
	s_add_i32 s38, s40, s38
	s_mul_i32 s41, s0, s36
	s_add_i32 s38, s38, s39
	s_mul_hi_u32 s40, s36, s41
	s_mul_i32 s43, s36, s38
	s_mul_hi_u32 s42, s25, s41
	s_mul_i32 s39, s25, s41
	s_mul_hi_u32 s41, s36, s38
	s_add_u32 s40, s40, s43
	s_addc_u32 s41, 0, s41
	s_mul_hi_u32 s44, s25, s38
	s_add_u32 s39, s40, s39
	s_mul_i32 s38, s25, s38
	s_addc_u32 s39, s41, s42
	s_addc_u32 s40, s44, 0
	s_add_u32 s38, s39, s38
	s_addc_u32 s39, 0, s40
	s_add_u32 s36, s36, s38
	s_cselect_b32 s38, -1, 0
	s_mul_hi_u32 s40, s0, s36
	s_cmp_lg_u32 s38, 0
	s_mul_i32 s38, s0, s36
	s_addc_u32 s25, s25, s39
	s_mul_i32 s37, s37, s36
	s_mul_i32 s0, s0, s25
	s_mul_hi_u32 s39, s36, s38
	s_add_i32 s0, s40, s0
	s_mul_hi_u32 s40, s25, s38
	s_add_i32 s0, s0, s37
	s_mul_i32 s37, s25, s38
	s_mul_i32 s42, s36, s0
	s_mul_hi_u32 s41, s36, s0
	s_add_u32 s39, s39, s42
	s_addc_u32 s41, 0, s41
	s_mul_hi_u32 s38, s25, s0
	s_add_u32 s37, s39, s37
	s_mul_i32 s0, s25, s0
	s_addc_u32 s37, s41, s40
	s_addc_u32 s38, s38, 0
	s_add_u32 s0, s37, s0
	s_addc_u32 s37, 0, s38
	s_add_u32 s0, s36, s0
	s_cselect_b32 s36, -1, 0
	v_xor_b32_e32 v0, v0, v21
	s_cmp_lg_u32 s36, 0
	v_mul_hi_u32 v22, v2, s0
	s_addc_u32 s25, s25, s37
	v_mad_u64_u32 v[15:16], null, v2, s25, 0
	v_mad_u64_u32 v[17:18], null, v0, s0, 0
	;; [unrolled: 1-line block ×3, first 2 shown]
	v_add_co_u32 v15, vcc_lo, v22, v15
	v_add_co_ci_u32_e64 v16, null, 0, v16, vcc_lo
	v_add_co_u32 v15, vcc_lo, v15, v17
	v_add_co_ci_u32_e32 v15, vcc_lo, v16, v18, vcc_lo
	v_add_co_ci_u32_e32 v16, vcc_lo, 0, v20, vcc_lo
	v_add_co_u32 v17, vcc_lo, v15, v19
	v_add_co_ci_u32_e64 v18, null, 0, v16, vcc_lo
	v_mul_lo_u32 v19, s27, v17
	v_mad_u64_u32 v[15:16], null, s26, v17, 0
	v_mul_lo_u32 v20, s26, v18
	v_sub_co_u32 v2, vcc_lo, v2, v15
	v_add3_u32 v16, v16, v20, v19
	v_sub_nc_u32_e32 v19, v0, v16
	v_sub_co_ci_u32_e64 v0, null, v0, v16, vcc_lo
	v_subrev_co_ci_u32_e64 v15, null, s27, v19, vcc_lo
	v_add_co_u32 v19, s0, v17, 2
	v_add_co_ci_u32_e64 v20, null, 0, v18, s0
	v_sub_co_u32 v22, s0, v2, s26
	v_subrev_co_ci_u32_e64 v15, null, 0, v15, s0
	v_cmp_le_u32_e32 vcc_lo, s26, v22
	v_cndmask_b32_e64 v16, 0, -1, vcc_lo
	v_cmp_le_u32_e32 vcc_lo, s27, v15
	v_cndmask_b32_e64 v22, 0, -1, vcc_lo
	;; [unrolled: 2-line block ×4, first 2 shown]
	v_cmp_eq_u32_e32 vcc_lo, s27, v15
	v_cndmask_b32_e32 v15, v22, v16, vcc_lo
	v_add_co_u32 v16, vcc_lo, v17, 1
	v_add_co_ci_u32_e64 v22, null, 0, v18, vcc_lo
	v_cmp_eq_u32_e32 vcc_lo, s27, v0
	v_cndmask_b32_e32 v0, v23, v2, vcc_lo
	v_cmp_ne_u32_e32 vcc_lo, 0, v15
	v_xor_b32_e32 v15, s24, v21
	v_cmp_ne_u32_e64 s0, 0, v0
	v_cndmask_b32_e32 v0, v16, v19, vcc_lo
	v_cndmask_b32_e32 v2, v22, v20, vcc_lo
	v_cndmask_b32_e64 v0, v17, v0, s0
	v_cndmask_b32_e64 v2, v18, v2, s0
	v_xor_b32_e32 v0, v0, v15
	v_xor_b32_e32 v2, v2, v15
	v_sub_co_u32 v17, vcc_lo, v0, v15
	v_sub_co_ci_u32_e64 v18, null, v2, v15, vcc_lo
.LBB22_5:                               ;   in Loop: Header=BB22_3 Depth=1
	s_andn2_saveexec_b32 s0, s35
	s_cbranch_execz .LBB22_7
; %bb.6:                                ;   in Loop: Header=BB22_3 Depth=1
	v_cvt_f32_u32_e32 v0, s8
	s_sub_i32 s25, 0, s8
	v_mov_b32_e32 v18, v1
	v_rcp_iflag_f32_e32 v0, v0
	v_mul_f32_e32 v0, 0x4f7ffffe, v0
	v_cvt_u32_f32_e32 v0, v0
	v_mul_lo_u32 v2, s25, v0
	v_mul_hi_u32 v2, v0, v2
	v_add_nc_u32_e32 v0, v0, v2
	v_mul_hi_u32 v0, v3, v0
	v_mul_lo_u32 v2, v0, s8
	v_add_nc_u32_e32 v15, 1, v0
	v_sub_nc_u32_e32 v2, v3, v2
	v_subrev_nc_u32_e32 v16, s8, v2
	v_cmp_le_u32_e32 vcc_lo, s8, v2
	v_cndmask_b32_e32 v2, v2, v16, vcc_lo
	v_cndmask_b32_e32 v0, v0, v15, vcc_lo
	v_cmp_le_u32_e32 vcc_lo, s8, v2
	v_add_nc_u32_e32 v15, 1, v0
	v_cndmask_b32_e32 v17, v0, v15, vcc_lo
.LBB22_7:                               ;   in Loop: Header=BB22_3 Depth=1
	s_or_b32 exec_lo, exec_lo, s0
	v_mad_u64_u32 v[19:20], null, v17, 3, 0
	v_mad_u64_u32 v[15:16], null, s34, v17, v[3:4]
	v_mul_lo_u32 v2, s34, v18
	v_mul_lo_u32 v17, s33, v17
	v_mov_b32_e32 v0, v20
	v_mad_u64_u32 v[24:25], null, v15, s6, 0
	v_add3_u32 v21, v17, v16, v2
	v_mad_u64_u32 v[22:23], null, v18, 3, v[0:1]
	v_add_co_u32 v2, vcc_lo, v19, 1
	v_mul_lo_u32 v0, v15, s7
	v_mul_lo_u32 v23, v21, s6
	;; [unrolled: 1-line block ×3, first 2 shown]
	v_add_co_ci_u32_e64 v18, null, 0, v22, vcc_lo
	v_mad_u64_u32 v[16:17], null, s8, v2, v[3:4]
	v_add_co_u32 v2, vcc_lo, v19, 2
	v_add_co_ci_u32_e64 v27, null, 0, v22, vcc_lo
	v_mul_lo_u32 v18, s8, v18
	v_add_co_u32 v28, vcc_lo, v19, 3
	v_add_co_ci_u32_e64 v22, null, 0, v22, vcc_lo
	v_mul_lo_u32 v29, s9, v2
	v_mad_u64_u32 v[19:20], null, s8, v2, v[3:4]
	v_mul_lo_u32 v2, s8, v27
	v_add3_u32 v27, v26, v17, v18
	v_mul_lo_u32 v30, s9, v28
	v_mad_u64_u32 v[17:18], null, s8, v28, v[3:4]
	v_mul_lo_u32 v22, s8, v22
	v_mul_lo_u32 v32, v27, s6
	v_add3_u32 v25, v25, v0, v23
	v_add3_u32 v26, v29, v20, v2
	v_mul_lo_u32 v2, v16, s7
	v_mad_u64_u32 v[28:29], null, v16, s6, 0
	v_mul_lo_u32 v20, v19, s7
	v_add3_u32 v23, v30, v18, v22
	v_mul_lo_u32 v0, v26, s6
	v_mad_u64_u32 v[30:31], null, v19, s6, 0
	v_mul_lo_u32 v18, v17, s7
	v_add3_u32 v29, v29, v2, v32
	v_mul_lo_u32 v2, v23, s6
	v_mad_u64_u32 v[32:33], null, v17, s6, 0
	v_lshlrev_b64 v[24:25], 2, v[24:25]
	v_add3_u32 v31, v31, v20, v0
	v_lshlrev_b64 v[28:29], 2, v[28:29]
	v_mov_b32_e32 v22, 0
	v_add3_u32 v33, v33, v18, v2
	v_lshlrev_b64 v[30:31], 2, v[30:31]
	v_add_co_u32 v24, vcc_lo, s2, v24
	v_add_co_ci_u32_e64 v25, null, s3, v25, vcc_lo
	v_lshlrev_b64 v[32:33], 2, v[32:33]
	v_add_co_u32 v28, vcc_lo, s2, v28
	v_add_co_ci_u32_e64 v29, null, s3, v29, vcc_lo
	v_add_co_u32 v30, vcc_lo, s2, v30
	v_add_co_ci_u32_e64 v31, null, s3, v31, vcc_lo
	;; [unrolled: 2-line block ×3, first 2 shown]
	s_clause 0x3
	global_load_dword v2, v[24:25], off
	global_load_dword v0, v[28:29], off
	;; [unrolled: 1-line block ×6, first 2 shown]
	v_mov_b32_e32 v25, 0
	s_andn2_b32 vcc_lo, exec_lo, s30
	s_cbranch_vccnz .LBB22_9
; %bb.8:                                ;   in Loop: Header=BB22_3 Depth=1
	global_load_dword v25, v[11:12], off
.LBB22_9:                               ;   in Loop: Header=BB22_3 Depth=1
	s_andn2_b32 vcc_lo, exec_lo, s31
	s_cbranch_vccnz .LBB22_11
; %bb.10:                               ;   in Loop: Header=BB22_3 Depth=1
	global_load_dword v22, v[13:14], off
.LBB22_11:                              ;   in Loop: Header=BB22_3 Depth=1
	s_waitcnt vmcnt(0)
	v_cmp_ngt_f32_e64 s0, 0x3f200000, |v28|
                                        ; implicit-def: $vgpr29
	s_and_saveexec_b32 s25, s0
	s_xor_b32 s0, exec_lo, s25
	s_cbranch_execz .LBB22_13
; %bb.12:                               ;   in Loop: Header=BB22_3 Depth=1
	v_add_f32_e64 v29, |v28|, |v28|
	v_mul_f32_e32 v30, 0x3fb8aa3b, v29
	v_cmp_ngt_f32_e32 vcc_lo, 0xc2ce8ed0, v29
	v_rndne_f32_e32 v31, v30
	v_fma_f32 v32, 0x3fb8aa3b, v29, -v30
	v_sub_f32_e32 v30, v30, v31
	v_fmac_f32_e32 v32, 0x32a5705f, v29
	v_cvt_i32_f32_e32 v31, v31
	v_add_f32_e32 v30, v30, v32
	v_exp_f32_e32 v30, v30
	v_ldexp_f32 v30, v30, v31
	v_cndmask_b32_e32 v30, 0, v30, vcc_lo
	v_cmp_nlt_f32_e32 vcc_lo, 0x42b17218, v29
	v_cndmask_b32_e32 v29, 0x7f800000, v30, vcc_lo
	v_add_f32_e32 v29, 1.0, v29
	v_rcp_f32_e32 v29, v29
	v_fma_f32 v29, v29, -2.0, 1.0
.LBB22_13:                              ;   in Loop: Header=BB22_3 Depth=1
	s_andn2_saveexec_b32 s0, s0
	s_cbranch_execz .LBB22_2
; %bb.14:                               ;   in Loop: Header=BB22_3 Depth=1
	v_mul_f32_e32 v29, v28, v28
	v_fmaak_f32 v30, s1, v29, 0x3ca908c9
	v_fmaak_f32 v30, v29, v30, 0xbd5c1c4e
	;; [unrolled: 1-line block ×4, first 2 shown]
	v_mul_f32_e64 v30, |v28|, v30
	v_fma_f32 v29, v29, v30, |v28|
	s_branch .LBB22_2
.LBB22_15:
	s_endpgm
	.section	.rodata,"a",@progbits
	.p2align	6, 0x0
	.amdhsa_kernel _ZN2at6native12_GLOBAL__N_16kernel18lstm_cell_backwardIfflLi1EEEvNS_4cuda6detail10TensorInfoIT_T1_EES9_S9_S9_S9_S9_S9_S8_S8_
		.amdhsa_group_segment_fixed_size 0
		.amdhsa_private_segment_fixed_size 0
		.amdhsa_kernarg_size 3184
		.amdhsa_user_sgpr_count 6
		.amdhsa_user_sgpr_private_segment_buffer 1
		.amdhsa_user_sgpr_dispatch_ptr 0
		.amdhsa_user_sgpr_queue_ptr 0
		.amdhsa_user_sgpr_kernarg_segment_ptr 1
		.amdhsa_user_sgpr_dispatch_id 0
		.amdhsa_user_sgpr_flat_scratch_init 0
		.amdhsa_user_sgpr_private_segment_size 0
		.amdhsa_wavefront_size32 1
		.amdhsa_uses_dynamic_stack 0
		.amdhsa_system_sgpr_private_segment_wavefront_offset 0
		.amdhsa_system_sgpr_workgroup_id_x 1
		.amdhsa_system_sgpr_workgroup_id_y 0
		.amdhsa_system_sgpr_workgroup_id_z 0
		.amdhsa_system_sgpr_workgroup_info 0
		.amdhsa_system_vgpr_workitem_id 0
		.amdhsa_next_free_vgpr 34
		.amdhsa_next_free_sgpr 45
		.amdhsa_reserve_vcc 1
		.amdhsa_reserve_flat_scratch 0
		.amdhsa_float_round_mode_32 0
		.amdhsa_float_round_mode_16_64 0
		.amdhsa_float_denorm_mode_32 3
		.amdhsa_float_denorm_mode_16_64 3
		.amdhsa_dx10_clamp 1
		.amdhsa_ieee_mode 1
		.amdhsa_fp16_overflow 0
		.amdhsa_workgroup_processor_mode 1
		.amdhsa_memory_ordered 1
		.amdhsa_forward_progress 1
		.amdhsa_shared_vgpr_count 0
		.amdhsa_exception_fp_ieee_invalid_op 0
		.amdhsa_exception_fp_denorm_src 0
		.amdhsa_exception_fp_ieee_div_zero 0
		.amdhsa_exception_fp_ieee_overflow 0
		.amdhsa_exception_fp_ieee_underflow 0
		.amdhsa_exception_fp_ieee_inexact 0
		.amdhsa_exception_int_div_zero 0
	.end_amdhsa_kernel
	.section	.text._ZN2at6native12_GLOBAL__N_16kernel18lstm_cell_backwardIfflLi1EEEvNS_4cuda6detail10TensorInfoIT_T1_EES9_S9_S9_S9_S9_S9_S8_S8_,"axG",@progbits,_ZN2at6native12_GLOBAL__N_16kernel18lstm_cell_backwardIfflLi1EEEvNS_4cuda6detail10TensorInfoIT_T1_EES9_S9_S9_S9_S9_S9_S8_S8_,comdat
.Lfunc_end22:
	.size	_ZN2at6native12_GLOBAL__N_16kernel18lstm_cell_backwardIfflLi1EEEvNS_4cuda6detail10TensorInfoIT_T1_EES9_S9_S9_S9_S9_S9_S8_S8_, .Lfunc_end22-_ZN2at6native12_GLOBAL__N_16kernel18lstm_cell_backwardIfflLi1EEEvNS_4cuda6detail10TensorInfoIT_T1_EES9_S9_S9_S9_S9_S9_S8_S8_
                                        ; -- End function
	.set _ZN2at6native12_GLOBAL__N_16kernel18lstm_cell_backwardIfflLi1EEEvNS_4cuda6detail10TensorInfoIT_T1_EES9_S9_S9_S9_S9_S9_S8_S8_.num_vgpr, 34
	.set _ZN2at6native12_GLOBAL__N_16kernel18lstm_cell_backwardIfflLi1EEEvNS_4cuda6detail10TensorInfoIT_T1_EES9_S9_S9_S9_S9_S9_S8_S8_.num_agpr, 0
	.set _ZN2at6native12_GLOBAL__N_16kernel18lstm_cell_backwardIfflLi1EEEvNS_4cuda6detail10TensorInfoIT_T1_EES9_S9_S9_S9_S9_S9_S8_S8_.numbered_sgpr, 45
	.set _ZN2at6native12_GLOBAL__N_16kernel18lstm_cell_backwardIfflLi1EEEvNS_4cuda6detail10TensorInfoIT_T1_EES9_S9_S9_S9_S9_S9_S8_S8_.num_named_barrier, 0
	.set _ZN2at6native12_GLOBAL__N_16kernel18lstm_cell_backwardIfflLi1EEEvNS_4cuda6detail10TensorInfoIT_T1_EES9_S9_S9_S9_S9_S9_S8_S8_.private_seg_size, 0
	.set _ZN2at6native12_GLOBAL__N_16kernel18lstm_cell_backwardIfflLi1EEEvNS_4cuda6detail10TensorInfoIT_T1_EES9_S9_S9_S9_S9_S9_S8_S8_.uses_vcc, 1
	.set _ZN2at6native12_GLOBAL__N_16kernel18lstm_cell_backwardIfflLi1EEEvNS_4cuda6detail10TensorInfoIT_T1_EES9_S9_S9_S9_S9_S9_S8_S8_.uses_flat_scratch, 0
	.set _ZN2at6native12_GLOBAL__N_16kernel18lstm_cell_backwardIfflLi1EEEvNS_4cuda6detail10TensorInfoIT_T1_EES9_S9_S9_S9_S9_S9_S8_S8_.has_dyn_sized_stack, 0
	.set _ZN2at6native12_GLOBAL__N_16kernel18lstm_cell_backwardIfflLi1EEEvNS_4cuda6detail10TensorInfoIT_T1_EES9_S9_S9_S9_S9_S9_S8_S8_.has_recursion, 0
	.set _ZN2at6native12_GLOBAL__N_16kernel18lstm_cell_backwardIfflLi1EEEvNS_4cuda6detail10TensorInfoIT_T1_EES9_S9_S9_S9_S9_S9_S8_S8_.has_indirect_call, 0
	.section	.AMDGPU.csdata,"",@progbits
; Kernel info:
; codeLenInByte = 2592
; TotalNumSgprs: 47
; NumVgprs: 34
; ScratchSize: 0
; MemoryBound: 0
; FloatMode: 240
; IeeeMode: 1
; LDSByteSize: 0 bytes/workgroup (compile time only)
; SGPRBlocks: 0
; VGPRBlocks: 4
; NumSGPRsForWavesPerEU: 47
; NumVGPRsForWavesPerEU: 34
; Occupancy: 16
; WaveLimiterHint : 1
; COMPUTE_PGM_RSRC2:SCRATCH_EN: 0
; COMPUTE_PGM_RSRC2:USER_SGPR: 6
; COMPUTE_PGM_RSRC2:TRAP_HANDLER: 0
; COMPUTE_PGM_RSRC2:TGID_X_EN: 1
; COMPUTE_PGM_RSRC2:TGID_Y_EN: 0
; COMPUTE_PGM_RSRC2:TGID_Z_EN: 0
; COMPUTE_PGM_RSRC2:TIDIG_COMP_CNT: 0
	.section	.text._ZN2at6native12_GLOBAL__N_16kernel18lstm_cell_backwardIfflLi2EEEvNS_4cuda6detail10TensorInfoIT_T1_EES9_S9_S9_S9_S9_S9_S8_S8_,"axG",@progbits,_ZN2at6native12_GLOBAL__N_16kernel18lstm_cell_backwardIfflLi2EEEvNS_4cuda6detail10TensorInfoIT_T1_EES9_S9_S9_S9_S9_S9_S8_S8_,comdat
	.globl	_ZN2at6native12_GLOBAL__N_16kernel18lstm_cell_backwardIfflLi2EEEvNS_4cuda6detail10TensorInfoIT_T1_EES9_S9_S9_S9_S9_S9_S8_S8_ ; -- Begin function _ZN2at6native12_GLOBAL__N_16kernel18lstm_cell_backwardIfflLi2EEEvNS_4cuda6detail10TensorInfoIT_T1_EES9_S9_S9_S9_S9_S9_S8_S8_
	.p2align	8
	.type	_ZN2at6native12_GLOBAL__N_16kernel18lstm_cell_backwardIfflLi2EEEvNS_4cuda6detail10TensorInfoIT_T1_EES9_S9_S9_S9_S9_S9_S8_S8_,@function
_ZN2at6native12_GLOBAL__N_16kernel18lstm_cell_backwardIfflLi2EEEvNS_4cuda6detail10TensorInfoIT_T1_EES9_S9_S9_S9_S9_S9_S8_S8_: ; @_ZN2at6native12_GLOBAL__N_16kernel18lstm_cell_backwardIfflLi2EEEvNS_4cuda6detail10TensorInfoIT_T1_EES9_S9_S9_S9_S9_S9_S8_S8_
; %bb.0:
	s_clause 0x1
	s_load_dword s2, s[4:5], 0xb7c
	s_load_dwordx4 s[8:11], s[4:5], 0xb60
	v_mov_b32_e32 v1, 0
	s_add_u32 s0, s4, 0xb70
	s_addc_u32 s1, s5, 0
	s_waitcnt lgkmcnt(0)
	s_and_b32 s64, s2, 0xffff
	s_mov_b32 s2, exec_lo
	v_mad_u64_u32 v[3:4], null, s6, s64, v[0:1]
	v_mov_b32_e32 v4, v1
	v_cmpx_gt_i64_e64 s[10:11], v[3:4]
	s_cbranch_execz .LBB23_67
; %bb.1:
	s_clause 0x6
	s_load_dwordx2 s[2:3], s[4:5], 0x680
	s_load_dwordx2 s[34:35], s[4:5], 0x0
	;; [unrolled: 1-line block ×3, first 2 shown]
	s_load_dwordx4 s[12:15], s[4:5], 0x750
	s_load_dwordx2 s[42:43], s[4:5], 0x820
	s_load_dwordx4 s[16:19], s[4:5], 0xd0
	s_load_dwordx2 s[44:45], s[4:5], 0x1a0
	s_load_dword s0, s[0:1], 0x0
	s_clause 0xa
	s_load_dwordx2 s[46:47], s[4:5], 0x1b0
	s_load_dwordx4 s[20:23], s[4:5], 0x270
	s_load_dwordx2 s[48:49], s[4:5], 0x340
	s_load_dwordx2 s[50:51], s[4:5], 0x350
	s_load_dwordx4 s[24:27], s[4:5], 0x410
	s_load_dwordx2 s[52:53], s[4:5], 0x4e0
	;; [unrolled: 3-line block ×3, first 2 shown]
	s_load_dwordx2 s[58:59], s[4:5], 0x9c0
	s_load_dwordx2 s[60:61], s[4:5], 0x9d0
	v_cvt_f32_u32_e32 v0, s8
	s_clause 0x2
	s_load_dwordx2 s[62:63], s[4:5], 0x830
	s_load_dwordx4 s[36:39], s[4:5], 0x8f0
	s_load_dwordx4 s[4:7], s[4:5], 0xa90
	s_waitcnt lgkmcnt(0)
	s_cmp_lg_u64 s[2:3], 0
	s_mov_b32 s69, 0
	v_rcp_iflag_f32_e32 v0, v0
	s_cselect_b32 s1, -1, 0
	s_cmp_lg_u64 s[42:43], 0
	s_mul_i32 s68, s0, s64
	s_mul_i32 s0, s9, 3
	s_mul_hi_u32 s64, s8, 3
	s_cselect_b32 s33, -1, 0
	s_add_i32 s70, s64, s0
	s_sub_u32 s72, 0, s50
	s_subb_u32 s73, 0, s51
	v_mul_f32_e32 v0, 0x4f7ffffe, v0
	s_sub_u32 s74, 0, s54
	s_subb_u32 s75, 0, s55
	s_mul_i32 s71, s8, 3
	s_sub_u32 s76, 0, s60
	s_subb_u32 s77, 0, s61
	s_sub_u32 s78, 0, s56
	v_cvt_u32_f32_e32 v0, v0
	s_subb_u32 s79, 0, s57
	s_sub_u32 s80, 0, s62
	s_subb_u32 s81, 0, s63
	s_mov_b32 s82, 0xbbbac73d
	s_branch .LBB23_3
.LBB23_2:                               ;   in Loop: Header=BB23_3 Depth=1
	s_or_b32 exec_lo, exec_lo, s0
	v_mad_u64_u32 v[32:33], null, s76, v21, v[3:4]
	v_mul_lo_u32 v24, s76, v22
	v_mul_lo_u32 v34, s77, v21
	;; [unrolled: 1-line block ×4, first 2 shown]
	v_mad_u64_u32 v[21:22], null, v21, s4, 0
	v_mul_lo_u32 v39, v20, s46
	v_mul_lo_u32 v40, v19, s47
	;; [unrolled: 1-line block ×3, first 2 shown]
	v_add3_u32 v24, v34, v33, v24
	v_mad_u64_u32 v[33:34], null, v19, s46, 0
	v_add3_u32 v22, v22, v38, v37
	v_mad_u64_u32 v[35:36], null, v32, s6, 0
	v_mul_lo_u32 v24, v24, s6
	v_mul_lo_u32 v37, v18, s46
	v_lshlrev_b64 v[21:22], 2, v[21:22]
	v_add3_u32 v32, v34, v40, v39
	v_sub_co_u32 v11, vcc_lo, v11, v33
	v_mul_lo_u32 v38, v17, s47
	v_mul_lo_u32 v39, v20, s20
	v_sub_co_ci_u32_e64 v12, null, v12, v32, vcc_lo
	v_add3_u32 v36, v36, v41, v24
	v_add_co_u32 v24, vcc_lo, s58, v21
	v_add_co_ci_u32_e64 v34, null, s59, v22, vcc_lo
	v_add_co_u32 v32, vcc_lo, v3, v11
	v_add_co_ci_u32_e64 v33, null, v4, v12, vcc_lo
	v_mad_u64_u32 v[11:12], null, v17, s46, 0
	v_mul_lo_u32 v40, v19, s21
	v_mad_u64_u32 v[19:20], null, v19, s20, 0
	v_lshlrev_b64 v[21:22], 2, v[35:36]
	v_mul_lo_u32 v35, v33, s22
	v_mul_lo_u32 v36, v32, s23
	v_add3_u32 v12, v12, v38, v37
	v_sub_co_u32 v9, vcc_lo, v9, v11
	v_mad_u64_u32 v[32:33], null, v32, s22, 0
	v_sub_co_ci_u32_e64 v10, null, v10, v12, vcc_lo
	v_add3_u32 v20, v20, v40, v39
	v_add_co_u32 v37, vcc_lo, v3, v9
	v_add_co_ci_u32_e64 v38, null, v4, v10, vcc_lo
	v_add_co_u32 v9, vcc_lo, v24, v21
	v_lshlrev_b64 v[11:12], 2, v[19:20]
	v_add_co_ci_u32_e64 v10, null, v34, v22, vcc_lo
	v_add3_u32 v33, v33, v36, v35
	v_mul_lo_u32 v35, v16, s46
	v_mul_lo_u32 v36, v15, s47
	v_mad_u64_u32 v[21:22], null, v15, s46, 0
	v_mul_lo_u32 v34, v37, s23
	v_mad_u64_u32 v[19:20], null, v37, s22, 0
	v_add_co_u32 v37, vcc_lo, s44, v11
	v_mul_lo_u32 v24, v38, s22
	v_add_co_ci_u32_e64 v38, null, s45, v12, vcc_lo
	v_mul_lo_u32 v39, v18, s20
	v_mul_lo_u32 v40, v17, s21
	v_mad_u64_u32 v[11:12], null, v17, s20, 0
	v_add3_u32 v22, v22, v36, v35
	v_sub_co_u32 v7, vcc_lo, v7, v21
	v_lshlrev_b64 v[17:18], 2, v[32:33]
	v_add3_u32 v20, v20, v34, v24
	v_sub_co_ci_u32_e64 v8, null, v8, v22, vcc_lo
	v_add3_u32 v12, v12, v40, v39
	v_add_co_u32 v21, vcc_lo, v3, v7
	v_add_co_ci_u32_e64 v22, null, v4, v8, vcc_lo
	v_lshlrev_b64 v[11:12], 2, v[11:12]
	v_add_co_u32 v7, vcc_lo, v37, v17
	v_add_co_ci_u32_e64 v8, null, v38, v18, vcc_lo
	v_lshlrev_b64 v[17:18], 2, v[19:20]
	v_mul_lo_u32 v24, v22, s22
	v_mul_lo_u32 v32, v21, s23
	v_mad_u64_u32 v[19:20], null, v21, s22, 0
	v_mul_lo_u32 v35, v14, s46
	v_mul_lo_u32 v36, v13, s47
	v_mad_u64_u32 v[21:22], null, v13, s46, 0
	;; [unrolled: 3-line block ×3, first 2 shown]
	v_add_co_u32 v11, vcc_lo, s44, v11
	v_add_co_ci_u32_e64 v12, null, s45, v12, vcc_lo
	v_add3_u32 v20, v20, v32, v24
	v_add_co_u32 v11, vcc_lo, v11, v17
	v_add3_u32 v17, v22, v36, v35
	v_add3_u32 v16, v16, v34, v33
	v_add_co_ci_u32_e64 v12, null, v12, v18, vcc_lo
	v_sub_co_u32 v18, vcc_lo, v5, v21
	v_sub_co_ci_u32_e64 v17, null, v6, v17, vcc_lo
	v_lshlrev_b64 v[15:16], 2, v[15:16]
	v_mul_lo_u32 v21, v14, s20
	v_mul_lo_u32 v22, v13, s21
	v_mad_u64_u32 v[5:6], null, v13, s20, 0
	v_add_co_u32 v18, vcc_lo, v3, v18
	v_add_co_ci_u32_e64 v17, null, v4, v17, vcc_lo
	v_add_co_u32 v24, vcc_lo, s44, v15
	v_add_co_ci_u32_e64 v32, null, s45, v16, vcc_lo
	v_lshlrev_b64 v[13:14], 2, v[19:20]
	v_mul_lo_u32 v17, v17, s22
	v_add3_u32 v6, v6, v22, v21
	v_mul_lo_u32 v19, v18, s23
	v_mad_u64_u32 v[15:16], null, v18, s22, 0
	v_bfi_b32 v20, 0x7fffffff, v23, v30
	v_lshlrev_b64 v[5:6], 2, v[5:6]
	v_mul_f32_e32 v18, v28, v31
	v_add_co_u32 v13, vcc_lo, v24, v13
	v_fma_f32 v21, -v20, v20, 1.0
	v_add3_u32 v16, v16, v19, v17
	v_add_co_ci_u32_e64 v14, null, v32, v14, vcc_lo
	v_add_co_u32 v17, vcc_lo, s44, v5
	s_waitcnt vmcnt(0)
	v_fmac_f32_e32 v2, v18, v21
	v_add_co_ci_u32_e64 v18, null, s45, v6, vcc_lo
	v_lshlrev_b64 v[5:6], 2, v[15:16]
	v_sub_f32_e32 v19, 1.0, v25
	v_mul_f32_e32 v15, v27, v2
	v_mul_f32_e32 v16, v29, v2
	v_sub_f32_e32 v21, 1.0, v26
	v_add_co_u32 v5, vcc_lo, v17, v5
	v_add_co_ci_u32_e64 v6, null, v18, v6, vcc_lo
	v_mul_f32_e32 v17, v31, v20
	v_sub_f32_e32 v20, 1.0, v28
	v_add_co_u32 v3, vcc_lo, v3, s68
	v_add_co_ci_u32_e64 v4, null, 0, v4, vcc_lo
	v_mul_f32_e32 v15, v19, v15
	v_mul_f32_e32 v17, v20, v17
	;; [unrolled: 1-line block ×4, first 2 shown]
	v_fma_f32 v19, -v27, v27, 1.0
	v_cmp_le_i64_e32 vcc_lo, s[10:11], v[3:4]
	v_mul_f32_e32 v15, v25, v15
	v_mul_f32_e32 v17, v28, v17
	;; [unrolled: 1-line block ×5, first 2 shown]
	s_or_b32 s69, vcc_lo, s69
	global_store_dword v[5:6], v15, off
	global_store_dword v[13:14], v16, off
	;; [unrolled: 1-line block ×5, first 2 shown]
	s_andn2_b32 exec_lo, exec_lo, s69
	s_cbranch_execz .LBB23_67
.LBB23_3:                               ; =>This Inner Loop Header: Depth=1
	v_or_b32_e32 v2, s9, v4
                                        ; implicit-def: $vgpr7_vgpr8
	s_mov_b32 s0, exec_lo
	v_cmpx_ne_u64_e32 0, v[1:2]
	s_xor_b32 s83, exec_lo, s0
	s_cbranch_execz .LBB23_5
; %bb.4:                                ;   in Loop: Header=BB23_3 Depth=1
	s_ashr_i32 s64, s9, 31
	v_ashrrev_i32_e32 v11, 31, v4
	s_add_u32 s66, s8, s64
	s_mov_b32 s65, s64
	s_addc_u32 s67, s9, s64
	s_xor_b64 s[66:67], s[66:67], s[64:65]
	v_add_co_u32 v6, vcc_lo, v3, v11
	v_cvt_f32_u32_e32 v2, s66
	v_cvt_f32_u32_e32 v5, s67
	s_sub_u32 s84, 0, s66
	s_subb_u32 s85, 0, s67
	v_add_co_ci_u32_e64 v7, null, v4, v11, vcc_lo
	v_fmac_f32_e32 v2, 0x4f800000, v5
	v_xor_b32_e32 v12, v7, v11
	v_rcp_f32_e32 v2, v2
	v_mul_f32_e32 v2, 0x5f7ffffc, v2
	v_mul_f32_e32 v5, 0x2f800000, v2
	v_trunc_f32_e32 v5, v5
	v_fmac_f32_e32 v2, 0xcf800000, v5
	v_cvt_u32_f32_e32 v5, v5
	v_cvt_u32_f32_e32 v2, v2
	v_readfirstlane_b32 s0, v5
	v_readfirstlane_b32 s65, v2
	s_mul_i32 s86, s84, s0
	v_xor_b32_e32 v2, v6, v11
	s_mul_hi_u32 s88, s84, s65
	s_mul_i32 s87, s85, s65
	s_add_i32 s86, s88, s86
	s_mul_i32 s89, s84, s65
	s_add_i32 s86, s86, s87
	s_mul_hi_u32 s88, s65, s89
	s_mul_i32 s91, s65, s86
	s_mul_hi_u32 s90, s0, s89
	s_mul_i32 s87, s0, s89
	s_mul_hi_u32 s89, s65, s86
	s_add_u32 s88, s88, s91
	s_addc_u32 s89, 0, s89
	s_mul_hi_u32 s92, s0, s86
	s_add_u32 s87, s88, s87
	s_mul_i32 s86, s0, s86
	s_addc_u32 s87, s89, s90
	s_addc_u32 s88, s92, 0
	s_add_u32 s86, s87, s86
	s_addc_u32 s87, 0, s88
	s_add_u32 s65, s65, s86
	s_cselect_b32 s86, -1, 0
	s_mul_hi_u32 s88, s84, s65
	s_cmp_lg_u32 s86, 0
	s_mul_i32 s86, s84, s65
	s_addc_u32 s0, s0, s87
	s_mul_i32 s85, s85, s65
	s_mul_i32 s84, s84, s0
	s_mul_hi_u32 s87, s65, s86
	s_add_i32 s84, s88, s84
	s_mul_hi_u32 s88, s0, s86
	s_add_i32 s84, s84, s85
	s_mul_i32 s85, s0, s86
	s_mul_i32 s90, s65, s84
	s_mul_hi_u32 s89, s65, s84
	s_add_u32 s87, s87, s90
	s_addc_u32 s89, 0, s89
	s_mul_hi_u32 s86, s0, s84
	s_add_u32 s85, s87, s85
	s_mul_i32 s84, s0, s84
	s_addc_u32 s85, s89, s88
	s_addc_u32 s86, s86, 0
	s_add_u32 s84, s85, s84
	s_addc_u32 s85, 0, s86
	s_add_u32 s65, s65, s84
	s_cselect_b32 s84, -1, 0
	v_mul_hi_u32 v13, v2, s65
	s_cmp_lg_u32 s84, 0
	v_mad_u64_u32 v[7:8], null, v12, s65, 0
	s_addc_u32 s0, s0, s85
	v_mad_u64_u32 v[5:6], null, v2, s0, 0
	v_mad_u64_u32 v[9:10], null, v12, s0, 0
	v_add_co_u32 v5, vcc_lo, v13, v5
	v_add_co_ci_u32_e64 v6, null, 0, v6, vcc_lo
	v_add_co_u32 v5, vcc_lo, v5, v7
	v_add_co_ci_u32_e32 v5, vcc_lo, v6, v8, vcc_lo
	v_add_co_ci_u32_e32 v6, vcc_lo, 0, v10, vcc_lo
	v_add_co_u32 v7, vcc_lo, v5, v9
	v_add_co_ci_u32_e64 v8, null, 0, v6, vcc_lo
	v_mul_lo_u32 v9, s67, v7
	v_mad_u64_u32 v[5:6], null, s66, v7, 0
	v_mul_lo_u32 v10, s66, v8
	v_sub_co_u32 v2, vcc_lo, v2, v5
	v_add3_u32 v6, v6, v10, v9
	v_sub_nc_u32_e32 v9, v12, v6
	v_sub_co_ci_u32_e64 v6, null, v12, v6, vcc_lo
	v_subrev_co_ci_u32_e64 v5, null, s67, v9, vcc_lo
	v_add_co_u32 v9, s0, v7, 2
	v_add_co_ci_u32_e64 v10, null, 0, v8, s0
	v_sub_co_u32 v13, s0, v2, s66
	v_subrev_co_ci_u32_e64 v5, null, 0, v5, s0
	v_cmp_le_u32_e32 vcc_lo, s66, v13
	v_cndmask_b32_e64 v12, 0, -1, vcc_lo
	v_cmp_le_u32_e32 vcc_lo, s67, v5
	v_cndmask_b32_e64 v13, 0, -1, vcc_lo
	;; [unrolled: 2-line block ×4, first 2 shown]
	v_cmp_eq_u32_e32 vcc_lo, s67, v5
	v_cndmask_b32_e32 v5, v13, v12, vcc_lo
	v_add_co_u32 v12, vcc_lo, v7, 1
	v_add_co_ci_u32_e64 v13, null, 0, v8, vcc_lo
	v_cmp_eq_u32_e32 vcc_lo, s67, v6
	v_xor_b32_e32 v6, s64, v11
	v_cndmask_b32_e32 v2, v14, v2, vcc_lo
	v_cmp_ne_u32_e32 vcc_lo, 0, v5
	v_cmp_ne_u32_e64 s0, 0, v2
	v_cndmask_b32_e32 v2, v12, v9, vcc_lo
	v_cndmask_b32_e32 v5, v13, v10, vcc_lo
	v_cndmask_b32_e64 v2, v7, v2, s0
	v_cndmask_b32_e64 v5, v8, v5, s0
	v_xor_b32_e32 v2, v2, v6
	v_xor_b32_e32 v5, v5, v6
	v_sub_co_u32 v7, vcc_lo, v2, v6
	v_sub_co_ci_u32_e64 v8, null, v5, v6, vcc_lo
.LBB23_5:                               ;   in Loop: Header=BB23_3 Depth=1
	s_andn2_saveexec_b32 s0, s83
	s_cbranch_execz .LBB23_7
; %bb.6:                                ;   in Loop: Header=BB23_3 Depth=1
	s_sub_i32 s64, 0, s8
	v_mov_b32_e32 v8, v1
	v_mul_lo_u32 v2, s64, v0
	v_mul_hi_u32 v2, v0, v2
	v_add_nc_u32_e32 v2, v0, v2
	v_mul_hi_u32 v2, v3, v2
	v_mul_lo_u32 v5, v2, s8
	v_add_nc_u32_e32 v6, 1, v2
	v_sub_nc_u32_e32 v5, v3, v5
	v_subrev_nc_u32_e32 v7, s8, v5
	v_cmp_le_u32_e32 vcc_lo, s8, v5
	v_cndmask_b32_e32 v5, v5, v7, vcc_lo
	v_cndmask_b32_e32 v2, v2, v6, vcc_lo
	v_cmp_le_u32_e32 vcc_lo, s8, v5
	v_add_nc_u32_e32 v6, 1, v2
	v_cndmask_b32_e32 v7, v2, v6, vcc_lo
.LBB23_7:                               ;   in Loop: Header=BB23_3 Depth=1
	s_or_b32 exec_lo, exec_lo, s0
	v_mul_lo_u32 v2, s70, v7
	v_mul_lo_u32 v9, s71, v8
	v_mad_u64_u32 v[5:6], null, s71, v7, 0
	s_mov_b32 s0, exec_lo
	v_add3_u32 v6, v6, v9, v2
	v_add_co_u32 v16, vcc_lo, v3, v5
                                        ; implicit-def: $vgpr9_vgpr10
	v_add_co_ci_u32_e64 v18, null, v4, v6, vcc_lo
	v_or_b32_e32 v2, s41, v18
	v_ashrrev_i32_e32 v15, 31, v18
	v_cmpx_ne_u64_e32 0, v[1:2]
	s_xor_b32 s83, exec_lo, s0
	s_cbranch_execz .LBB23_9
; %bb.8:                                ;   in Loop: Header=BB23_3 Depth=1
	s_ashr_i32 s64, s41, 31
	v_add_co_u32 v10, vcc_lo, v16, v15
	s_add_u32 s66, s40, s64
	s_mov_b32 s65, s64
	s_addc_u32 s67, s41, s64
	v_add_co_ci_u32_e64 v11, null, v18, v15, vcc_lo
	s_xor_b64 s[66:67], s[66:67], s[64:65]
	v_cvt_f32_u32_e32 v2, s66
	v_cvt_f32_u32_e32 v9, s67
	s_sub_u32 s84, 0, s66
	s_subb_u32 s85, 0, s67
	v_xor_b32_e32 v17, v11, v15
	v_fmac_f32_e32 v2, 0x4f800000, v9
	v_rcp_f32_e32 v2, v2
	v_mul_f32_e32 v2, 0x5f7ffffc, v2
	v_mul_f32_e32 v9, 0x2f800000, v2
	v_trunc_f32_e32 v9, v9
	v_fmac_f32_e32 v2, 0xcf800000, v9
	v_cvt_u32_f32_e32 v9, v9
	v_cvt_u32_f32_e32 v2, v2
	v_readfirstlane_b32 s0, v9
	v_readfirstlane_b32 s65, v2
	s_mul_i32 s86, s84, s0
	v_xor_b32_e32 v2, v10, v15
	s_mul_hi_u32 s88, s84, s65
	s_mul_i32 s87, s85, s65
	s_add_i32 s86, s88, s86
	s_mul_i32 s89, s84, s65
	s_add_i32 s86, s86, s87
	s_mul_hi_u32 s88, s65, s89
	s_mul_i32 s91, s65, s86
	s_mul_hi_u32 s90, s0, s89
	s_mul_i32 s87, s0, s89
	s_mul_hi_u32 s89, s65, s86
	s_add_u32 s88, s88, s91
	s_addc_u32 s89, 0, s89
	s_mul_hi_u32 s92, s0, s86
	s_add_u32 s87, s88, s87
	s_mul_i32 s86, s0, s86
	s_addc_u32 s87, s89, s90
	s_addc_u32 s88, s92, 0
	s_add_u32 s86, s87, s86
	s_addc_u32 s87, 0, s88
	s_add_u32 s65, s65, s86
	s_cselect_b32 s86, -1, 0
	s_mul_hi_u32 s88, s84, s65
	s_cmp_lg_u32 s86, 0
	s_mul_i32 s86, s84, s65
	s_addc_u32 s0, s0, s87
	s_mul_i32 s85, s85, s65
	s_mul_i32 s84, s84, s0
	s_mul_hi_u32 s87, s65, s86
	s_add_i32 s84, s88, s84
	s_mul_hi_u32 s88, s0, s86
	s_add_i32 s84, s84, s85
	s_mul_i32 s85, s0, s86
	s_mul_i32 s90, s65, s84
	s_mul_hi_u32 s89, s65, s84
	s_add_u32 s87, s87, s90
	s_addc_u32 s89, 0, s89
	s_mul_hi_u32 s86, s0, s84
	s_add_u32 s85, s87, s85
	s_mul_i32 s84, s0, s84
	s_addc_u32 s85, s89, s88
	s_addc_u32 s86, s86, 0
	s_add_u32 s84, s85, s84
	s_addc_u32 s85, 0, s86
	s_add_u32 s65, s65, s84
	s_cselect_b32 s84, -1, 0
	v_mul_hi_u32 v19, v2, s65
	s_cmp_lg_u32 s84, 0
	v_mad_u64_u32 v[11:12], null, v17, s65, 0
	s_addc_u32 s0, s0, s85
	v_mad_u64_u32 v[9:10], null, v2, s0, 0
	v_mad_u64_u32 v[13:14], null, v17, s0, 0
	v_add_co_u32 v9, vcc_lo, v19, v9
	v_add_co_ci_u32_e64 v10, null, 0, v10, vcc_lo
	v_add_co_u32 v9, vcc_lo, v9, v11
	v_add_co_ci_u32_e32 v9, vcc_lo, v10, v12, vcc_lo
	v_add_co_ci_u32_e32 v10, vcc_lo, 0, v14, vcc_lo
	v_add_co_u32 v11, vcc_lo, v9, v13
	v_add_co_ci_u32_e64 v12, null, 0, v10, vcc_lo
	v_mul_lo_u32 v13, s67, v11
	v_mad_u64_u32 v[9:10], null, s66, v11, 0
	v_mul_lo_u32 v14, s66, v12
	v_sub_co_u32 v2, vcc_lo, v2, v9
	v_add3_u32 v10, v10, v14, v13
	v_sub_nc_u32_e32 v13, v17, v10
	v_sub_co_ci_u32_e64 v10, null, v17, v10, vcc_lo
	v_subrev_co_ci_u32_e64 v9, null, s67, v13, vcc_lo
	v_add_co_u32 v13, s0, v11, 2
	v_add_co_ci_u32_e64 v14, null, 0, v12, s0
	v_sub_co_u32 v19, s0, v2, s66
	v_subrev_co_ci_u32_e64 v9, null, 0, v9, s0
	v_cmp_le_u32_e32 vcc_lo, s66, v19
	v_cndmask_b32_e64 v17, 0, -1, vcc_lo
	v_cmp_le_u32_e32 vcc_lo, s67, v9
	v_cndmask_b32_e64 v19, 0, -1, vcc_lo
	;; [unrolled: 2-line block ×4, first 2 shown]
	v_cmp_eq_u32_e32 vcc_lo, s67, v9
	v_cndmask_b32_e32 v9, v19, v17, vcc_lo
	v_add_co_u32 v17, vcc_lo, v11, 1
	v_add_co_ci_u32_e64 v19, null, 0, v12, vcc_lo
	v_cmp_eq_u32_e32 vcc_lo, s67, v10
	v_xor_b32_e32 v10, s64, v15
	v_cndmask_b32_e32 v2, v20, v2, vcc_lo
	v_cmp_ne_u32_e32 vcc_lo, 0, v9
	v_cmp_ne_u32_e64 s0, 0, v2
	v_cndmask_b32_e32 v2, v17, v13, vcc_lo
	v_cndmask_b32_e32 v9, v19, v14, vcc_lo
	v_cndmask_b32_e64 v2, v11, v2, s0
	v_cndmask_b32_e64 v9, v12, v9, s0
	v_xor_b32_e32 v2, v2, v10
	v_xor_b32_e32 v11, v9, v10
	v_sub_co_u32 v9, vcc_lo, v2, v10
	v_sub_co_ci_u32_e64 v10, null, v11, v10, vcc_lo
.LBB23_9:                               ;   in Loop: Header=BB23_3 Depth=1
	s_or_saveexec_b32 s0, s83
	v_cvt_f32_u32_e32 v28, s40
	s_xor_b32 exec_lo, exec_lo, s0
	s_cbranch_execz .LBB23_11
; %bb.10:                               ;   in Loop: Header=BB23_3 Depth=1
	v_rcp_iflag_f32_e32 v2, v28
	s_sub_i32 s64, 0, s40
	v_mul_f32_e32 v2, 0x4f7ffffe, v2
	v_cvt_u32_f32_e32 v2, v2
	v_mul_lo_u32 v9, s64, v2
	v_mul_hi_u32 v9, v2, v9
	v_add_nc_u32_e32 v2, v2, v9
	v_mul_hi_u32 v2, v16, v2
	v_mul_lo_u32 v9, v2, s40
	v_add_nc_u32_e32 v10, 1, v2
	v_sub_nc_u32_e32 v9, v16, v9
	v_subrev_nc_u32_e32 v11, s40, v9
	v_cmp_le_u32_e32 vcc_lo, s40, v9
	v_cndmask_b32_e32 v9, v9, v11, vcc_lo
	v_cndmask_b32_e32 v2, v2, v10, vcc_lo
	v_cmp_le_u32_e32 vcc_lo, s40, v9
	v_add_nc_u32_e32 v10, 1, v2
	v_cndmask_b32_e32 v9, v2, v10, vcc_lo
	v_mov_b32_e32 v10, v1
.LBB23_11:                              ;   in Loop: Header=BB23_3 Depth=1
	s_or_b32 exec_lo, exec_lo, s0
	v_mul_lo_u32 v2, v10, s40
	v_mul_lo_u32 v13, v9, s41
	v_mad_u64_u32 v[11:12], null, v9, s40, 0
	v_mul_lo_u32 v14, v9, s17
	s_mov_b32 s0, exec_lo
	v_add3_u32 v2, v12, v13, v2
	v_mul_lo_u32 v13, v10, s16
	v_sub_co_u32 v10, vcc_lo, v5, v11
	v_sub_co_ci_u32_e64 v2, null, v6, v2, vcc_lo
	v_add_co_u32 v11, vcc_lo, v3, v10
	v_mad_u64_u32 v[9:10], null, v9, s16, 0
	v_add_co_ci_u32_e64 v2, null, v4, v2, vcc_lo
	v_mul_lo_u32 v17, v11, s19
	v_mad_u64_u32 v[11:12], null, v11, s18, 0
	v_mul_lo_u32 v2, v2, s18
	v_add3_u32 v10, v10, v14, v13
	v_lshlrev_b64 v[9:10], 2, v[9:10]
	v_add3_u32 v12, v12, v17, v2
	v_add_co_u32 v2, vcc_lo, s34, v9
	v_lshlrev_b64 v[11:12], 2, v[11:12]
	v_add_co_ci_u32_e64 v10, null, s35, v10, vcc_lo
	v_add_co_u32 v9, vcc_lo, v2, v11
	v_add_co_ci_u32_e64 v10, null, v10, v12, vcc_lo
	v_mad_u64_u32 v[11:12], null, v7, 3, 0
	global_load_dword v25, v[9:10], off
	v_mov_b32_e32 v2, v12
	v_mad_u64_u32 v[12:13], null, v8, 3, v[2:3]
	v_mul_lo_u32 v2, s9, v11
	v_mad_u64_u32 v[7:8], null, s8, v11, s[8:9]
	v_mul_lo_u32 v9, s8, v12
	v_add_co_u32 v20, vcc_lo, v3, v7
	v_add3_u32 v8, v2, v8, v9
                                        ; implicit-def: $vgpr9_vgpr10
	v_add_co_ci_u32_e64 v22, null, v4, v8, vcc_lo
	v_or_b32_e32 v2, s41, v22
	v_ashrrev_i32_e32 v17, 31, v22
	v_cmpx_ne_u64_e32 0, v[1:2]
	s_xor_b32 s83, exec_lo, s0
	s_cbranch_execz .LBB23_13
; %bb.12:                               ;   in Loop: Header=BB23_3 Depth=1
	s_ashr_i32 s64, s41, 31
	v_add_co_u32 v10, vcc_lo, v20, v17
	s_add_u32 s66, s40, s64
	s_mov_b32 s65, s64
	s_addc_u32 s67, s41, s64
	v_add_co_ci_u32_e64 v13, null, v22, v17, vcc_lo
	s_xor_b64 s[66:67], s[66:67], s[64:65]
	v_cvt_f32_u32_e32 v2, s66
	v_cvt_f32_u32_e32 v9, s67
	s_sub_u32 s84, 0, s66
	s_subb_u32 s85, 0, s67
	v_xor_b32_e32 v19, v13, v17
	v_fmac_f32_e32 v2, 0x4f800000, v9
	v_rcp_f32_e32 v2, v2
	v_mul_f32_e32 v2, 0x5f7ffffc, v2
	v_mul_f32_e32 v9, 0x2f800000, v2
	v_trunc_f32_e32 v9, v9
	v_fmac_f32_e32 v2, 0xcf800000, v9
	v_cvt_u32_f32_e32 v9, v9
	v_cvt_u32_f32_e32 v2, v2
	v_readfirstlane_b32 s0, v9
	v_readfirstlane_b32 s65, v2
	s_mul_i32 s86, s84, s0
	v_xor_b32_e32 v2, v10, v17
	s_mul_hi_u32 s88, s84, s65
	s_mul_i32 s87, s85, s65
	s_add_i32 s86, s88, s86
	s_mul_i32 s89, s84, s65
	s_add_i32 s86, s86, s87
	s_mul_hi_u32 s88, s65, s89
	s_mul_i32 s91, s65, s86
	s_mul_hi_u32 s90, s0, s89
	s_mul_i32 s87, s0, s89
	s_mul_hi_u32 s89, s65, s86
	s_add_u32 s88, s88, s91
	s_addc_u32 s89, 0, s89
	s_mul_hi_u32 s92, s0, s86
	s_add_u32 s87, s88, s87
	s_mul_i32 s86, s0, s86
	s_addc_u32 s87, s89, s90
	s_addc_u32 s88, s92, 0
	s_add_u32 s86, s87, s86
	s_addc_u32 s87, 0, s88
	s_add_u32 s65, s65, s86
	s_cselect_b32 s86, -1, 0
	s_mul_hi_u32 s88, s84, s65
	s_cmp_lg_u32 s86, 0
	s_mul_i32 s86, s84, s65
	s_addc_u32 s0, s0, s87
	s_mul_i32 s85, s85, s65
	s_mul_i32 s84, s84, s0
	s_mul_hi_u32 s87, s65, s86
	s_add_i32 s84, s88, s84
	s_mul_hi_u32 s88, s0, s86
	s_add_i32 s84, s84, s85
	s_mul_i32 s85, s0, s86
	s_mul_i32 s90, s65, s84
	s_mul_hi_u32 s89, s65, s84
	s_add_u32 s87, s87, s90
	s_addc_u32 s89, 0, s89
	s_mul_hi_u32 s86, s0, s84
	s_add_u32 s85, s87, s85
	s_mul_i32 s84, s0, s84
	s_addc_u32 s85, s89, s88
	s_addc_u32 s86, s86, 0
	s_add_u32 s84, s85, s84
	s_addc_u32 s85, 0, s86
	s_add_u32 s65, s65, s84
	s_cselect_b32 s84, -1, 0
	v_mul_hi_u32 v21, v2, s65
	s_cmp_lg_u32 s84, 0
	v_mad_u64_u32 v[13:14], null, v19, s65, 0
	s_addc_u32 s0, s0, s85
	v_mad_u64_u32 v[9:10], null, v2, s0, 0
	v_mad_u64_u32 v[23:24], null, v19, s0, 0
	v_add_co_u32 v9, vcc_lo, v21, v9
	v_add_co_ci_u32_e64 v10, null, 0, v10, vcc_lo
	v_add_co_u32 v9, vcc_lo, v9, v13
	v_add_co_ci_u32_e32 v9, vcc_lo, v10, v14, vcc_lo
	v_add_co_ci_u32_e32 v10, vcc_lo, 0, v24, vcc_lo
	v_add_co_u32 v13, vcc_lo, v9, v23
	v_add_co_ci_u32_e64 v14, null, 0, v10, vcc_lo
	v_mul_lo_u32 v21, s67, v13
	v_mad_u64_u32 v[9:10], null, s66, v13, 0
	v_mul_lo_u32 v23, s66, v14
	v_sub_co_u32 v2, vcc_lo, v2, v9
	v_add3_u32 v10, v10, v23, v21
	v_sub_nc_u32_e32 v21, v19, v10
	v_sub_co_ci_u32_e64 v10, null, v19, v10, vcc_lo
	v_subrev_co_ci_u32_e64 v9, null, s67, v21, vcc_lo
	v_add_co_u32 v21, s0, v13, 2
	v_add_co_ci_u32_e64 v23, null, 0, v14, s0
	v_sub_co_u32 v24, s0, v2, s66
	v_subrev_co_ci_u32_e64 v9, null, 0, v9, s0
	v_cmp_le_u32_e32 vcc_lo, s66, v24
	v_cndmask_b32_e64 v19, 0, -1, vcc_lo
	v_cmp_le_u32_e32 vcc_lo, s67, v9
	v_cndmask_b32_e64 v24, 0, -1, vcc_lo
	;; [unrolled: 2-line block ×4, first 2 shown]
	v_cmp_eq_u32_e32 vcc_lo, s67, v9
	v_cndmask_b32_e32 v9, v24, v19, vcc_lo
	v_add_co_u32 v19, vcc_lo, v13, 1
	v_add_co_ci_u32_e64 v24, null, 0, v14, vcc_lo
	v_cmp_eq_u32_e32 vcc_lo, s67, v10
	v_xor_b32_e32 v10, s64, v17
	v_cndmask_b32_e32 v2, v26, v2, vcc_lo
	v_cmp_ne_u32_e32 vcc_lo, 0, v9
	v_cmp_ne_u32_e64 s0, 0, v2
	v_cndmask_b32_e32 v2, v19, v21, vcc_lo
	v_cndmask_b32_e32 v9, v24, v23, vcc_lo
	v_cndmask_b32_e64 v2, v13, v2, s0
	v_cndmask_b32_e64 v9, v14, v9, s0
	v_xor_b32_e32 v2, v2, v10
	v_xor_b32_e32 v13, v9, v10
	v_sub_co_u32 v9, vcc_lo, v2, v10
	v_sub_co_ci_u32_e64 v10, null, v13, v10, vcc_lo
.LBB23_13:                              ;   in Loop: Header=BB23_3 Depth=1
	s_andn2_saveexec_b32 s0, s83
	s_cbranch_execz .LBB23_15
; %bb.14:                               ;   in Loop: Header=BB23_3 Depth=1
	v_rcp_iflag_f32_e32 v2, v28
	s_sub_i32 s64, 0, s40
	v_mul_f32_e32 v2, 0x4f7ffffe, v2
	v_cvt_u32_f32_e32 v2, v2
	v_mul_lo_u32 v9, s64, v2
	v_mul_hi_u32 v9, v2, v9
	v_add_nc_u32_e32 v2, v2, v9
	v_mul_hi_u32 v2, v20, v2
	v_mul_lo_u32 v9, v2, s40
	v_add_nc_u32_e32 v10, 1, v2
	v_sub_nc_u32_e32 v9, v20, v9
	v_subrev_nc_u32_e32 v13, s40, v9
	v_cmp_le_u32_e32 vcc_lo, s40, v9
	v_cndmask_b32_e32 v9, v9, v13, vcc_lo
	v_cndmask_b32_e32 v2, v2, v10, vcc_lo
	v_cmp_le_u32_e32 vcc_lo, s40, v9
	v_add_nc_u32_e32 v10, 1, v2
	v_cndmask_b32_e32 v9, v2, v10, vcc_lo
	v_mov_b32_e32 v10, v1
.LBB23_15:                              ;   in Loop: Header=BB23_3 Depth=1
	s_or_b32 exec_lo, exec_lo, s0
	v_mul_lo_u32 v2, v10, s40
	v_mul_lo_u32 v19, v9, s41
	v_mad_u64_u32 v[13:14], null, v9, s40, 0
	v_mul_lo_u32 v21, v9, s17
	s_mov_b32 s0, exec_lo
	v_add3_u32 v2, v14, v19, v2
	v_mul_lo_u32 v19, v10, s16
	v_sub_co_u32 v10, vcc_lo, v7, v13
	v_sub_co_ci_u32_e64 v2, null, v8, v2, vcc_lo
	v_add_co_u32 v13, vcc_lo, v3, v10
	v_mad_u64_u32 v[9:10], null, v9, s16, 0
	v_add_co_ci_u32_e64 v2, null, v4, v2, vcc_lo
	v_mul_lo_u32 v23, v13, s19
	v_mad_u64_u32 v[13:14], null, v13, s18, 0
	v_mul_lo_u32 v2, v2, s18
	v_add3_u32 v10, v10, v21, v19
	v_lshlrev_b64 v[9:10], 2, v[9:10]
	v_add3_u32 v14, v14, v23, v2
	v_add_co_u32 v2, vcc_lo, s34, v9
	v_lshlrev_b64 v[13:14], 2, v[13:14]
	v_add_co_ci_u32_e64 v10, null, s35, v10, vcc_lo
	v_add_co_u32 v9, vcc_lo, v2, v13
	v_add_co_ci_u32_e64 v10, null, v10, v14, vcc_lo
	v_add_co_u32 v2, vcc_lo, v11, 2
	global_load_dword v26, v[9:10], off
	v_add_co_ci_u32_e64 v9, null, 0, v12, vcc_lo
	v_mul_lo_u32 v13, s9, v2
	v_mul_lo_u32 v14, s8, v9
	v_mad_u64_u32 v[9:10], null, s8, v2, 0
	v_add3_u32 v10, v10, v14, v13
	v_add_co_u32 v23, vcc_lo, v3, v9
                                        ; implicit-def: $vgpr13_vgpr14
	v_add_co_ci_u32_e64 v24, null, v4, v10, vcc_lo
	v_or_b32_e32 v2, s41, v24
	v_ashrrev_i32_e32 v19, 31, v24
	v_cmpx_ne_u64_e32 0, v[1:2]
	s_xor_b32 s83, exec_lo, s0
	s_cbranch_execz .LBB23_17
; %bb.16:                               ;   in Loop: Header=BB23_3 Depth=1
	s_ashr_i32 s64, s41, 31
	v_add_co_u32 v14, vcc_lo, v23, v19
	s_add_u32 s66, s40, s64
	s_mov_b32 s65, s64
	s_addc_u32 s67, s41, s64
	v_add_co_ci_u32_e64 v21, null, v24, v19, vcc_lo
	s_xor_b64 s[66:67], s[66:67], s[64:65]
	v_cvt_f32_u32_e32 v2, s66
	v_cvt_f32_u32_e32 v13, s67
	s_sub_u32 s84, 0, s66
	s_subb_u32 s85, 0, s67
	v_xor_b32_e32 v21, v21, v19
	v_fmac_f32_e32 v2, 0x4f800000, v13
	v_rcp_f32_e32 v2, v2
	v_mul_f32_e32 v2, 0x5f7ffffc, v2
	v_mul_f32_e32 v13, 0x2f800000, v2
	v_trunc_f32_e32 v13, v13
	v_fmac_f32_e32 v2, 0xcf800000, v13
	v_cvt_u32_f32_e32 v13, v13
	v_cvt_u32_f32_e32 v2, v2
	v_readfirstlane_b32 s0, v13
	v_readfirstlane_b32 s65, v2
	s_mul_i32 s86, s84, s0
	v_xor_b32_e32 v2, v14, v19
	s_mul_hi_u32 s88, s84, s65
	s_mul_i32 s87, s85, s65
	s_add_i32 s86, s88, s86
	s_mul_i32 s89, s84, s65
	s_add_i32 s86, s86, s87
	s_mul_hi_u32 s88, s65, s89
	s_mul_i32 s91, s65, s86
	s_mul_hi_u32 s90, s0, s89
	s_mul_i32 s87, s0, s89
	s_mul_hi_u32 s89, s65, s86
	s_add_u32 s88, s88, s91
	s_addc_u32 s89, 0, s89
	s_mul_hi_u32 s92, s0, s86
	s_add_u32 s87, s88, s87
	s_mul_i32 s86, s0, s86
	s_addc_u32 s87, s89, s90
	s_addc_u32 s88, s92, 0
	s_add_u32 s86, s87, s86
	s_addc_u32 s87, 0, s88
	s_add_u32 s65, s65, s86
	s_cselect_b32 s86, -1, 0
	s_mul_hi_u32 s88, s84, s65
	s_cmp_lg_u32 s86, 0
	s_mul_i32 s86, s84, s65
	s_addc_u32 s0, s0, s87
	s_mul_i32 s85, s85, s65
	s_mul_i32 s84, s84, s0
	s_mul_hi_u32 s87, s65, s86
	s_add_i32 s84, s88, s84
	s_mul_hi_u32 s88, s0, s86
	s_add_i32 s84, s84, s85
	s_mul_i32 s85, s0, s86
	s_mul_i32 s90, s65, s84
	s_mul_hi_u32 s89, s65, s84
	s_add_u32 s87, s87, s90
	s_addc_u32 s89, 0, s89
	s_mul_hi_u32 s86, s0, s84
	s_add_u32 s85, s87, s85
	s_mul_i32 s84, s0, s84
	s_addc_u32 s85, s89, s88
	s_addc_u32 s86, s86, 0
	s_add_u32 s84, s85, s84
	s_addc_u32 s85, 0, s86
	s_add_u32 s65, s65, s84
	s_cselect_b32 s84, -1, 0
	v_mul_hi_u32 v27, v2, s65
	s_cmp_lg_u32 s84, 0
	v_mad_u64_u32 v[29:30], null, v21, s65, 0
	s_addc_u32 s0, s0, s85
	v_mad_u64_u32 v[13:14], null, v2, s0, 0
	v_mad_u64_u32 v[31:32], null, v21, s0, 0
	v_add_co_u32 v13, vcc_lo, v27, v13
	v_add_co_ci_u32_e64 v14, null, 0, v14, vcc_lo
	v_add_co_u32 v13, vcc_lo, v13, v29
	v_add_co_ci_u32_e32 v13, vcc_lo, v14, v30, vcc_lo
	v_add_co_ci_u32_e32 v14, vcc_lo, 0, v32, vcc_lo
	v_add_co_u32 v27, vcc_lo, v13, v31
	v_add_co_ci_u32_e64 v29, null, 0, v14, vcc_lo
	v_mul_lo_u32 v30, s67, v27
	v_mad_u64_u32 v[13:14], null, s66, v27, 0
	v_mul_lo_u32 v31, s66, v29
	v_sub_co_u32 v2, vcc_lo, v2, v13
	v_add3_u32 v14, v14, v31, v30
	v_sub_nc_u32_e32 v30, v21, v14
	v_sub_co_ci_u32_e64 v14, null, v21, v14, vcc_lo
	v_subrev_co_ci_u32_e64 v13, null, s67, v30, vcc_lo
	v_add_co_u32 v30, s0, v27, 2
	v_add_co_ci_u32_e64 v31, null, 0, v29, s0
	v_sub_co_u32 v32, s0, v2, s66
	v_subrev_co_ci_u32_e64 v13, null, 0, v13, s0
	v_cmp_le_u32_e32 vcc_lo, s66, v32
	v_cndmask_b32_e64 v21, 0, -1, vcc_lo
	v_cmp_le_u32_e32 vcc_lo, s67, v13
	v_cndmask_b32_e64 v32, 0, -1, vcc_lo
	;; [unrolled: 2-line block ×4, first 2 shown]
	v_cmp_eq_u32_e32 vcc_lo, s67, v13
	v_cndmask_b32_e32 v13, v32, v21, vcc_lo
	v_add_co_u32 v21, vcc_lo, v27, 1
	v_add_co_ci_u32_e64 v32, null, 0, v29, vcc_lo
	v_cmp_eq_u32_e32 vcc_lo, s67, v14
	v_xor_b32_e32 v14, s64, v19
	v_cndmask_b32_e32 v2, v33, v2, vcc_lo
	v_cmp_ne_u32_e32 vcc_lo, 0, v13
	v_cmp_ne_u32_e64 s0, 0, v2
	v_cndmask_b32_e32 v2, v21, v30, vcc_lo
	v_cndmask_b32_e32 v13, v32, v31, vcc_lo
	v_cndmask_b32_e64 v2, v27, v2, s0
	v_cndmask_b32_e64 v13, v29, v13, s0
	v_xor_b32_e32 v2, v2, v14
	v_xor_b32_e32 v21, v13, v14
	v_sub_co_u32 v13, vcc_lo, v2, v14
	v_sub_co_ci_u32_e64 v14, null, v21, v14, vcc_lo
.LBB23_17:                              ;   in Loop: Header=BB23_3 Depth=1
	s_andn2_saveexec_b32 s0, s83
	s_cbranch_execz .LBB23_19
; %bb.18:                               ;   in Loop: Header=BB23_3 Depth=1
	v_rcp_iflag_f32_e32 v2, v28
	s_sub_i32 s64, 0, s40
	v_mul_f32_e32 v2, 0x4f7ffffe, v2
	v_cvt_u32_f32_e32 v2, v2
	v_mul_lo_u32 v13, s64, v2
	v_mul_hi_u32 v13, v2, v13
	v_add_nc_u32_e32 v2, v2, v13
	v_mul_hi_u32 v2, v23, v2
	v_mul_lo_u32 v13, v2, s40
	v_add_nc_u32_e32 v14, 1, v2
	v_sub_nc_u32_e32 v13, v23, v13
	v_subrev_nc_u32_e32 v21, s40, v13
	v_cmp_le_u32_e32 vcc_lo, s40, v13
	v_cndmask_b32_e32 v13, v13, v21, vcc_lo
	v_cndmask_b32_e32 v2, v2, v14, vcc_lo
	v_cmp_le_u32_e32 vcc_lo, s40, v13
	v_add_nc_u32_e32 v14, 1, v2
	v_cndmask_b32_e32 v13, v2, v14, vcc_lo
	v_mov_b32_e32 v14, v1
.LBB23_19:                              ;   in Loop: Header=BB23_3 Depth=1
	s_or_b32 exec_lo, exec_lo, s0
	v_mul_lo_u32 v2, v14, s40
	v_mul_lo_u32 v21, v13, s41
	v_mad_u64_u32 v[29:30], null, v13, s40, 0
	v_mul_lo_u32 v27, v13, s17
	s_mov_b32 s0, exec_lo
	v_add3_u32 v2, v30, v21, v2
	v_mul_lo_u32 v21, v14, s16
	v_sub_co_u32 v14, vcc_lo, v9, v29
	v_sub_co_ci_u32_e64 v2, null, v10, v2, vcc_lo
	v_add_co_u32 v29, vcc_lo, v3, v14
	v_mad_u64_u32 v[13:14], null, v13, s16, 0
	v_add_co_ci_u32_e64 v2, null, v4, v2, vcc_lo
	v_mul_lo_u32 v31, v29, s19
	v_mad_u64_u32 v[29:30], null, v29, s18, 0
	v_mul_lo_u32 v2, v2, s18
	v_add3_u32 v14, v14, v27, v21
	v_lshlrev_b64 v[13:14], 2, v[13:14]
	v_add3_u32 v30, v30, v31, v2
	v_add_co_u32 v2, vcc_lo, s34, v13
	v_lshlrev_b64 v[29:30], 2, v[29:30]
	v_add_co_ci_u32_e64 v14, null, s35, v14, vcc_lo
	v_add_co_u32 v13, vcc_lo, v2, v29
	v_add_co_ci_u32_e64 v14, null, v14, v30, vcc_lo
	v_add_co_u32 v2, vcc_lo, v11, 3
	v_add_co_ci_u32_e64 v11, null, 0, v12, vcc_lo
	global_load_dword v27, v[13:14], off
	v_mul_lo_u32 v13, s9, v2
	v_mul_lo_u32 v14, s8, v11
	v_mad_u64_u32 v[11:12], null, s8, v2, 0
	v_add3_u32 v12, v12, v14, v13
	v_add_co_u32 v29, vcc_lo, v3, v11
                                        ; implicit-def: $vgpr13_vgpr14
	v_add_co_ci_u32_e64 v30, null, v4, v12, vcc_lo
	v_or_b32_e32 v2, s41, v30
	v_ashrrev_i32_e32 v21, 31, v30
	v_cmpx_ne_u64_e32 0, v[1:2]
	s_xor_b32 s83, exec_lo, s0
	s_cbranch_execz .LBB23_21
; %bb.20:                               ;   in Loop: Header=BB23_3 Depth=1
	s_ashr_i32 s64, s41, 31
	v_add_co_u32 v14, vcc_lo, v29, v21
	s_add_u32 s66, s40, s64
	s_mov_b32 s65, s64
	s_addc_u32 s67, s41, s64
	v_add_co_ci_u32_e64 v28, null, v30, v21, vcc_lo
	s_xor_b64 s[66:67], s[66:67], s[64:65]
	v_cvt_f32_u32_e32 v2, s66
	v_cvt_f32_u32_e32 v13, s67
	s_sub_u32 s84, 0, s66
	s_subb_u32 s85, 0, s67
	v_xor_b32_e32 v28, v28, v21
	v_fmac_f32_e32 v2, 0x4f800000, v13
	v_rcp_f32_e32 v2, v2
	v_mul_f32_e32 v2, 0x5f7ffffc, v2
	v_mul_f32_e32 v13, 0x2f800000, v2
	v_trunc_f32_e32 v13, v13
	v_fmac_f32_e32 v2, 0xcf800000, v13
	v_cvt_u32_f32_e32 v13, v13
	v_cvt_u32_f32_e32 v2, v2
	v_readfirstlane_b32 s0, v13
	v_readfirstlane_b32 s65, v2
	s_mul_i32 s86, s84, s0
	v_xor_b32_e32 v2, v14, v21
	s_mul_hi_u32 s88, s84, s65
	s_mul_i32 s87, s85, s65
	s_add_i32 s86, s88, s86
	s_mul_i32 s89, s84, s65
	s_add_i32 s86, s86, s87
	s_mul_hi_u32 s88, s65, s89
	s_mul_i32 s91, s65, s86
	s_mul_hi_u32 s90, s0, s89
	s_mul_i32 s87, s0, s89
	s_mul_hi_u32 s89, s65, s86
	s_add_u32 s88, s88, s91
	s_addc_u32 s89, 0, s89
	s_mul_hi_u32 s92, s0, s86
	s_add_u32 s87, s88, s87
	s_mul_i32 s86, s0, s86
	s_addc_u32 s87, s89, s90
	s_addc_u32 s88, s92, 0
	s_add_u32 s86, s87, s86
	s_addc_u32 s87, 0, s88
	s_add_u32 s65, s65, s86
	s_cselect_b32 s86, -1, 0
	s_mul_hi_u32 s88, s84, s65
	s_cmp_lg_u32 s86, 0
	s_mul_i32 s86, s84, s65
	s_addc_u32 s0, s0, s87
	s_mul_i32 s85, s85, s65
	s_mul_i32 s84, s84, s0
	s_mul_hi_u32 s87, s65, s86
	s_add_i32 s84, s88, s84
	s_mul_hi_u32 s88, s0, s86
	s_add_i32 s84, s84, s85
	s_mul_i32 s85, s0, s86
	s_mul_i32 s90, s65, s84
	s_mul_hi_u32 s89, s65, s84
	s_add_u32 s87, s87, s90
	s_addc_u32 s89, 0, s89
	s_mul_hi_u32 s86, s0, s84
	s_add_u32 s85, s87, s85
	s_mul_i32 s84, s0, s84
	s_addc_u32 s85, s89, s88
	s_addc_u32 s86, s86, 0
	s_add_u32 s84, s85, s84
	s_addc_u32 s85, 0, s86
	s_add_u32 s65, s65, s84
	s_cselect_b32 s84, -1, 0
	v_mul_hi_u32 v35, v2, s65
	s_cmp_lg_u32 s84, 0
	v_mad_u64_u32 v[31:32], null, v28, s65, 0
	s_addc_u32 s0, s0, s85
	v_mad_u64_u32 v[13:14], null, v2, s0, 0
	v_mad_u64_u32 v[33:34], null, v28, s0, 0
	v_add_co_u32 v13, vcc_lo, v35, v13
	v_add_co_ci_u32_e64 v14, null, 0, v14, vcc_lo
	v_add_co_u32 v13, vcc_lo, v13, v31
	v_add_co_ci_u32_e32 v13, vcc_lo, v14, v32, vcc_lo
	v_add_co_ci_u32_e32 v14, vcc_lo, 0, v34, vcc_lo
	v_add_co_u32 v31, vcc_lo, v13, v33
	v_add_co_ci_u32_e64 v32, null, 0, v14, vcc_lo
	v_mul_lo_u32 v33, s67, v31
	v_mad_u64_u32 v[13:14], null, s66, v31, 0
	v_mul_lo_u32 v34, s66, v32
	v_sub_co_u32 v2, vcc_lo, v2, v13
	v_add3_u32 v14, v14, v34, v33
	v_sub_nc_u32_e32 v33, v28, v14
	v_sub_co_ci_u32_e64 v14, null, v28, v14, vcc_lo
	v_subrev_co_ci_u32_e64 v13, null, s67, v33, vcc_lo
	v_add_co_u32 v33, s0, v31, 2
	v_add_co_ci_u32_e64 v34, null, 0, v32, s0
	v_sub_co_u32 v35, s0, v2, s66
	v_subrev_co_ci_u32_e64 v13, null, 0, v13, s0
	v_cmp_le_u32_e32 vcc_lo, s66, v35
	v_cndmask_b32_e64 v28, 0, -1, vcc_lo
	v_cmp_le_u32_e32 vcc_lo, s67, v13
	v_cndmask_b32_e64 v35, 0, -1, vcc_lo
	;; [unrolled: 2-line block ×4, first 2 shown]
	v_cmp_eq_u32_e32 vcc_lo, s67, v13
	v_cndmask_b32_e32 v13, v35, v28, vcc_lo
	v_add_co_u32 v28, vcc_lo, v31, 1
	v_add_co_ci_u32_e64 v35, null, 0, v32, vcc_lo
	v_cmp_eq_u32_e32 vcc_lo, s67, v14
	v_xor_b32_e32 v14, s64, v21
	v_cndmask_b32_e32 v2, v36, v2, vcc_lo
	v_cmp_ne_u32_e32 vcc_lo, 0, v13
	v_cmp_ne_u32_e64 s0, 0, v2
	v_cndmask_b32_e32 v2, v28, v33, vcc_lo
	v_cndmask_b32_e32 v13, v35, v34, vcc_lo
	v_cndmask_b32_e64 v2, v31, v2, s0
	v_cndmask_b32_e64 v13, v32, v13, s0
	v_xor_b32_e32 v2, v2, v14
	v_xor_b32_e32 v28, v13, v14
	v_sub_co_u32 v13, vcc_lo, v2, v14
	v_sub_co_ci_u32_e64 v14, null, v28, v14, vcc_lo
                                        ; implicit-def: $vgpr28
.LBB23_21:                              ;   in Loop: Header=BB23_3 Depth=1
	s_andn2_saveexec_b32 s0, s83
	s_cbranch_execz .LBB23_23
; %bb.22:                               ;   in Loop: Header=BB23_3 Depth=1
	v_rcp_iflag_f32_e32 v2, v28
	s_sub_i32 s64, 0, s40
	v_mul_f32_e32 v2, 0x4f7ffffe, v2
	v_cvt_u32_f32_e32 v2, v2
	v_mul_lo_u32 v13, s64, v2
	v_mul_hi_u32 v13, v2, v13
	v_add_nc_u32_e32 v2, v2, v13
	v_mul_hi_u32 v2, v29, v2
	v_mul_lo_u32 v13, v2, s40
	v_add_nc_u32_e32 v14, 1, v2
	v_sub_nc_u32_e32 v13, v29, v13
	v_subrev_nc_u32_e32 v28, s40, v13
	v_cmp_le_u32_e32 vcc_lo, s40, v13
	v_cndmask_b32_e32 v13, v13, v28, vcc_lo
	v_cndmask_b32_e32 v2, v2, v14, vcc_lo
	v_cmp_le_u32_e32 vcc_lo, s40, v13
	v_add_nc_u32_e32 v14, 1, v2
	v_cndmask_b32_e32 v13, v2, v14, vcc_lo
	v_mov_b32_e32 v14, v1
.LBB23_23:                              ;   in Loop: Header=BB23_3 Depth=1
	s_or_b32 exec_lo, exec_lo, s0
	v_mul_lo_u32 v2, v14, s40
	v_mul_lo_u32 v28, v13, s41
	v_mad_u64_u32 v[31:32], null, v13, s40, 0
	v_mul_lo_u32 v33, v13, s17
	s_mov_b32 s0, exec_lo
	v_add3_u32 v2, v32, v28, v2
	v_mul_lo_u32 v28, v14, s16
	v_sub_co_u32 v14, vcc_lo, v11, v31
	v_sub_co_ci_u32_e64 v2, null, v12, v2, vcc_lo
	v_add_co_u32 v31, vcc_lo, v3, v14
	v_mad_u64_u32 v[13:14], null, v13, s16, 0
	v_add_co_ci_u32_e64 v2, null, v4, v2, vcc_lo
	v_mul_lo_u32 v34, v31, s19
	v_mad_u64_u32 v[31:32], null, v31, s18, 0
	v_mul_lo_u32 v2, v2, s18
	v_add3_u32 v14, v14, v33, v28
	v_lshlrev_b64 v[13:14], 2, v[13:14]
	v_add3_u32 v32, v32, v34, v2
	v_add_co_u32 v2, vcc_lo, s34, v13
	v_lshlrev_b64 v[31:32], 2, v[31:32]
	v_add_co_ci_u32_e64 v14, null, s35, v14, vcc_lo
	v_add_co_u32 v13, vcc_lo, v2, v31
	v_add_co_ci_u32_e64 v14, null, v14, v32, vcc_lo
	v_or_b32_e32 v2, s47, v18
	global_load_dword v28, v[13:14], off
                                        ; implicit-def: $vgpr13_vgpr14
	v_cmpx_ne_u64_e32 0, v[1:2]
	s_xor_b32 s83, exec_lo, s0
	s_cbranch_execz .LBB23_25
; %bb.24:                               ;   in Loop: Header=BB23_3 Depth=1
	s_ashr_i32 s64, s47, 31
	v_add_co_u32 v14, vcc_lo, v16, v15
	s_add_u32 s66, s46, s64
	s_mov_b32 s65, s64
	s_addc_u32 s67, s47, s64
	v_add_co_ci_u32_e64 v16, null, v18, v15, vcc_lo
	s_xor_b64 s[66:67], s[66:67], s[64:65]
	v_cvt_f32_u32_e32 v2, s66
	v_cvt_f32_u32_e32 v13, s67
	s_sub_u32 s84, 0, s66
	s_subb_u32 s85, 0, s67
	v_xor_b32_e32 v16, v16, v15
	v_fmac_f32_e32 v2, 0x4f800000, v13
	v_rcp_f32_e32 v2, v2
	v_mul_f32_e32 v2, 0x5f7ffffc, v2
	v_mul_f32_e32 v13, 0x2f800000, v2
	v_trunc_f32_e32 v13, v13
	v_fmac_f32_e32 v2, 0xcf800000, v13
	v_cvt_u32_f32_e32 v13, v13
	v_cvt_u32_f32_e32 v2, v2
	v_readfirstlane_b32 s0, v13
	v_readfirstlane_b32 s65, v2
	s_mul_i32 s86, s84, s0
	v_xor_b32_e32 v2, v14, v15
	s_mul_hi_u32 s88, s84, s65
	s_mul_i32 s87, s85, s65
	s_add_i32 s86, s88, s86
	s_mul_i32 s89, s84, s65
	s_add_i32 s86, s86, s87
	s_mul_hi_u32 s88, s65, s89
	s_mul_i32 s91, s65, s86
	s_mul_hi_u32 s90, s0, s89
	s_mul_i32 s87, s0, s89
	s_mul_hi_u32 s89, s65, s86
	s_add_u32 s88, s88, s91
	s_addc_u32 s89, 0, s89
	s_mul_hi_u32 s92, s0, s86
	s_add_u32 s87, s88, s87
	s_mul_i32 s86, s0, s86
	s_addc_u32 s87, s89, s90
	s_addc_u32 s88, s92, 0
	s_add_u32 s86, s87, s86
	s_addc_u32 s87, 0, s88
	s_add_u32 s65, s65, s86
	s_cselect_b32 s86, -1, 0
	s_mul_hi_u32 s88, s84, s65
	s_cmp_lg_u32 s86, 0
	s_mul_i32 s86, s84, s65
	s_addc_u32 s0, s0, s87
	s_mul_i32 s85, s85, s65
	s_mul_i32 s84, s84, s0
	s_mul_hi_u32 s87, s65, s86
	s_add_i32 s84, s88, s84
	s_mul_hi_u32 s88, s0, s86
	s_add_i32 s84, s84, s85
	s_mul_i32 s85, s0, s86
	s_mul_i32 s90, s65, s84
	s_mul_hi_u32 s89, s65, s84
	s_add_u32 s87, s87, s90
	s_addc_u32 s89, 0, s89
	s_mul_hi_u32 s86, s0, s84
	s_add_u32 s85, s87, s85
	s_mul_i32 s84, s0, s84
	s_addc_u32 s85, s89, s88
	s_addc_u32 s86, s86, 0
	s_add_u32 s84, s85, s84
	s_addc_u32 s85, 0, s86
	s_add_u32 s65, s65, s84
	s_cselect_b32 s84, -1, 0
	v_mul_hi_u32 v18, v2, s65
	s_cmp_lg_u32 s84, 0
	v_mad_u64_u32 v[31:32], null, v16, s65, 0
	s_addc_u32 s0, s0, s85
	v_mad_u64_u32 v[13:14], null, v2, s0, 0
	v_mad_u64_u32 v[33:34], null, v16, s0, 0
	v_add_co_u32 v13, vcc_lo, v18, v13
	v_add_co_ci_u32_e64 v14, null, 0, v14, vcc_lo
	v_add_co_u32 v13, vcc_lo, v13, v31
	v_add_co_ci_u32_e32 v13, vcc_lo, v14, v32, vcc_lo
	v_add_co_ci_u32_e32 v14, vcc_lo, 0, v34, vcc_lo
	v_add_co_u32 v18, vcc_lo, v13, v33
	v_add_co_ci_u32_e64 v31, null, 0, v14, vcc_lo
	v_mul_lo_u32 v32, s67, v18
	v_mad_u64_u32 v[13:14], null, s66, v18, 0
	v_mul_lo_u32 v33, s66, v31
	v_sub_co_u32 v2, vcc_lo, v2, v13
	v_add3_u32 v14, v14, v33, v32
	v_sub_nc_u32_e32 v32, v16, v14
	v_sub_co_ci_u32_e64 v14, null, v16, v14, vcc_lo
	v_subrev_co_ci_u32_e64 v13, null, s67, v32, vcc_lo
	v_add_co_u32 v32, s0, v18, 2
	v_add_co_ci_u32_e64 v33, null, 0, v31, s0
	v_sub_co_u32 v34, s0, v2, s66
	v_subrev_co_ci_u32_e64 v13, null, 0, v13, s0
	v_cmp_le_u32_e32 vcc_lo, s66, v34
	v_cndmask_b32_e64 v16, 0, -1, vcc_lo
	v_cmp_le_u32_e32 vcc_lo, s67, v13
	v_cndmask_b32_e64 v34, 0, -1, vcc_lo
	;; [unrolled: 2-line block ×4, first 2 shown]
	v_cmp_eq_u32_e32 vcc_lo, s67, v13
	v_cndmask_b32_e32 v13, v34, v16, vcc_lo
	v_add_co_u32 v16, vcc_lo, v18, 1
	v_add_co_ci_u32_e64 v34, null, 0, v31, vcc_lo
	v_cmp_eq_u32_e32 vcc_lo, s67, v14
	v_xor_b32_e32 v14, s64, v15
	v_cndmask_b32_e32 v2, v35, v2, vcc_lo
	v_cmp_ne_u32_e32 vcc_lo, 0, v13
	v_cmp_ne_u32_e64 s0, 0, v2
	v_cndmask_b32_e32 v2, v16, v32, vcc_lo
	v_cndmask_b32_e32 v13, v34, v33, vcc_lo
                                        ; implicit-def: $vgpr16
	v_cndmask_b32_e64 v2, v18, v2, s0
	v_cndmask_b32_e64 v13, v31, v13, s0
	v_xor_b32_e32 v2, v2, v14
	v_xor_b32_e32 v15, v13, v14
	v_sub_co_u32 v13, vcc_lo, v2, v14
	v_sub_co_ci_u32_e64 v14, null, v15, v14, vcc_lo
.LBB23_25:                              ;   in Loop: Header=BB23_3 Depth=1
	s_or_saveexec_b32 s0, s83
	v_cvt_f32_u32_e32 v31, s46
	s_xor_b32 exec_lo, exec_lo, s0
	s_cbranch_execz .LBB23_27
; %bb.26:                               ;   in Loop: Header=BB23_3 Depth=1
	v_rcp_iflag_f32_e32 v2, v31
	s_sub_i32 s64, 0, s46
	v_mul_f32_e32 v2, 0x4f7ffffe, v2
	v_cvt_u32_f32_e32 v2, v2
	v_mul_lo_u32 v13, s64, v2
	v_mul_hi_u32 v13, v2, v13
	v_add_nc_u32_e32 v2, v2, v13
	v_mul_hi_u32 v2, v16, v2
	v_mul_lo_u32 v13, v2, s46
	v_add_nc_u32_e32 v14, 1, v2
	v_sub_nc_u32_e32 v13, v16, v13
	v_subrev_nc_u32_e32 v15, s46, v13
	v_cmp_le_u32_e32 vcc_lo, s46, v13
	v_cndmask_b32_e32 v13, v13, v15, vcc_lo
	v_cndmask_b32_e32 v2, v2, v14, vcc_lo
	v_cmp_le_u32_e32 vcc_lo, s46, v13
	v_add_nc_u32_e32 v14, 1, v2
	v_cndmask_b32_e32 v13, v2, v14, vcc_lo
	v_mov_b32_e32 v14, v1
.LBB23_27:                              ;   in Loop: Header=BB23_3 Depth=1
	s_or_b32 exec_lo, exec_lo, s0
	v_or_b32_e32 v2, s47, v22
                                        ; implicit-def: $vgpr15_vgpr16
	s_mov_b32 s0, exec_lo
	v_cmpx_ne_u64_e32 0, v[1:2]
	s_xor_b32 s83, exec_lo, s0
	s_cbranch_execz .LBB23_29
; %bb.28:                               ;   in Loop: Header=BB23_3 Depth=1
	s_ashr_i32 s64, s47, 31
	v_add_co_u32 v16, vcc_lo, v20, v17
	s_add_u32 s66, s46, s64
	s_mov_b32 s65, s64
	s_addc_u32 s67, s47, s64
	v_add_co_ci_u32_e64 v18, null, v22, v17, vcc_lo
	s_xor_b64 s[66:67], s[66:67], s[64:65]
	v_cvt_f32_u32_e32 v2, s66
	v_cvt_f32_u32_e32 v15, s67
	s_sub_u32 s84, 0, s66
	s_subb_u32 s85, 0, s67
	v_xor_b32_e32 v18, v18, v17
	v_fmac_f32_e32 v2, 0x4f800000, v15
	v_rcp_f32_e32 v2, v2
	v_mul_f32_e32 v2, 0x5f7ffffc, v2
	v_mul_f32_e32 v15, 0x2f800000, v2
	v_trunc_f32_e32 v15, v15
	v_fmac_f32_e32 v2, 0xcf800000, v15
	v_cvt_u32_f32_e32 v15, v15
	v_cvt_u32_f32_e32 v2, v2
	v_readfirstlane_b32 s0, v15
	v_readfirstlane_b32 s65, v2
	s_mul_i32 s86, s84, s0
	v_xor_b32_e32 v2, v16, v17
	s_mul_hi_u32 s88, s84, s65
	s_mul_i32 s87, s85, s65
	s_add_i32 s86, s88, s86
	s_mul_i32 s89, s84, s65
	s_add_i32 s86, s86, s87
	s_mul_hi_u32 s88, s65, s89
	s_mul_i32 s91, s65, s86
	s_mul_hi_u32 s90, s0, s89
	s_mul_i32 s87, s0, s89
	s_mul_hi_u32 s89, s65, s86
	s_add_u32 s88, s88, s91
	s_addc_u32 s89, 0, s89
	s_mul_hi_u32 s92, s0, s86
	s_add_u32 s87, s88, s87
	s_mul_i32 s86, s0, s86
	s_addc_u32 s87, s89, s90
	s_addc_u32 s88, s92, 0
	s_add_u32 s86, s87, s86
	s_addc_u32 s87, 0, s88
	s_add_u32 s65, s65, s86
	s_cselect_b32 s86, -1, 0
	s_mul_hi_u32 s88, s84, s65
	s_cmp_lg_u32 s86, 0
	s_mul_i32 s86, s84, s65
	s_addc_u32 s0, s0, s87
	s_mul_i32 s85, s85, s65
	s_mul_i32 s84, s84, s0
	s_mul_hi_u32 s87, s65, s86
	s_add_i32 s84, s88, s84
	s_mul_hi_u32 s88, s0, s86
	s_add_i32 s84, s84, s85
	s_mul_i32 s85, s0, s86
	s_mul_i32 s90, s65, s84
	s_mul_hi_u32 s89, s65, s84
	s_add_u32 s87, s87, s90
	s_addc_u32 s89, 0, s89
	s_mul_hi_u32 s86, s0, s84
	s_add_u32 s85, s87, s85
	s_mul_i32 s84, s0, s84
	s_addc_u32 s85, s89, s88
	s_addc_u32 s86, s86, 0
	s_add_u32 s84, s85, s84
	s_addc_u32 s85, 0, s86
	s_add_u32 s65, s65, s84
	s_cselect_b32 s84, -1, 0
	v_mul_hi_u32 v20, v2, s65
	s_cmp_lg_u32 s84, 0
	v_mad_u64_u32 v[32:33], null, v18, s65, 0
	s_addc_u32 s0, s0, s85
	v_mad_u64_u32 v[15:16], null, v2, s0, 0
	v_mad_u64_u32 v[34:35], null, v18, s0, 0
	v_add_co_u32 v15, vcc_lo, v20, v15
	v_add_co_ci_u32_e64 v16, null, 0, v16, vcc_lo
	v_add_co_u32 v15, vcc_lo, v15, v32
	v_add_co_ci_u32_e32 v15, vcc_lo, v16, v33, vcc_lo
	v_add_co_ci_u32_e32 v16, vcc_lo, 0, v35, vcc_lo
	v_add_co_u32 v20, vcc_lo, v15, v34
	v_add_co_ci_u32_e64 v22, null, 0, v16, vcc_lo
	v_mul_lo_u32 v32, s67, v20
	v_mad_u64_u32 v[15:16], null, s66, v20, 0
	v_mul_lo_u32 v33, s66, v22
	v_sub_co_u32 v2, vcc_lo, v2, v15
	v_add3_u32 v16, v16, v33, v32
	v_sub_nc_u32_e32 v32, v18, v16
	v_sub_co_ci_u32_e64 v16, null, v18, v16, vcc_lo
	v_subrev_co_ci_u32_e64 v15, null, s67, v32, vcc_lo
	v_add_co_u32 v32, s0, v20, 2
	v_add_co_ci_u32_e64 v33, null, 0, v22, s0
	v_sub_co_u32 v34, s0, v2, s66
	v_subrev_co_ci_u32_e64 v15, null, 0, v15, s0
	v_cmp_le_u32_e32 vcc_lo, s66, v34
	v_cndmask_b32_e64 v18, 0, -1, vcc_lo
	v_cmp_le_u32_e32 vcc_lo, s67, v15
	v_cndmask_b32_e64 v34, 0, -1, vcc_lo
	;; [unrolled: 2-line block ×4, first 2 shown]
	v_cmp_eq_u32_e32 vcc_lo, s67, v15
	v_cndmask_b32_e32 v15, v34, v18, vcc_lo
	v_add_co_u32 v18, vcc_lo, v20, 1
	v_add_co_ci_u32_e64 v34, null, 0, v22, vcc_lo
	v_cmp_eq_u32_e32 vcc_lo, s67, v16
	v_xor_b32_e32 v16, s64, v17
	v_cndmask_b32_e32 v2, v35, v2, vcc_lo
	v_cmp_ne_u32_e32 vcc_lo, 0, v15
	v_cmp_ne_u32_e64 s0, 0, v2
	v_cndmask_b32_e32 v2, v18, v32, vcc_lo
	v_cndmask_b32_e32 v15, v34, v33, vcc_lo
	v_cndmask_b32_e64 v2, v20, v2, s0
	v_cndmask_b32_e64 v15, v22, v15, s0
                                        ; implicit-def: $vgpr20
	v_xor_b32_e32 v2, v2, v16
	v_xor_b32_e32 v17, v15, v16
	v_sub_co_u32 v15, vcc_lo, v2, v16
	v_sub_co_ci_u32_e64 v16, null, v17, v16, vcc_lo
.LBB23_29:                              ;   in Loop: Header=BB23_3 Depth=1
	s_andn2_saveexec_b32 s0, s83
	s_cbranch_execz .LBB23_31
; %bb.30:                               ;   in Loop: Header=BB23_3 Depth=1
	v_rcp_iflag_f32_e32 v2, v31
	s_sub_i32 s64, 0, s46
	v_mul_f32_e32 v2, 0x4f7ffffe, v2
	v_cvt_u32_f32_e32 v2, v2
	v_mul_lo_u32 v15, s64, v2
	v_mul_hi_u32 v15, v2, v15
	v_add_nc_u32_e32 v2, v2, v15
	v_mul_hi_u32 v2, v20, v2
	v_mul_lo_u32 v15, v2, s46
	v_add_nc_u32_e32 v16, 1, v2
	v_sub_nc_u32_e32 v15, v20, v15
	v_subrev_nc_u32_e32 v17, s46, v15
	v_cmp_le_u32_e32 vcc_lo, s46, v15
	v_cndmask_b32_e32 v15, v15, v17, vcc_lo
	v_cndmask_b32_e32 v2, v2, v16, vcc_lo
	v_cmp_le_u32_e32 vcc_lo, s46, v15
	v_add_nc_u32_e32 v16, 1, v2
	v_cndmask_b32_e32 v15, v2, v16, vcc_lo
	v_mov_b32_e32 v16, v1
.LBB23_31:                              ;   in Loop: Header=BB23_3 Depth=1
	s_or_b32 exec_lo, exec_lo, s0
	v_or_b32_e32 v2, s47, v24
                                        ; implicit-def: $vgpr17_vgpr18
	s_mov_b32 s0, exec_lo
	v_cmpx_ne_u64_e32 0, v[1:2]
	s_xor_b32 s83, exec_lo, s0
	s_cbranch_execz .LBB23_33
; %bb.32:                               ;   in Loop: Header=BB23_3 Depth=1
	s_ashr_i32 s64, s47, 31
	v_add_co_u32 v18, vcc_lo, v23, v19
	s_add_u32 s66, s46, s64
	s_mov_b32 s65, s64
	s_addc_u32 s67, s47, s64
	v_add_co_ci_u32_e64 v20, null, v24, v19, vcc_lo
	s_xor_b64 s[66:67], s[66:67], s[64:65]
	v_cvt_f32_u32_e32 v2, s66
	v_cvt_f32_u32_e32 v17, s67
	s_sub_u32 s84, 0, s66
	s_subb_u32 s85, 0, s67
	v_xor_b32_e32 v20, v20, v19
	v_fmac_f32_e32 v2, 0x4f800000, v17
	v_rcp_f32_e32 v2, v2
	v_mul_f32_e32 v2, 0x5f7ffffc, v2
	v_mul_f32_e32 v17, 0x2f800000, v2
	v_trunc_f32_e32 v17, v17
	v_fmac_f32_e32 v2, 0xcf800000, v17
	v_cvt_u32_f32_e32 v17, v17
	v_cvt_u32_f32_e32 v2, v2
	v_readfirstlane_b32 s0, v17
	v_readfirstlane_b32 s65, v2
	s_mul_i32 s86, s84, s0
	v_xor_b32_e32 v2, v18, v19
	s_mul_hi_u32 s88, s84, s65
	s_mul_i32 s87, s85, s65
	s_add_i32 s86, s88, s86
	s_mul_i32 s89, s84, s65
	s_add_i32 s86, s86, s87
	s_mul_hi_u32 s88, s65, s89
	s_mul_i32 s91, s65, s86
	s_mul_hi_u32 s90, s0, s89
	s_mul_i32 s87, s0, s89
	s_mul_hi_u32 s89, s65, s86
	s_add_u32 s88, s88, s91
	s_addc_u32 s89, 0, s89
	s_mul_hi_u32 s92, s0, s86
	s_add_u32 s87, s88, s87
	s_mul_i32 s86, s0, s86
	s_addc_u32 s87, s89, s90
	s_addc_u32 s88, s92, 0
	s_add_u32 s86, s87, s86
	s_addc_u32 s87, 0, s88
	s_add_u32 s65, s65, s86
	s_cselect_b32 s86, -1, 0
	s_mul_hi_u32 s88, s84, s65
	s_cmp_lg_u32 s86, 0
	s_mul_i32 s86, s84, s65
	s_addc_u32 s0, s0, s87
	s_mul_i32 s85, s85, s65
	s_mul_i32 s84, s84, s0
	s_mul_hi_u32 s87, s65, s86
	s_add_i32 s84, s88, s84
	s_mul_hi_u32 s88, s0, s86
	s_add_i32 s84, s84, s85
	s_mul_i32 s85, s0, s86
	s_mul_i32 s90, s65, s84
	s_mul_hi_u32 s89, s65, s84
	s_add_u32 s87, s87, s90
	s_addc_u32 s89, 0, s89
	s_mul_hi_u32 s86, s0, s84
	s_add_u32 s85, s87, s85
	s_mul_i32 s84, s0, s84
	s_addc_u32 s85, s89, s88
	s_addc_u32 s86, s86, 0
	s_add_u32 s84, s85, s84
	s_addc_u32 s85, 0, s86
	s_add_u32 s65, s65, s84
	s_cselect_b32 s84, -1, 0
	v_mul_hi_u32 v24, v2, s65
	s_cmp_lg_u32 s84, 0
	v_mad_u64_u32 v[22:23], null, v20, s65, 0
	s_addc_u32 s0, s0, s85
	v_mad_u64_u32 v[17:18], null, v2, s0, 0
	v_mad_u64_u32 v[32:33], null, v20, s0, 0
	v_add_co_u32 v17, vcc_lo, v24, v17
	v_add_co_ci_u32_e64 v18, null, 0, v18, vcc_lo
	v_add_co_u32 v17, vcc_lo, v17, v22
	v_add_co_ci_u32_e32 v17, vcc_lo, v18, v23, vcc_lo
	v_add_co_ci_u32_e32 v18, vcc_lo, 0, v33, vcc_lo
	v_add_co_u32 v22, vcc_lo, v17, v32
	v_add_co_ci_u32_e64 v23, null, 0, v18, vcc_lo
	v_mul_lo_u32 v24, s67, v22
	v_mad_u64_u32 v[17:18], null, s66, v22, 0
	v_mul_lo_u32 v32, s66, v23
	v_sub_co_u32 v2, vcc_lo, v2, v17
	v_add3_u32 v18, v18, v32, v24
	v_sub_nc_u32_e32 v24, v20, v18
	v_sub_co_ci_u32_e64 v18, null, v20, v18, vcc_lo
	v_subrev_co_ci_u32_e64 v17, null, s67, v24, vcc_lo
	v_add_co_u32 v24, s0, v22, 2
	v_add_co_ci_u32_e64 v32, null, 0, v23, s0
	v_sub_co_u32 v33, s0, v2, s66
	v_subrev_co_ci_u32_e64 v17, null, 0, v17, s0
	v_cmp_le_u32_e32 vcc_lo, s66, v33
	v_cndmask_b32_e64 v20, 0, -1, vcc_lo
	v_cmp_le_u32_e32 vcc_lo, s67, v17
	v_cndmask_b32_e64 v33, 0, -1, vcc_lo
	;; [unrolled: 2-line block ×4, first 2 shown]
	v_cmp_eq_u32_e32 vcc_lo, s67, v17
	v_cndmask_b32_e32 v17, v33, v20, vcc_lo
	v_add_co_u32 v20, vcc_lo, v22, 1
	v_add_co_ci_u32_e64 v33, null, 0, v23, vcc_lo
	v_cmp_eq_u32_e32 vcc_lo, s67, v18
	v_xor_b32_e32 v18, s64, v19
	v_cndmask_b32_e32 v2, v34, v2, vcc_lo
	v_cmp_ne_u32_e32 vcc_lo, 0, v17
	v_cmp_ne_u32_e64 s0, 0, v2
	v_cndmask_b32_e32 v2, v20, v24, vcc_lo
	v_cndmask_b32_e32 v17, v33, v32, vcc_lo
	v_cndmask_b32_e64 v2, v22, v2, s0
	v_cndmask_b32_e64 v17, v23, v17, s0
                                        ; implicit-def: $vgpr23
	v_xor_b32_e32 v2, v2, v18
	v_xor_b32_e32 v19, v17, v18
	v_sub_co_u32 v17, vcc_lo, v2, v18
	v_sub_co_ci_u32_e64 v18, null, v19, v18, vcc_lo
.LBB23_33:                              ;   in Loop: Header=BB23_3 Depth=1
	s_andn2_saveexec_b32 s0, s83
	s_cbranch_execz .LBB23_35
; %bb.34:                               ;   in Loop: Header=BB23_3 Depth=1
	v_rcp_iflag_f32_e32 v2, v31
	s_sub_i32 s64, 0, s46
	v_mul_f32_e32 v2, 0x4f7ffffe, v2
	v_cvt_u32_f32_e32 v2, v2
	v_mul_lo_u32 v17, s64, v2
	v_mul_hi_u32 v17, v2, v17
	v_add_nc_u32_e32 v2, v2, v17
	v_mul_hi_u32 v2, v23, v2
	v_mul_lo_u32 v17, v2, s46
	v_add_nc_u32_e32 v18, 1, v2
	v_sub_nc_u32_e32 v17, v23, v17
	v_subrev_nc_u32_e32 v19, s46, v17
	v_cmp_le_u32_e32 vcc_lo, s46, v17
	v_cndmask_b32_e32 v17, v17, v19, vcc_lo
	v_cndmask_b32_e32 v2, v2, v18, vcc_lo
	v_cmp_le_u32_e32 vcc_lo, s46, v17
	v_add_nc_u32_e32 v18, 1, v2
	v_cndmask_b32_e32 v17, v2, v18, vcc_lo
	v_mov_b32_e32 v18, v1
.LBB23_35:                              ;   in Loop: Header=BB23_3 Depth=1
	s_or_b32 exec_lo, exec_lo, s0
	v_or_b32_e32 v2, s47, v30
                                        ; implicit-def: $vgpr19_vgpr20
	s_mov_b32 s0, exec_lo
	v_cmpx_ne_u64_e32 0, v[1:2]
	s_xor_b32 s83, exec_lo, s0
	s_cbranch_execz .LBB23_37
; %bb.36:                               ;   in Loop: Header=BB23_3 Depth=1
	s_ashr_i32 s64, s47, 31
	v_add_co_u32 v20, vcc_lo, v29, v21
	s_add_u32 s66, s46, s64
	s_mov_b32 s65, s64
	s_addc_u32 s67, s47, s64
	v_add_co_ci_u32_e64 v22, null, v30, v21, vcc_lo
	s_xor_b64 s[66:67], s[66:67], s[64:65]
	v_cvt_f32_u32_e32 v2, s66
	v_cvt_f32_u32_e32 v19, s67
	s_sub_u32 s84, 0, s66
	s_subb_u32 s85, 0, s67
	v_xor_b32_e32 v24, v22, v21
	v_fmac_f32_e32 v2, 0x4f800000, v19
	v_rcp_f32_e32 v2, v2
	v_mul_f32_e32 v2, 0x5f7ffffc, v2
	v_mul_f32_e32 v19, 0x2f800000, v2
	v_trunc_f32_e32 v19, v19
	v_fmac_f32_e32 v2, 0xcf800000, v19
	v_cvt_u32_f32_e32 v19, v19
	v_cvt_u32_f32_e32 v2, v2
	v_readfirstlane_b32 s0, v19
	v_readfirstlane_b32 s65, v2
	s_mul_i32 s86, s84, s0
	v_xor_b32_e32 v2, v20, v21
	s_mul_hi_u32 s88, s84, s65
	s_mul_i32 s87, s85, s65
	s_add_i32 s86, s88, s86
	s_mul_i32 s89, s84, s65
	s_add_i32 s86, s86, s87
	s_mul_hi_u32 s88, s65, s89
	s_mul_i32 s91, s65, s86
	s_mul_hi_u32 s90, s0, s89
	s_mul_i32 s87, s0, s89
	s_mul_hi_u32 s89, s65, s86
	s_add_u32 s88, s88, s91
	s_addc_u32 s89, 0, s89
	s_mul_hi_u32 s92, s0, s86
	s_add_u32 s87, s88, s87
	s_mul_i32 s86, s0, s86
	s_addc_u32 s87, s89, s90
	s_addc_u32 s88, s92, 0
	s_add_u32 s86, s87, s86
	s_addc_u32 s87, 0, s88
	s_add_u32 s65, s65, s86
	s_cselect_b32 s86, -1, 0
	s_mul_hi_u32 s88, s84, s65
	s_cmp_lg_u32 s86, 0
	s_mul_i32 s86, s84, s65
	s_addc_u32 s0, s0, s87
	s_mul_i32 s85, s85, s65
	s_mul_i32 s84, s84, s0
	s_mul_hi_u32 s87, s65, s86
	s_add_i32 s84, s88, s84
	s_mul_hi_u32 s88, s0, s86
	s_add_i32 s84, s84, s85
	s_mul_i32 s85, s0, s86
	s_mul_i32 s90, s65, s84
	s_mul_hi_u32 s89, s65, s84
	s_add_u32 s87, s87, s90
	s_addc_u32 s89, 0, s89
	s_mul_hi_u32 s86, s0, s84
	s_add_u32 s85, s87, s85
	s_mul_i32 s84, s0, s84
	s_addc_u32 s85, s89, s88
	s_addc_u32 s86, s86, 0
	s_add_u32 s84, s85, s84
	s_addc_u32 s85, 0, s86
	s_add_u32 s65, s65, s84
	s_cselect_b32 s84, -1, 0
	v_mul_hi_u32 v31, v2, s65
	s_cmp_lg_u32 s84, 0
	v_mad_u64_u32 v[22:23], null, v24, s65, 0
	s_addc_u32 s0, s0, s85
	v_mad_u64_u32 v[19:20], null, v2, s0, 0
	v_mad_u64_u32 v[29:30], null, v24, s0, 0
	v_add_co_u32 v19, vcc_lo, v31, v19
	v_add_co_ci_u32_e64 v20, null, 0, v20, vcc_lo
	v_add_co_u32 v19, vcc_lo, v19, v22
	v_add_co_ci_u32_e32 v19, vcc_lo, v20, v23, vcc_lo
	v_add_co_ci_u32_e32 v20, vcc_lo, 0, v30, vcc_lo
	v_add_co_u32 v22, vcc_lo, v19, v29
	v_add_co_ci_u32_e64 v23, null, 0, v20, vcc_lo
	v_mul_lo_u32 v29, s67, v22
	v_mad_u64_u32 v[19:20], null, s66, v22, 0
	v_mul_lo_u32 v30, s66, v23
	v_sub_co_u32 v2, vcc_lo, v2, v19
	v_add3_u32 v20, v20, v30, v29
	v_sub_nc_u32_e32 v29, v24, v20
	v_sub_co_ci_u32_e64 v20, null, v24, v20, vcc_lo
	v_subrev_co_ci_u32_e64 v19, null, s67, v29, vcc_lo
	v_add_co_u32 v29, s0, v22, 2
	v_add_co_ci_u32_e64 v30, null, 0, v23, s0
	v_sub_co_u32 v31, s0, v2, s66
	v_subrev_co_ci_u32_e64 v19, null, 0, v19, s0
	v_cmp_le_u32_e32 vcc_lo, s66, v31
	v_cndmask_b32_e64 v24, 0, -1, vcc_lo
	v_cmp_le_u32_e32 vcc_lo, s67, v19
	v_cndmask_b32_e64 v31, 0, -1, vcc_lo
	;; [unrolled: 2-line block ×4, first 2 shown]
	v_cmp_eq_u32_e32 vcc_lo, s67, v19
	v_cndmask_b32_e32 v19, v31, v24, vcc_lo
	v_add_co_u32 v24, vcc_lo, v22, 1
	v_add_co_ci_u32_e64 v31, null, 0, v23, vcc_lo
	v_cmp_eq_u32_e32 vcc_lo, s67, v20
	v_xor_b32_e32 v20, s64, v21
	v_cndmask_b32_e32 v2, v32, v2, vcc_lo
	v_cmp_ne_u32_e32 vcc_lo, 0, v19
	v_cmp_ne_u32_e64 s0, 0, v2
	v_cndmask_b32_e32 v2, v24, v29, vcc_lo
	v_cndmask_b32_e32 v19, v31, v30, vcc_lo
                                        ; implicit-def: $vgpr31
                                        ; implicit-def: $vgpr29
	v_cndmask_b32_e64 v2, v22, v2, s0
	v_cndmask_b32_e64 v19, v23, v19, s0
	v_xor_b32_e32 v2, v2, v20
	v_xor_b32_e32 v21, v19, v20
	v_sub_co_u32 v19, vcc_lo, v2, v20
	v_sub_co_ci_u32_e64 v20, null, v21, v20, vcc_lo
.LBB23_37:                              ;   in Loop: Header=BB23_3 Depth=1
	s_andn2_saveexec_b32 s0, s83
	s_cbranch_execz .LBB23_39
; %bb.38:                               ;   in Loop: Header=BB23_3 Depth=1
	v_rcp_iflag_f32_e32 v2, v31
	s_sub_i32 s64, 0, s46
	v_mul_f32_e32 v2, 0x4f7ffffe, v2
	v_cvt_u32_f32_e32 v2, v2
	v_mul_lo_u32 v19, s64, v2
	v_mul_hi_u32 v19, v2, v19
	v_add_nc_u32_e32 v2, v2, v19
	v_mul_hi_u32 v2, v29, v2
	v_mul_lo_u32 v19, v2, s46
	v_add_nc_u32_e32 v20, 1, v2
	v_sub_nc_u32_e32 v19, v29, v19
	v_subrev_nc_u32_e32 v21, s46, v19
	v_cmp_le_u32_e32 vcc_lo, s46, v19
	v_cndmask_b32_e32 v19, v19, v21, vcc_lo
	v_cndmask_b32_e32 v2, v2, v20, vcc_lo
	v_cmp_le_u32_e32 vcc_lo, s46, v19
	v_add_nc_u32_e32 v20, 1, v2
	v_cndmask_b32_e32 v19, v2, v20, vcc_lo
	v_mov_b32_e32 v20, v1
.LBB23_39:                              ;   in Loop: Header=BB23_3 Depth=1
	s_or_b32 exec_lo, exec_lo, s0
	v_or_b32_e32 v2, s51, v4
                                        ; implicit-def: $vgpr21_vgpr22
	s_mov_b32 s0, exec_lo
	v_cmpx_ne_u64_e32 0, v[1:2]
	s_xor_b32 s83, exec_lo, s0
	s_cbranch_execz .LBB23_41
; %bb.40:                               ;   in Loop: Header=BB23_3 Depth=1
	s_ashr_i32 s64, s51, 31
	v_ashrrev_i32_e32 v31, 31, v4
	s_add_u32 s66, s50, s64
	s_mov_b32 s65, s64
	s_addc_u32 s67, s51, s64
	s_xor_b64 s[66:67], s[66:67], s[64:65]
	v_add_co_u32 v22, vcc_lo, v3, v31
	v_cvt_f32_u32_e32 v2, s66
	v_cvt_f32_u32_e32 v21, s67
	s_sub_u32 s84, 0, s66
	s_subb_u32 s85, 0, s67
	v_add_co_ci_u32_e64 v23, null, v4, v31, vcc_lo
	v_fmac_f32_e32 v2, 0x4f800000, v21
	v_xor_b32_e32 v32, v23, v31
	v_rcp_f32_e32 v2, v2
	v_mul_f32_e32 v2, 0x5f7ffffc, v2
	v_mul_f32_e32 v21, 0x2f800000, v2
	v_trunc_f32_e32 v21, v21
	v_fmac_f32_e32 v2, 0xcf800000, v21
	v_cvt_u32_f32_e32 v21, v21
	v_cvt_u32_f32_e32 v2, v2
	v_readfirstlane_b32 s0, v21
	v_readfirstlane_b32 s65, v2
	s_mul_i32 s86, s84, s0
	v_xor_b32_e32 v2, v22, v31
	s_mul_hi_u32 s88, s84, s65
	s_mul_i32 s87, s85, s65
	s_add_i32 s86, s88, s86
	s_mul_i32 s89, s84, s65
	s_add_i32 s86, s86, s87
	s_mul_hi_u32 s88, s65, s89
	s_mul_i32 s91, s65, s86
	s_mul_hi_u32 s90, s0, s89
	s_mul_i32 s87, s0, s89
	s_mul_hi_u32 s89, s65, s86
	s_add_u32 s88, s88, s91
	s_addc_u32 s89, 0, s89
	s_mul_hi_u32 s92, s0, s86
	s_add_u32 s87, s88, s87
	s_mul_i32 s86, s0, s86
	s_addc_u32 s87, s89, s90
	s_addc_u32 s88, s92, 0
	s_add_u32 s86, s87, s86
	s_addc_u32 s87, 0, s88
	s_add_u32 s65, s65, s86
	s_cselect_b32 s86, -1, 0
	s_mul_hi_u32 s88, s84, s65
	s_cmp_lg_u32 s86, 0
	s_mul_i32 s86, s84, s65
	s_addc_u32 s0, s0, s87
	s_mul_i32 s85, s85, s65
	s_mul_i32 s84, s84, s0
	s_mul_hi_u32 s87, s65, s86
	s_add_i32 s84, s88, s84
	s_mul_hi_u32 s88, s0, s86
	s_add_i32 s84, s84, s85
	s_mul_i32 s85, s0, s86
	s_mul_i32 s90, s65, s84
	s_mul_hi_u32 s89, s65, s84
	s_add_u32 s87, s87, s90
	s_addc_u32 s89, 0, s89
	s_mul_hi_u32 s86, s0, s84
	s_add_u32 s85, s87, s85
	s_mul_i32 s84, s0, s84
	s_addc_u32 s85, s89, s88
	s_addc_u32 s86, s86, 0
	s_add_u32 s84, s85, s84
	s_addc_u32 s85, 0, s86
	s_add_u32 s65, s65, s84
	s_cselect_b32 s84, -1, 0
	v_mul_hi_u32 v33, v2, s65
	s_cmp_lg_u32 s84, 0
	v_mad_u64_u32 v[23:24], null, v32, s65, 0
	s_addc_u32 s0, s0, s85
	v_mad_u64_u32 v[21:22], null, v2, s0, 0
	v_mad_u64_u32 v[29:30], null, v32, s0, 0
	v_add_co_u32 v21, vcc_lo, v33, v21
	v_add_co_ci_u32_e64 v22, null, 0, v22, vcc_lo
	v_add_co_u32 v21, vcc_lo, v21, v23
	v_add_co_ci_u32_e32 v21, vcc_lo, v22, v24, vcc_lo
	v_add_co_ci_u32_e32 v22, vcc_lo, 0, v30, vcc_lo
	v_add_co_u32 v23, vcc_lo, v21, v29
	v_add_co_ci_u32_e64 v24, null, 0, v22, vcc_lo
	v_mul_lo_u32 v29, s67, v23
	v_mad_u64_u32 v[21:22], null, s66, v23, 0
	v_mul_lo_u32 v30, s66, v24
	v_sub_co_u32 v2, vcc_lo, v2, v21
	v_add3_u32 v22, v22, v30, v29
	v_sub_nc_u32_e32 v29, v32, v22
	v_sub_co_ci_u32_e64 v22, null, v32, v22, vcc_lo
	v_subrev_co_ci_u32_e64 v21, null, s67, v29, vcc_lo
	v_add_co_u32 v29, s0, v23, 2
	v_add_co_ci_u32_e64 v30, null, 0, v24, s0
	v_sub_co_u32 v33, s0, v2, s66
	v_subrev_co_ci_u32_e64 v21, null, 0, v21, s0
	v_cmp_le_u32_e32 vcc_lo, s66, v33
	v_cndmask_b32_e64 v32, 0, -1, vcc_lo
	v_cmp_le_u32_e32 vcc_lo, s67, v21
	v_cndmask_b32_e64 v33, 0, -1, vcc_lo
	;; [unrolled: 2-line block ×4, first 2 shown]
	v_cmp_eq_u32_e32 vcc_lo, s67, v21
	v_cndmask_b32_e32 v21, v33, v32, vcc_lo
	v_add_co_u32 v32, vcc_lo, v23, 1
	v_add_co_ci_u32_e64 v33, null, 0, v24, vcc_lo
	v_cmp_eq_u32_e32 vcc_lo, s67, v22
	v_xor_b32_e32 v22, s64, v31
	v_cndmask_b32_e32 v2, v34, v2, vcc_lo
	v_cmp_ne_u32_e32 vcc_lo, 0, v21
	v_cmp_ne_u32_e64 s0, 0, v2
	v_cndmask_b32_e32 v2, v32, v29, vcc_lo
	v_cndmask_b32_e32 v21, v33, v30, vcc_lo
	v_cndmask_b32_e64 v2, v23, v2, s0
	v_cndmask_b32_e64 v21, v24, v21, s0
	v_xor_b32_e32 v2, v2, v22
	v_xor_b32_e32 v23, v21, v22
	v_sub_co_u32 v21, vcc_lo, v2, v22
	v_sub_co_ci_u32_e64 v22, null, v23, v22, vcc_lo
.LBB23_41:                              ;   in Loop: Header=BB23_3 Depth=1
	s_andn2_saveexec_b32 s0, s83
	s_cbranch_execz .LBB23_43
; %bb.42:                               ;   in Loop: Header=BB23_3 Depth=1
	v_cvt_f32_u32_e32 v2, s50
	s_sub_i32 s64, 0, s50
	v_rcp_iflag_f32_e32 v2, v2
	v_mul_f32_e32 v2, 0x4f7ffffe, v2
	v_cvt_u32_f32_e32 v2, v2
	v_mul_lo_u32 v21, s64, v2
	v_mul_hi_u32 v21, v2, v21
	v_add_nc_u32_e32 v2, v2, v21
	v_mul_hi_u32 v2, v3, v2
	v_mul_lo_u32 v21, v2, s50
	v_add_nc_u32_e32 v22, 1, v2
	v_sub_nc_u32_e32 v21, v3, v21
	v_subrev_nc_u32_e32 v23, s50, v21
	v_cmp_le_u32_e32 vcc_lo, s50, v21
	v_cndmask_b32_e32 v21, v21, v23, vcc_lo
	v_cndmask_b32_e32 v2, v2, v22, vcc_lo
	v_cmp_le_u32_e32 vcc_lo, s50, v21
	v_add_nc_u32_e32 v22, 1, v2
	v_cndmask_b32_e32 v21, v2, v22, vcc_lo
	v_mov_b32_e32 v22, v1
.LBB23_43:                              ;   in Loop: Header=BB23_3 Depth=1
	s_or_b32 exec_lo, exec_lo, s0
	v_mad_u64_u32 v[23:24], null, s72, v21, v[3:4]
	v_mul_lo_u32 v2, s72, v22
	v_mul_lo_u32 v29, s73, v21
	;; [unrolled: 1-line block ×4, first 2 shown]
	v_mad_u64_u32 v[21:22], null, v21, s24, 0
	s_mov_b32 s0, exec_lo
	v_add3_u32 v2, v29, v24, v2
	v_mul_lo_u32 v29, v23, s27
	v_mad_u64_u32 v[23:24], null, v23, s26, 0
	v_add3_u32 v22, v22, v31, v30
	v_mul_lo_u32 v2, v2, s26
	v_lshlrev_b64 v[21:22], 2, v[21:22]
	v_add3_u32 v24, v24, v29, v2
	v_add_co_u32 v2, vcc_lo, s48, v21
	v_add_co_ci_u32_e64 v22, null, s49, v22, vcc_lo
	v_lshlrev_b64 v[23:24], 2, v[23:24]
	v_add_co_u32 v21, vcc_lo, v2, v23
	v_add_co_ci_u32_e64 v22, null, v22, v24, vcc_lo
	v_or_b32_e32 v2, s55, v4
	global_load_dword v29, v[21:22], off
                                        ; implicit-def: $vgpr21_vgpr22
	v_cmpx_ne_u64_e32 0, v[1:2]
	s_xor_b32 s83, exec_lo, s0
	s_cbranch_execz .LBB23_45
; %bb.44:                               ;   in Loop: Header=BB23_3 Depth=1
	s_ashr_i32 s64, s55, 31
	v_ashrrev_i32_e32 v32, 31, v4
	s_add_u32 s66, s54, s64
	s_mov_b32 s65, s64
	s_addc_u32 s67, s55, s64
	s_xor_b64 s[66:67], s[66:67], s[64:65]
	v_add_co_u32 v22, vcc_lo, v3, v32
	v_cvt_f32_u32_e32 v2, s66
	v_cvt_f32_u32_e32 v21, s67
	s_sub_u32 s84, 0, s66
	s_subb_u32 s85, 0, s67
	v_add_co_ci_u32_e64 v23, null, v4, v32, vcc_lo
	v_fmac_f32_e32 v2, 0x4f800000, v21
	v_xor_b32_e32 v33, v23, v32
	v_rcp_f32_e32 v2, v2
	v_mul_f32_e32 v2, 0x5f7ffffc, v2
	v_mul_f32_e32 v21, 0x2f800000, v2
	v_trunc_f32_e32 v21, v21
	v_fmac_f32_e32 v2, 0xcf800000, v21
	v_cvt_u32_f32_e32 v21, v21
	v_cvt_u32_f32_e32 v2, v2
	v_readfirstlane_b32 s0, v21
	v_readfirstlane_b32 s65, v2
	s_mul_i32 s86, s84, s0
	v_xor_b32_e32 v2, v22, v32
	s_mul_hi_u32 s88, s84, s65
	s_mul_i32 s87, s85, s65
	s_add_i32 s86, s88, s86
	s_mul_i32 s89, s84, s65
	s_add_i32 s86, s86, s87
	s_mul_hi_u32 s88, s65, s89
	s_mul_i32 s91, s65, s86
	s_mul_hi_u32 s90, s0, s89
	s_mul_i32 s87, s0, s89
	s_mul_hi_u32 s89, s65, s86
	s_add_u32 s88, s88, s91
	s_addc_u32 s89, 0, s89
	s_mul_hi_u32 s92, s0, s86
	s_add_u32 s87, s88, s87
	s_mul_i32 s86, s0, s86
	s_addc_u32 s87, s89, s90
	s_addc_u32 s88, s92, 0
	s_add_u32 s86, s87, s86
	s_addc_u32 s87, 0, s88
	s_add_u32 s65, s65, s86
	s_cselect_b32 s86, -1, 0
	s_mul_hi_u32 s88, s84, s65
	s_cmp_lg_u32 s86, 0
	s_mul_i32 s86, s84, s65
	s_addc_u32 s0, s0, s87
	s_mul_i32 s85, s85, s65
	s_mul_i32 s84, s84, s0
	s_mul_hi_u32 s87, s65, s86
	s_add_i32 s84, s88, s84
	s_mul_hi_u32 s88, s0, s86
	s_add_i32 s84, s84, s85
	s_mul_i32 s85, s0, s86
	s_mul_i32 s90, s65, s84
	s_mul_hi_u32 s89, s65, s84
	s_add_u32 s87, s87, s90
	s_addc_u32 s89, 0, s89
	s_mul_hi_u32 s86, s0, s84
	s_add_u32 s85, s87, s85
	s_mul_i32 s84, s0, s84
	s_addc_u32 s85, s89, s88
	s_addc_u32 s86, s86, 0
	s_add_u32 s84, s85, s84
	s_addc_u32 s85, 0, s86
	s_add_u32 s65, s65, s84
	s_cselect_b32 s84, -1, 0
	v_mul_hi_u32 v34, v2, s65
	s_cmp_lg_u32 s84, 0
	v_mad_u64_u32 v[23:24], null, v33, s65, 0
	s_addc_u32 s0, s0, s85
	v_mad_u64_u32 v[21:22], null, v2, s0, 0
	v_mad_u64_u32 v[30:31], null, v33, s0, 0
	v_add_co_u32 v21, vcc_lo, v34, v21
	v_add_co_ci_u32_e64 v22, null, 0, v22, vcc_lo
	v_add_co_u32 v21, vcc_lo, v21, v23
	v_add_co_ci_u32_e32 v21, vcc_lo, v22, v24, vcc_lo
	v_add_co_ci_u32_e32 v22, vcc_lo, 0, v31, vcc_lo
	v_add_co_u32 v23, vcc_lo, v21, v30
	v_add_co_ci_u32_e64 v24, null, 0, v22, vcc_lo
	v_mul_lo_u32 v30, s67, v23
	v_mad_u64_u32 v[21:22], null, s66, v23, 0
	v_mul_lo_u32 v31, s66, v24
	v_sub_co_u32 v2, vcc_lo, v2, v21
	v_add3_u32 v22, v22, v31, v30
	v_sub_nc_u32_e32 v30, v33, v22
	v_sub_co_ci_u32_e64 v22, null, v33, v22, vcc_lo
	v_subrev_co_ci_u32_e64 v21, null, s67, v30, vcc_lo
	v_add_co_u32 v30, s0, v23, 2
	v_add_co_ci_u32_e64 v31, null, 0, v24, s0
	v_sub_co_u32 v34, s0, v2, s66
	v_subrev_co_ci_u32_e64 v21, null, 0, v21, s0
	v_cmp_le_u32_e32 vcc_lo, s66, v34
	v_cndmask_b32_e64 v33, 0, -1, vcc_lo
	v_cmp_le_u32_e32 vcc_lo, s67, v21
	v_cndmask_b32_e64 v34, 0, -1, vcc_lo
	;; [unrolled: 2-line block ×4, first 2 shown]
	v_cmp_eq_u32_e32 vcc_lo, s67, v21
	v_cndmask_b32_e32 v21, v34, v33, vcc_lo
	v_add_co_u32 v33, vcc_lo, v23, 1
	v_add_co_ci_u32_e64 v34, null, 0, v24, vcc_lo
	v_cmp_eq_u32_e32 vcc_lo, s67, v22
	v_xor_b32_e32 v22, s64, v32
	v_cndmask_b32_e32 v2, v35, v2, vcc_lo
	v_cmp_ne_u32_e32 vcc_lo, 0, v21
	v_cmp_ne_u32_e64 s0, 0, v2
	v_cndmask_b32_e32 v2, v33, v30, vcc_lo
	v_cndmask_b32_e32 v21, v34, v31, vcc_lo
	v_cndmask_b32_e64 v2, v23, v2, s0
	v_cndmask_b32_e64 v21, v24, v21, s0
	v_xor_b32_e32 v2, v2, v22
	v_xor_b32_e32 v23, v21, v22
	v_sub_co_u32 v21, vcc_lo, v2, v22
	v_sub_co_ci_u32_e64 v22, null, v23, v22, vcc_lo
.LBB23_45:                              ;   in Loop: Header=BB23_3 Depth=1
	s_andn2_saveexec_b32 s0, s83
	s_cbranch_execz .LBB23_47
; %bb.46:                               ;   in Loop: Header=BB23_3 Depth=1
	v_cvt_f32_u32_e32 v2, s54
	s_sub_i32 s64, 0, s54
	v_rcp_iflag_f32_e32 v2, v2
	v_mul_f32_e32 v2, 0x4f7ffffe, v2
	v_cvt_u32_f32_e32 v2, v2
	v_mul_lo_u32 v21, s64, v2
	v_mul_hi_u32 v21, v2, v21
	v_add_nc_u32_e32 v2, v2, v21
	v_mul_hi_u32 v2, v3, v2
	v_mul_lo_u32 v21, v2, s54
	v_add_nc_u32_e32 v22, 1, v2
	v_sub_nc_u32_e32 v21, v3, v21
	v_subrev_nc_u32_e32 v23, s54, v21
	v_cmp_le_u32_e32 vcc_lo, s54, v21
	v_cndmask_b32_e32 v21, v21, v23, vcc_lo
	v_cndmask_b32_e32 v2, v2, v22, vcc_lo
	v_cmp_le_u32_e32 vcc_lo, s54, v21
	v_add_nc_u32_e32 v22, 1, v2
	v_cndmask_b32_e32 v21, v2, v22, vcc_lo
	v_mov_b32_e32 v22, v1
.LBB23_47:                              ;   in Loop: Header=BB23_3 Depth=1
	s_or_b32 exec_lo, exec_lo, s0
	v_mad_u64_u32 v[23:24], null, s74, v21, v[3:4]
	v_mul_lo_u32 v2, s74, v22
	v_mul_lo_u32 v30, s75, v21
	;; [unrolled: 1-line block ×4, first 2 shown]
	v_mad_u64_u32 v[21:22], null, v21, s28, 0
	s_mov_b32 s0, exec_lo
	v_add3_u32 v2, v30, v24, v2
	v_mul_lo_u32 v30, v23, s31
	v_mad_u64_u32 v[23:24], null, v23, s30, 0
	v_add3_u32 v22, v22, v32, v31
	v_mul_lo_u32 v2, v2, s30
	v_lshlrev_b64 v[21:22], 2, v[21:22]
	v_add3_u32 v24, v24, v30, v2
	v_add_co_u32 v2, vcc_lo, s52, v21
	v_add_co_ci_u32_e64 v22, null, s53, v22, vcc_lo
	v_lshlrev_b64 v[23:24], 2, v[23:24]
	v_add_co_u32 v21, vcc_lo, v2, v23
	v_add_co_ci_u32_e64 v22, null, v22, v24, vcc_lo
	v_or_b32_e32 v2, s61, v4
	global_load_dword v30, v[21:22], off
                                        ; implicit-def: $vgpr21_vgpr22
	v_cmpx_ne_u64_e32 0, v[1:2]
	s_xor_b32 s83, exec_lo, s0
	s_cbranch_execz .LBB23_63
; %bb.48:                               ;   in Loop: Header=BB23_3 Depth=1
	s_ashr_i32 s64, s61, 31
	v_ashrrev_i32_e32 v33, 31, v4
	s_add_u32 s66, s60, s64
	s_mov_b32 s65, s64
	s_addc_u32 s67, s61, s64
	s_xor_b64 s[66:67], s[66:67], s[64:65]
	v_add_co_u32 v22, vcc_lo, v3, v33
	v_cvt_f32_u32_e32 v2, s66
	v_cvt_f32_u32_e32 v21, s67
	s_sub_u32 s84, 0, s66
	s_subb_u32 s85, 0, s67
	v_add_co_ci_u32_e64 v23, null, v4, v33, vcc_lo
	v_fmac_f32_e32 v2, 0x4f800000, v21
	v_xor_b32_e32 v34, v23, v33
	v_rcp_f32_e32 v2, v2
	v_mul_f32_e32 v2, 0x5f7ffffc, v2
	v_mul_f32_e32 v21, 0x2f800000, v2
	v_trunc_f32_e32 v21, v21
	v_fmac_f32_e32 v2, 0xcf800000, v21
	v_cvt_u32_f32_e32 v21, v21
	v_cvt_u32_f32_e32 v2, v2
	v_readfirstlane_b32 s0, v21
	v_readfirstlane_b32 s65, v2
	s_mul_i32 s86, s84, s0
	v_xor_b32_e32 v2, v22, v33
	s_mul_hi_u32 s88, s84, s65
	s_mul_i32 s87, s85, s65
	s_add_i32 s86, s88, s86
	s_mul_i32 s89, s84, s65
	s_add_i32 s86, s86, s87
	s_mul_hi_u32 s88, s65, s89
	s_mul_i32 s91, s65, s86
	s_mul_hi_u32 s90, s0, s89
	s_mul_i32 s87, s0, s89
	s_mul_hi_u32 s89, s65, s86
	s_add_u32 s88, s88, s91
	s_addc_u32 s89, 0, s89
	s_mul_hi_u32 s92, s0, s86
	s_add_u32 s87, s88, s87
	s_mul_i32 s86, s0, s86
	s_addc_u32 s87, s89, s90
	s_addc_u32 s88, s92, 0
	s_add_u32 s86, s87, s86
	s_addc_u32 s87, 0, s88
	s_add_u32 s65, s65, s86
	s_cselect_b32 s86, -1, 0
	s_mul_hi_u32 s88, s84, s65
	s_cmp_lg_u32 s86, 0
	s_mul_i32 s86, s84, s65
	s_addc_u32 s0, s0, s87
	s_mul_i32 s85, s85, s65
	s_mul_i32 s84, s84, s0
	s_mul_hi_u32 s87, s65, s86
	s_add_i32 s84, s88, s84
	s_mul_hi_u32 s88, s0, s86
	s_add_i32 s84, s84, s85
	s_mul_i32 s85, s0, s86
	s_mul_i32 s90, s65, s84
	s_mul_hi_u32 s89, s65, s84
	s_add_u32 s87, s87, s90
	s_addc_u32 s89, 0, s89
	s_mul_hi_u32 s86, s0, s84
	s_add_u32 s85, s87, s85
	s_mul_i32 s84, s0, s84
	s_addc_u32 s85, s89, s88
	s_addc_u32 s86, s86, 0
	s_add_u32 s84, s85, s84
	s_addc_u32 s85, 0, s86
	s_add_u32 s65, s65, s84
	s_cselect_b32 s84, -1, 0
	v_mul_hi_u32 v35, v2, s65
	s_cmp_lg_u32 s84, 0
	v_mad_u64_u32 v[23:24], null, v34, s65, 0
	s_addc_u32 s0, s0, s85
	v_mad_u64_u32 v[21:22], null, v2, s0, 0
	v_mad_u64_u32 v[31:32], null, v34, s0, 0
	v_add_co_u32 v21, vcc_lo, v35, v21
	v_add_co_ci_u32_e64 v22, null, 0, v22, vcc_lo
	v_add_co_u32 v21, vcc_lo, v21, v23
	v_add_co_ci_u32_e32 v21, vcc_lo, v22, v24, vcc_lo
	v_add_co_ci_u32_e32 v22, vcc_lo, 0, v32, vcc_lo
	v_add_co_u32 v23, vcc_lo, v21, v31
	v_add_co_ci_u32_e64 v24, null, 0, v22, vcc_lo
	v_mul_lo_u32 v31, s67, v23
	v_mad_u64_u32 v[21:22], null, s66, v23, 0
	v_mul_lo_u32 v32, s66, v24
	v_sub_co_u32 v2, vcc_lo, v2, v21
	v_add3_u32 v22, v22, v32, v31
	v_sub_nc_u32_e32 v31, v34, v22
	v_sub_co_ci_u32_e64 v22, null, v34, v22, vcc_lo
	v_subrev_co_ci_u32_e64 v21, null, s67, v31, vcc_lo
	v_add_co_u32 v31, s0, v23, 2
	v_add_co_ci_u32_e64 v32, null, 0, v24, s0
	v_sub_co_u32 v35, s0, v2, s66
	v_subrev_co_ci_u32_e64 v21, null, 0, v21, s0
	v_cmp_le_u32_e32 vcc_lo, s66, v35
	v_cndmask_b32_e64 v34, 0, -1, vcc_lo
	v_cmp_le_u32_e32 vcc_lo, s67, v21
	v_cndmask_b32_e64 v35, 0, -1, vcc_lo
	;; [unrolled: 2-line block ×4, first 2 shown]
	v_cmp_eq_u32_e32 vcc_lo, s67, v21
	v_cndmask_b32_e32 v21, v35, v34, vcc_lo
	v_add_co_u32 v34, vcc_lo, v23, 1
	v_add_co_ci_u32_e64 v35, null, 0, v24, vcc_lo
	v_cmp_eq_u32_e32 vcc_lo, s67, v22
	v_xor_b32_e32 v22, s64, v33
	v_cndmask_b32_e32 v2, v36, v2, vcc_lo
	v_cmp_ne_u32_e32 vcc_lo, 0, v21
	v_cmp_ne_u32_e64 s0, 0, v2
	v_cndmask_b32_e32 v2, v34, v31, vcc_lo
	v_cndmask_b32_e32 v21, v35, v32, vcc_lo
	v_cndmask_b32_e64 v2, v23, v2, s0
	v_cndmask_b32_e64 v21, v24, v21, s0
	v_xor_b32_e32 v2, v2, v22
	v_xor_b32_e32 v23, v21, v22
	v_sub_co_u32 v21, vcc_lo, v2, v22
	v_sub_co_ci_u32_e64 v22, null, v23, v22, vcc_lo
	s_andn2_saveexec_b32 s0, s83
	s_cbranch_execnz .LBB23_64
.LBB23_49:                              ;   in Loop: Header=BB23_3 Depth=1
	s_or_b32 exec_lo, exec_lo, s0
	s_andn2_b32 vcc_lo, exec_lo, s1
	s_cbranch_vccnz .LBB23_65
.LBB23_50:                              ;   in Loop: Header=BB23_3 Depth=1
	v_or_b32_e32 v2, s57, v4
                                        ; implicit-def: $vgpr23_vgpr24
	s_mov_b32 s0, exec_lo
	v_cmpx_ne_u64_e32 0, v[1:2]
	s_xor_b32 s83, exec_lo, s0
	s_cbranch_execz .LBB23_52
; %bb.51:                               ;   in Loop: Header=BB23_3 Depth=1
	s_ashr_i32 s64, s57, 31
	v_ashrrev_i32_e32 v35, 31, v4
	s_add_u32 s66, s56, s64
	s_mov_b32 s65, s64
	s_addc_u32 s67, s57, s64
	s_xor_b64 s[66:67], s[66:67], s[64:65]
	v_add_co_u32 v24, vcc_lo, v3, v35
	v_cvt_f32_u32_e32 v2, s66
	v_cvt_f32_u32_e32 v23, s67
	s_sub_u32 s84, 0, s66
	s_subb_u32 s85, 0, s67
	v_add_co_ci_u32_e64 v31, null, v4, v35, vcc_lo
	v_fmac_f32_e32 v2, 0x4f800000, v23
	v_xor_b32_e32 v36, v31, v35
	v_rcp_f32_e32 v2, v2
	v_mul_f32_e32 v2, 0x5f7ffffc, v2
	v_mul_f32_e32 v23, 0x2f800000, v2
	v_trunc_f32_e32 v23, v23
	v_fmac_f32_e32 v2, 0xcf800000, v23
	v_cvt_u32_f32_e32 v23, v23
	v_cvt_u32_f32_e32 v2, v2
	v_readfirstlane_b32 s0, v23
	v_readfirstlane_b32 s65, v2
	s_mul_i32 s86, s84, s0
	v_xor_b32_e32 v2, v24, v35
	s_mul_hi_u32 s88, s84, s65
	s_mul_i32 s87, s85, s65
	s_add_i32 s86, s88, s86
	s_mul_i32 s89, s84, s65
	s_add_i32 s86, s86, s87
	s_mul_hi_u32 s88, s65, s89
	s_mul_i32 s91, s65, s86
	s_mul_hi_u32 s90, s0, s89
	s_mul_i32 s87, s0, s89
	s_mul_hi_u32 s89, s65, s86
	s_add_u32 s88, s88, s91
	s_addc_u32 s89, 0, s89
	s_mul_hi_u32 s92, s0, s86
	s_add_u32 s87, s88, s87
	s_mul_i32 s86, s0, s86
	s_addc_u32 s87, s89, s90
	s_addc_u32 s88, s92, 0
	s_add_u32 s86, s87, s86
	s_addc_u32 s87, 0, s88
	s_add_u32 s65, s65, s86
	s_cselect_b32 s86, -1, 0
	s_mul_hi_u32 s88, s84, s65
	s_cmp_lg_u32 s86, 0
	s_mul_i32 s86, s84, s65
	s_addc_u32 s0, s0, s87
	s_mul_i32 s85, s85, s65
	s_mul_i32 s84, s84, s0
	s_mul_hi_u32 s87, s65, s86
	s_add_i32 s84, s88, s84
	s_mul_hi_u32 s88, s0, s86
	s_add_i32 s84, s84, s85
	s_mul_i32 s85, s0, s86
	s_mul_i32 s90, s65, s84
	s_mul_hi_u32 s89, s65, s84
	s_add_u32 s87, s87, s90
	s_addc_u32 s89, 0, s89
	s_mul_hi_u32 s86, s0, s84
	s_add_u32 s85, s87, s85
	s_mul_i32 s84, s0, s84
	s_addc_u32 s85, s89, s88
	s_addc_u32 s86, s86, 0
	s_add_u32 s84, s85, s84
	s_addc_u32 s85, 0, s86
	s_add_u32 s65, s65, s84
	s_cselect_b32 s84, -1, 0
	v_mul_hi_u32 v37, v2, s65
	s_cmp_lg_u32 s84, 0
	v_mad_u64_u32 v[31:32], null, v36, s65, 0
	s_addc_u32 s0, s0, s85
	v_mad_u64_u32 v[23:24], null, v2, s0, 0
	v_mad_u64_u32 v[33:34], null, v36, s0, 0
	v_add_co_u32 v23, vcc_lo, v37, v23
	v_add_co_ci_u32_e64 v24, null, 0, v24, vcc_lo
	v_add_co_u32 v23, vcc_lo, v23, v31
	v_add_co_ci_u32_e32 v23, vcc_lo, v24, v32, vcc_lo
	v_add_co_ci_u32_e32 v24, vcc_lo, 0, v34, vcc_lo
	v_add_co_u32 v31, vcc_lo, v23, v33
	v_add_co_ci_u32_e64 v32, null, 0, v24, vcc_lo
	v_mul_lo_u32 v33, s67, v31
	v_mad_u64_u32 v[23:24], null, s66, v31, 0
	v_mul_lo_u32 v34, s66, v32
	v_sub_co_u32 v2, vcc_lo, v2, v23
	v_add3_u32 v24, v24, v34, v33
	v_sub_nc_u32_e32 v33, v36, v24
	v_sub_co_ci_u32_e64 v24, null, v36, v24, vcc_lo
	v_subrev_co_ci_u32_e64 v23, null, s67, v33, vcc_lo
	v_add_co_u32 v33, s0, v31, 2
	v_add_co_ci_u32_e64 v34, null, 0, v32, s0
	v_sub_co_u32 v37, s0, v2, s66
	v_subrev_co_ci_u32_e64 v23, null, 0, v23, s0
	v_cmp_le_u32_e32 vcc_lo, s66, v37
	v_cndmask_b32_e64 v36, 0, -1, vcc_lo
	v_cmp_le_u32_e32 vcc_lo, s67, v23
	v_cndmask_b32_e64 v37, 0, -1, vcc_lo
	;; [unrolled: 2-line block ×4, first 2 shown]
	v_cmp_eq_u32_e32 vcc_lo, s67, v23
	v_cndmask_b32_e32 v23, v37, v36, vcc_lo
	v_add_co_u32 v36, vcc_lo, v31, 1
	v_add_co_ci_u32_e64 v37, null, 0, v32, vcc_lo
	v_cmp_eq_u32_e32 vcc_lo, s67, v24
	v_xor_b32_e32 v24, s64, v35
	v_cndmask_b32_e32 v2, v38, v2, vcc_lo
	v_cmp_ne_u32_e32 vcc_lo, 0, v23
	v_cmp_ne_u32_e64 s0, 0, v2
	v_cndmask_b32_e32 v2, v36, v33, vcc_lo
	v_cndmask_b32_e32 v23, v37, v34, vcc_lo
	v_cndmask_b32_e64 v2, v31, v2, s0
	v_cndmask_b32_e64 v23, v32, v23, s0
	v_xor_b32_e32 v2, v2, v24
	v_xor_b32_e32 v31, v23, v24
	v_sub_co_u32 v23, vcc_lo, v2, v24
	v_sub_co_ci_u32_e64 v24, null, v31, v24, vcc_lo
.LBB23_52:                              ;   in Loop: Header=BB23_3 Depth=1
	s_andn2_saveexec_b32 s0, s83
	s_cbranch_execz .LBB23_54
; %bb.53:                               ;   in Loop: Header=BB23_3 Depth=1
	v_cvt_f32_u32_e32 v2, s56
	s_sub_i32 s64, 0, s56
	v_rcp_iflag_f32_e32 v2, v2
	v_mul_f32_e32 v2, 0x4f7ffffe, v2
	v_cvt_u32_f32_e32 v2, v2
	v_mul_lo_u32 v23, s64, v2
	v_mul_hi_u32 v23, v2, v23
	v_add_nc_u32_e32 v2, v2, v23
	v_mul_hi_u32 v2, v3, v2
	v_mul_lo_u32 v23, v2, s56
	v_add_nc_u32_e32 v24, 1, v2
	v_sub_nc_u32_e32 v23, v3, v23
	v_subrev_nc_u32_e32 v31, s56, v23
	v_cmp_le_u32_e32 vcc_lo, s56, v23
	v_cndmask_b32_e32 v23, v23, v31, vcc_lo
	v_cndmask_b32_e32 v2, v2, v24, vcc_lo
	v_cmp_le_u32_e32 vcc_lo, s56, v23
	v_add_nc_u32_e32 v24, 1, v2
	v_cndmask_b32_e32 v23, v2, v24, vcc_lo
	v_mov_b32_e32 v24, v1
.LBB23_54:                              ;   in Loop: Header=BB23_3 Depth=1
	s_or_b32 exec_lo, exec_lo, s0
	v_mad_u64_u32 v[31:32], null, s78, v23, v[3:4]
	v_mul_lo_u32 v2, s78, v24
	v_mul_lo_u32 v33, s79, v23
	;; [unrolled: 1-line block ×4, first 2 shown]
	v_mad_u64_u32 v[23:24], null, v23, s12, 0
	v_add3_u32 v2, v33, v32, v2
	v_mul_lo_u32 v33, v31, s15
	v_mad_u64_u32 v[31:32], null, v31, s14, 0
	v_add3_u32 v24, v24, v35, v34
	v_mul_lo_u32 v2, v2, s14
	v_lshlrev_b64 v[23:24], 2, v[23:24]
	v_add3_u32 v32, v32, v33, v2
	v_add_co_u32 v2, vcc_lo, s2, v23
	v_add_co_ci_u32_e64 v24, null, s3, v24, vcc_lo
	v_lshlrev_b64 v[31:32], 2, v[31:32]
	v_add_co_u32 v23, vcc_lo, v2, v31
	v_add_co_ci_u32_e64 v24, null, v24, v32, vcc_lo
	global_load_dword v31, v[23:24], off
	s_andn2_b32 vcc_lo, exec_lo, s33
	s_cbranch_vccnz .LBB23_66
.LBB23_55:                              ;   in Loop: Header=BB23_3 Depth=1
	v_or_b32_e32 v2, s63, v4
                                        ; implicit-def: $vgpr23_vgpr24
	s_mov_b32 s0, exec_lo
	v_cmpx_ne_u64_e32 0, v[1:2]
	s_xor_b32 s83, exec_lo, s0
	s_cbranch_execz .LBB23_57
; %bb.56:                               ;   in Loop: Header=BB23_3 Depth=1
	s_ashr_i32 s64, s63, 31
	v_ashrrev_i32_e32 v36, 31, v4
	s_add_u32 s66, s62, s64
	s_mov_b32 s65, s64
	s_addc_u32 s67, s63, s64
	s_xor_b64 s[66:67], s[66:67], s[64:65]
	v_add_co_u32 v24, vcc_lo, v3, v36
	v_cvt_f32_u32_e32 v2, s66
	v_cvt_f32_u32_e32 v23, s67
	s_sub_u32 s84, 0, s66
	s_subb_u32 s85, 0, s67
	v_add_co_ci_u32_e64 v32, null, v4, v36, vcc_lo
	v_fmac_f32_e32 v2, 0x4f800000, v23
	v_xor_b32_e32 v37, v32, v36
	v_rcp_f32_e32 v2, v2
	v_mul_f32_e32 v2, 0x5f7ffffc, v2
	v_mul_f32_e32 v23, 0x2f800000, v2
	v_trunc_f32_e32 v23, v23
	v_fmac_f32_e32 v2, 0xcf800000, v23
	v_cvt_u32_f32_e32 v23, v23
	v_cvt_u32_f32_e32 v2, v2
	v_readfirstlane_b32 s0, v23
	v_readfirstlane_b32 s65, v2
	s_mul_i32 s86, s84, s0
	v_xor_b32_e32 v2, v24, v36
	s_mul_hi_u32 s88, s84, s65
	s_mul_i32 s87, s85, s65
	s_add_i32 s86, s88, s86
	s_mul_i32 s89, s84, s65
	s_add_i32 s86, s86, s87
	s_mul_hi_u32 s88, s65, s89
	s_mul_i32 s91, s65, s86
	s_mul_hi_u32 s90, s0, s89
	s_mul_i32 s87, s0, s89
	s_mul_hi_u32 s89, s65, s86
	s_add_u32 s88, s88, s91
	s_addc_u32 s89, 0, s89
	s_mul_hi_u32 s92, s0, s86
	s_add_u32 s87, s88, s87
	s_mul_i32 s86, s0, s86
	s_addc_u32 s87, s89, s90
	s_addc_u32 s88, s92, 0
	s_add_u32 s86, s87, s86
	s_addc_u32 s87, 0, s88
	s_add_u32 s65, s65, s86
	s_cselect_b32 s86, -1, 0
	s_mul_hi_u32 s88, s84, s65
	s_cmp_lg_u32 s86, 0
	s_mul_i32 s86, s84, s65
	s_addc_u32 s0, s0, s87
	s_mul_i32 s85, s85, s65
	s_mul_i32 s84, s84, s0
	s_mul_hi_u32 s87, s65, s86
	s_add_i32 s84, s88, s84
	s_mul_hi_u32 s88, s0, s86
	s_add_i32 s84, s84, s85
	s_mul_i32 s85, s0, s86
	s_mul_i32 s90, s65, s84
	s_mul_hi_u32 s89, s65, s84
	s_add_u32 s87, s87, s90
	s_addc_u32 s89, 0, s89
	s_mul_hi_u32 s86, s0, s84
	s_add_u32 s85, s87, s85
	s_mul_i32 s84, s0, s84
	s_addc_u32 s85, s89, s88
	s_addc_u32 s86, s86, 0
	s_add_u32 s84, s85, s84
	s_addc_u32 s85, 0, s86
	s_add_u32 s65, s65, s84
	s_cselect_b32 s84, -1, 0
	v_mul_hi_u32 v38, v2, s65
	s_cmp_lg_u32 s84, 0
	v_mad_u64_u32 v[32:33], null, v37, s65, 0
	s_addc_u32 s0, s0, s85
	v_mad_u64_u32 v[23:24], null, v2, s0, 0
	v_mad_u64_u32 v[34:35], null, v37, s0, 0
	v_add_co_u32 v23, vcc_lo, v38, v23
	v_add_co_ci_u32_e64 v24, null, 0, v24, vcc_lo
	v_add_co_u32 v23, vcc_lo, v23, v32
	v_add_co_ci_u32_e32 v23, vcc_lo, v24, v33, vcc_lo
	v_add_co_ci_u32_e32 v24, vcc_lo, 0, v35, vcc_lo
	v_add_co_u32 v32, vcc_lo, v23, v34
	v_add_co_ci_u32_e64 v33, null, 0, v24, vcc_lo
	v_mul_lo_u32 v34, s67, v32
	v_mad_u64_u32 v[23:24], null, s66, v32, 0
	v_mul_lo_u32 v35, s66, v33
	v_sub_co_u32 v2, vcc_lo, v2, v23
	v_add3_u32 v24, v24, v35, v34
	v_sub_nc_u32_e32 v34, v37, v24
	v_sub_co_ci_u32_e64 v24, null, v37, v24, vcc_lo
	v_subrev_co_ci_u32_e64 v23, null, s67, v34, vcc_lo
	v_add_co_u32 v34, s0, v32, 2
	v_add_co_ci_u32_e64 v35, null, 0, v33, s0
	v_sub_co_u32 v38, s0, v2, s66
	v_subrev_co_ci_u32_e64 v23, null, 0, v23, s0
	v_cmp_le_u32_e32 vcc_lo, s66, v38
	v_cndmask_b32_e64 v37, 0, -1, vcc_lo
	v_cmp_le_u32_e32 vcc_lo, s67, v23
	v_cndmask_b32_e64 v38, 0, -1, vcc_lo
	v_cmp_le_u32_e32 vcc_lo, s66, v2
	v_cndmask_b32_e64 v2, 0, -1, vcc_lo
	v_cmp_le_u32_e32 vcc_lo, s67, v24
	v_cndmask_b32_e64 v39, 0, -1, vcc_lo
	v_cmp_eq_u32_e32 vcc_lo, s67, v23
	v_cndmask_b32_e32 v23, v38, v37, vcc_lo
	v_add_co_u32 v37, vcc_lo, v32, 1
	v_add_co_ci_u32_e64 v38, null, 0, v33, vcc_lo
	v_cmp_eq_u32_e32 vcc_lo, s67, v24
	v_xor_b32_e32 v24, s64, v36
	v_cndmask_b32_e32 v2, v39, v2, vcc_lo
	v_cmp_ne_u32_e32 vcc_lo, 0, v23
	v_cmp_ne_u32_e64 s0, 0, v2
	v_cndmask_b32_e32 v2, v37, v34, vcc_lo
	v_cndmask_b32_e32 v23, v38, v35, vcc_lo
	v_cndmask_b32_e64 v2, v32, v2, s0
	v_cndmask_b32_e64 v23, v33, v23, s0
	v_xor_b32_e32 v2, v2, v24
	v_xor_b32_e32 v32, v23, v24
	v_sub_co_u32 v23, vcc_lo, v2, v24
	v_sub_co_ci_u32_e64 v24, null, v32, v24, vcc_lo
.LBB23_57:                              ;   in Loop: Header=BB23_3 Depth=1
	s_andn2_saveexec_b32 s0, s83
	s_cbranch_execz .LBB23_59
; %bb.58:                               ;   in Loop: Header=BB23_3 Depth=1
	v_cvt_f32_u32_e32 v2, s62
	s_sub_i32 s64, 0, s62
	v_rcp_iflag_f32_e32 v2, v2
	v_mul_f32_e32 v2, 0x4f7ffffe, v2
	v_cvt_u32_f32_e32 v2, v2
	v_mul_lo_u32 v23, s64, v2
	v_mul_hi_u32 v23, v2, v23
	v_add_nc_u32_e32 v2, v2, v23
	v_mul_hi_u32 v2, v3, v2
	v_mul_lo_u32 v23, v2, s62
	v_add_nc_u32_e32 v24, 1, v2
	v_sub_nc_u32_e32 v23, v3, v23
	v_subrev_nc_u32_e32 v32, s62, v23
	v_cmp_le_u32_e32 vcc_lo, s62, v23
	v_cndmask_b32_e32 v23, v23, v32, vcc_lo
	v_cndmask_b32_e32 v2, v2, v24, vcc_lo
	v_cmp_le_u32_e32 vcc_lo, s62, v23
	v_add_nc_u32_e32 v24, 1, v2
	v_cndmask_b32_e32 v23, v2, v24, vcc_lo
	v_mov_b32_e32 v24, v1
.LBB23_59:                              ;   in Loop: Header=BB23_3 Depth=1
	s_or_b32 exec_lo, exec_lo, s0
	v_mad_u64_u32 v[32:33], null, s80, v23, v[3:4]
	v_mul_lo_u32 v2, s80, v24
	v_mul_lo_u32 v34, s81, v23
	;; [unrolled: 1-line block ×4, first 2 shown]
	v_mad_u64_u32 v[23:24], null, v23, s36, 0
	v_add3_u32 v2, v34, v33, v2
	v_mul_lo_u32 v34, v32, s39
	v_mad_u64_u32 v[32:33], null, v32, s38, 0
	v_add3_u32 v24, v24, v36, v35
	v_mul_lo_u32 v2, v2, s38
	v_lshlrev_b64 v[23:24], 2, v[23:24]
	v_add3_u32 v33, v33, v34, v2
	v_add_co_u32 v2, vcc_lo, s42, v23
	v_add_co_ci_u32_e64 v24, null, s43, v24, vcc_lo
	v_lshlrev_b64 v[32:33], 2, v[32:33]
	v_add_co_u32 v23, vcc_lo, v2, v32
	v_add_co_ci_u32_e64 v24, null, v24, v33, vcc_lo
	global_load_dword v2, v[23:24], off
	s_waitcnt vmcnt(1)
	v_cmp_ngt_f32_e64 s0, 0x3f200000, |v30|
                                        ; implicit-def: $vgpr23
	s_and_saveexec_b32 s64, s0
	s_xor_b32 s0, exec_lo, s64
	s_cbranch_execz .LBB23_61
.LBB23_60:                              ;   in Loop: Header=BB23_3 Depth=1
	v_add_f32_e64 v23, |v30|, |v30|
	v_mul_f32_e32 v24, 0x3fb8aa3b, v23
	v_cmp_ngt_f32_e32 vcc_lo, 0xc2ce8ed0, v23
	v_rndne_f32_e32 v32, v24
	v_fma_f32 v33, 0x3fb8aa3b, v23, -v24
	v_sub_f32_e32 v24, v24, v32
	v_fmac_f32_e32 v33, 0x32a5705f, v23
	v_cvt_i32_f32_e32 v32, v32
	v_add_f32_e32 v24, v24, v33
	v_exp_f32_e32 v24, v24
	v_ldexp_f32 v24, v24, v32
	v_cndmask_b32_e32 v24, 0, v24, vcc_lo
	v_cmp_nlt_f32_e32 vcc_lo, 0x42b17218, v23
	v_cndmask_b32_e32 v23, 0x7f800000, v24, vcc_lo
	v_add_f32_e32 v23, 1.0, v23
	v_rcp_f32_e32 v23, v23
	v_fma_f32 v23, v23, -2.0, 1.0
.LBB23_61:                              ;   in Loop: Header=BB23_3 Depth=1
	s_andn2_saveexec_b32 s0, s0
	s_cbranch_execz .LBB23_2
; %bb.62:                               ;   in Loop: Header=BB23_3 Depth=1
	v_mul_f32_e32 v23, v30, v30
	v_fmaak_f32 v24, s82, v23, 0x3ca908c9
	v_fmaak_f32 v24, v23, v24, 0xbd5c1c4e
	;; [unrolled: 1-line block ×4, first 2 shown]
	v_mul_f32_e64 v24, |v30|, v24
	v_fma_f32 v23, v23, v24, |v30|
	s_branch .LBB23_2
.LBB23_63:                              ;   in Loop: Header=BB23_3 Depth=1
	s_andn2_saveexec_b32 s0, s83
	s_cbranch_execz .LBB23_49
.LBB23_64:                              ;   in Loop: Header=BB23_3 Depth=1
	v_cvt_f32_u32_e32 v2, s60
	s_sub_i32 s64, 0, s60
	v_rcp_iflag_f32_e32 v2, v2
	v_mul_f32_e32 v2, 0x4f7ffffe, v2
	v_cvt_u32_f32_e32 v2, v2
	v_mul_lo_u32 v21, s64, v2
	v_mul_hi_u32 v21, v2, v21
	v_add_nc_u32_e32 v2, v2, v21
	v_mul_hi_u32 v2, v3, v2
	v_mul_lo_u32 v21, v2, s60
	v_add_nc_u32_e32 v22, 1, v2
	v_sub_nc_u32_e32 v21, v3, v21
	v_subrev_nc_u32_e32 v23, s60, v21
	v_cmp_le_u32_e32 vcc_lo, s60, v21
	v_cndmask_b32_e32 v21, v21, v23, vcc_lo
	v_cndmask_b32_e32 v2, v2, v22, vcc_lo
	v_cmp_le_u32_e32 vcc_lo, s60, v21
	v_add_nc_u32_e32 v22, 1, v2
	v_cndmask_b32_e32 v21, v2, v22, vcc_lo
	v_mov_b32_e32 v22, v1
	s_or_b32 exec_lo, exec_lo, s0
	s_andn2_b32 vcc_lo, exec_lo, s1
	s_cbranch_vccz .LBB23_50
.LBB23_65:                              ;   in Loop: Header=BB23_3 Depth=1
	v_mov_b32_e32 v31, 0
	s_andn2_b32 vcc_lo, exec_lo, s33
	s_cbranch_vccz .LBB23_55
.LBB23_66:                              ;   in Loop: Header=BB23_3 Depth=1
	v_mov_b32_e32 v2, 0
	s_waitcnt vmcnt(0)
	v_cmp_ngt_f32_e64 s0, 0x3f200000, |v30|
                                        ; implicit-def: $vgpr23
	s_and_saveexec_b32 s64, s0
	s_xor_b32 s0, exec_lo, s64
	s_cbranch_execz .LBB23_61
	s_branch .LBB23_60
.LBB23_67:
	s_endpgm
	.section	.rodata,"a",@progbits
	.p2align	6, 0x0
	.amdhsa_kernel _ZN2at6native12_GLOBAL__N_16kernel18lstm_cell_backwardIfflLi2EEEvNS_4cuda6detail10TensorInfoIT_T1_EES9_S9_S9_S9_S9_S9_S8_S8_
		.amdhsa_group_segment_fixed_size 0
		.amdhsa_private_segment_fixed_size 0
		.amdhsa_kernarg_size 3184
		.amdhsa_user_sgpr_count 6
		.amdhsa_user_sgpr_private_segment_buffer 1
		.amdhsa_user_sgpr_dispatch_ptr 0
		.amdhsa_user_sgpr_queue_ptr 0
		.amdhsa_user_sgpr_kernarg_segment_ptr 1
		.amdhsa_user_sgpr_dispatch_id 0
		.amdhsa_user_sgpr_flat_scratch_init 0
		.amdhsa_user_sgpr_private_segment_size 0
		.amdhsa_wavefront_size32 1
		.amdhsa_uses_dynamic_stack 0
		.amdhsa_system_sgpr_private_segment_wavefront_offset 0
		.amdhsa_system_sgpr_workgroup_id_x 1
		.amdhsa_system_sgpr_workgroup_id_y 0
		.amdhsa_system_sgpr_workgroup_id_z 0
		.amdhsa_system_sgpr_workgroup_info 0
		.amdhsa_system_vgpr_workitem_id 0
		.amdhsa_next_free_vgpr 42
		.amdhsa_next_free_sgpr 93
		.amdhsa_reserve_vcc 1
		.amdhsa_reserve_flat_scratch 0
		.amdhsa_float_round_mode_32 0
		.amdhsa_float_round_mode_16_64 0
		.amdhsa_float_denorm_mode_32 3
		.amdhsa_float_denorm_mode_16_64 3
		.amdhsa_dx10_clamp 1
		.amdhsa_ieee_mode 1
		.amdhsa_fp16_overflow 0
		.amdhsa_workgroup_processor_mode 1
		.amdhsa_memory_ordered 1
		.amdhsa_forward_progress 1
		.amdhsa_shared_vgpr_count 0
		.amdhsa_exception_fp_ieee_invalid_op 0
		.amdhsa_exception_fp_denorm_src 0
		.amdhsa_exception_fp_ieee_div_zero 0
		.amdhsa_exception_fp_ieee_overflow 0
		.amdhsa_exception_fp_ieee_underflow 0
		.amdhsa_exception_fp_ieee_inexact 0
		.amdhsa_exception_int_div_zero 0
	.end_amdhsa_kernel
	.section	.text._ZN2at6native12_GLOBAL__N_16kernel18lstm_cell_backwardIfflLi2EEEvNS_4cuda6detail10TensorInfoIT_T1_EES9_S9_S9_S9_S9_S9_S8_S8_,"axG",@progbits,_ZN2at6native12_GLOBAL__N_16kernel18lstm_cell_backwardIfflLi2EEEvNS_4cuda6detail10TensorInfoIT_T1_EES9_S9_S9_S9_S9_S9_S8_S8_,comdat
.Lfunc_end23:
	.size	_ZN2at6native12_GLOBAL__N_16kernel18lstm_cell_backwardIfflLi2EEEvNS_4cuda6detail10TensorInfoIT_T1_EES9_S9_S9_S9_S9_S9_S8_S8_, .Lfunc_end23-_ZN2at6native12_GLOBAL__N_16kernel18lstm_cell_backwardIfflLi2EEEvNS_4cuda6detail10TensorInfoIT_T1_EES9_S9_S9_S9_S9_S9_S8_S8_
                                        ; -- End function
	.set _ZN2at6native12_GLOBAL__N_16kernel18lstm_cell_backwardIfflLi2EEEvNS_4cuda6detail10TensorInfoIT_T1_EES9_S9_S9_S9_S9_S9_S8_S8_.num_vgpr, 42
	.set _ZN2at6native12_GLOBAL__N_16kernel18lstm_cell_backwardIfflLi2EEEvNS_4cuda6detail10TensorInfoIT_T1_EES9_S9_S9_S9_S9_S9_S8_S8_.num_agpr, 0
	.set _ZN2at6native12_GLOBAL__N_16kernel18lstm_cell_backwardIfflLi2EEEvNS_4cuda6detail10TensorInfoIT_T1_EES9_S9_S9_S9_S9_S9_S8_S8_.numbered_sgpr, 93
	.set _ZN2at6native12_GLOBAL__N_16kernel18lstm_cell_backwardIfflLi2EEEvNS_4cuda6detail10TensorInfoIT_T1_EES9_S9_S9_S9_S9_S9_S8_S8_.num_named_barrier, 0
	.set _ZN2at6native12_GLOBAL__N_16kernel18lstm_cell_backwardIfflLi2EEEvNS_4cuda6detail10TensorInfoIT_T1_EES9_S9_S9_S9_S9_S9_S8_S8_.private_seg_size, 0
	.set _ZN2at6native12_GLOBAL__N_16kernel18lstm_cell_backwardIfflLi2EEEvNS_4cuda6detail10TensorInfoIT_T1_EES9_S9_S9_S9_S9_S9_S8_S8_.uses_vcc, 1
	.set _ZN2at6native12_GLOBAL__N_16kernel18lstm_cell_backwardIfflLi2EEEvNS_4cuda6detail10TensorInfoIT_T1_EES9_S9_S9_S9_S9_S9_S8_S8_.uses_flat_scratch, 0
	.set _ZN2at6native12_GLOBAL__N_16kernel18lstm_cell_backwardIfflLi2EEEvNS_4cuda6detail10TensorInfoIT_T1_EES9_S9_S9_S9_S9_S9_S8_S8_.has_dyn_sized_stack, 0
	.set _ZN2at6native12_GLOBAL__N_16kernel18lstm_cell_backwardIfflLi2EEEvNS_4cuda6detail10TensorInfoIT_T1_EES9_S9_S9_S9_S9_S9_S8_S8_.has_recursion, 0
	.set _ZN2at6native12_GLOBAL__N_16kernel18lstm_cell_backwardIfflLi2EEEvNS_4cuda6detail10TensorInfoIT_T1_EES9_S9_S9_S9_S9_S9_S8_S8_.has_indirect_call, 0
	.section	.AMDGPU.csdata,"",@progbits
; Kernel info:
; codeLenInByte = 13868
; TotalNumSgprs: 95
; NumVgprs: 42
; ScratchSize: 0
; MemoryBound: 0
; FloatMode: 240
; IeeeMode: 1
; LDSByteSize: 0 bytes/workgroup (compile time only)
; SGPRBlocks: 0
; VGPRBlocks: 5
; NumSGPRsForWavesPerEU: 95
; NumVGPRsForWavesPerEU: 42
; Occupancy: 16
; WaveLimiterHint : 1
; COMPUTE_PGM_RSRC2:SCRATCH_EN: 0
; COMPUTE_PGM_RSRC2:USER_SGPR: 6
; COMPUTE_PGM_RSRC2:TRAP_HANDLER: 0
; COMPUTE_PGM_RSRC2:TGID_X_EN: 1
; COMPUTE_PGM_RSRC2:TGID_Y_EN: 0
; COMPUTE_PGM_RSRC2:TGID_Z_EN: 0
; COMPUTE_PGM_RSRC2:TIDIG_COMP_CNT: 0
	.section	.text._ZN2at6native12_GLOBAL__N_16kernel18lstm_cell_backwardIN3c104HalfEfiLi1EEEvNS_4cuda6detail10TensorInfoIT_T1_EESB_SB_SB_SB_SB_SB_SA_SA_,"axG",@progbits,_ZN2at6native12_GLOBAL__N_16kernel18lstm_cell_backwardIN3c104HalfEfiLi1EEEvNS_4cuda6detail10TensorInfoIT_T1_EESB_SB_SB_SB_SB_SB_SA_SA_,comdat
	.globl	_ZN2at6native12_GLOBAL__N_16kernel18lstm_cell_backwardIN3c104HalfEfiLi1EEEvNS_4cuda6detail10TensorInfoIT_T1_EESB_SB_SB_SB_SB_SB_SA_SA_ ; -- Begin function _ZN2at6native12_GLOBAL__N_16kernel18lstm_cell_backwardIN3c104HalfEfiLi1EEEvNS_4cuda6detail10TensorInfoIT_T1_EESB_SB_SB_SB_SB_SB_SA_SA_
	.p2align	8
	.type	_ZN2at6native12_GLOBAL__N_16kernel18lstm_cell_backwardIN3c104HalfEfiLi1EEEvNS_4cuda6detail10TensorInfoIT_T1_EESB_SB_SB_SB_SB_SB_SA_SA_,@function
_ZN2at6native12_GLOBAL__N_16kernel18lstm_cell_backwardIN3c104HalfEfiLi1EEEvNS_4cuda6detail10TensorInfoIT_T1_EESB_SB_SB_SB_SB_SB_SA_SA_: ; @_ZN2at6native12_GLOBAL__N_16kernel18lstm_cell_backwardIN3c104HalfEfiLi1EEEvNS_4cuda6detail10TensorInfoIT_T1_EESB_SB_SB_SB_SB_SB_SA_SA_
; %bb.0:
	s_clause 0x1
	s_load_dword s2, s[4:5], 0x5fc
	s_load_dwordx2 s[0:1], s[4:5], 0x5e8
	s_add_u32 s8, s4, 0x5f0
	s_addc_u32 s9, s5, 0
	s_waitcnt lgkmcnt(0)
	s_and_b32 s23, s2, 0xffff
	s_mov_b32 s2, exec_lo
	v_mad_u64_u32 v[0:1], null, s6, s23, v[0:1]
	v_cmpx_gt_i32_e64 s1, v0
	s_cbranch_execz .LBB24_12
; %bb.1:
	s_clause 0x3
	s_load_dwordx2 s[2:3], s[4:5], 0x360
	s_load_dwordx2 s[6:7], s[4:5], 0x438
	s_load_dword s27, s[4:5], 0x3cc
	s_load_dword s29, s[4:5], 0x4a4
	;; [unrolled: 1-line block ×3, first 2 shown]
	s_clause 0x5
	s_load_dword s25, s[4:5], 0x21c
	s_load_dword s26, s[4:5], 0x2f4
	;; [unrolled: 1-line block ×3, first 2 shown]
	s_load_dwordx2 s[8:9], s[4:5], 0x1b0
	s_load_dwordx2 s[10:11], s[4:5], 0x288
	;; [unrolled: 1-line block ×3, first 2 shown]
	s_mul_i32 s22, s0, 3
	s_mov_b32 s30, 0xbbbac73d
	s_mov_b32 s31, 1.0
	s_waitcnt lgkmcnt(0)
	s_cmp_lg_u64 s[2:3], 0
	s_mul_i32 s23, s24, s23
	s_cselect_b32 s18, -1, 0
	s_cmp_lg_u64 s[6:7], 0
	v_mul_lo_u32 v3, v0, s26
	s_cselect_b32 s19, -1, 0
	s_abs_i32 s20, s0
	v_mul_lo_u32 v5, v0, s28
	v_cvt_f32_u32_e32 v1, s20
	s_sub_i32 s14, 0, s20
	v_mul_lo_u32 v7, v0, s27
	v_mul_lo_u32 v9, v0, s29
	s_mul_i32 s24, s23, s25
	v_rcp_iflag_f32_e32 v1, v1
	s_mul_i32 s27, s23, s27
	s_mul_i32 s29, s23, s29
	v_mul_f32_e32 v1, 0x4f7ffffe, v1
	v_cvt_u32_f32_e32 v2, v1
	v_mul_lo_u32 v1, v0, s25
	s_mul_i32 s25, s23, s26
	s_mul_i32 s26, s23, s28
	s_ashr_i32 s28, s0, 31
	v_mul_lo_u32 v4, s14, v2
	s_clause 0x3
	s_load_dwordx2 s[14:15], s[4:5], 0x0
	s_load_dword s21, s[4:5], 0x6c
	s_load_dwordx2 s[16:17], s[4:5], 0xd8
	s_load_dword s4, s[4:5], 0x144
	s_mov_b32 s5, 0
	v_mul_hi_u32 v4, v2, v4
	v_add_nc_u32_e32 v16, v2, v4
	s_branch .LBB24_3
.LBB24_2:                               ;   in Loop: Header=BB24_3 Depth=1
	s_or_b32 exec_lo, exec_lo, s33
	v_mul_lo_u32 v20, v11, s4
	v_mul_lo_u32 v11, v17, s4
	v_mul_lo_u32 v22, v14, s4
	v_mul_lo_u32 v17, v12, s4
	v_bfi_b32 v14, 0x7fffffff, v19, v18
	v_cvt_f32_f16_e32 v25, v4
	v_cvt_f32_f16_e32 v27, v2
	v_add_nc_u32_e32 v0, s23, v0
	v_ashrrev_i32_e32 v21, 31, v20
	v_ashrrev_i32_e32 v12, 31, v11
	;; [unrolled: 1-line block ×3, first 2 shown]
	v_mul_f32_e32 v24, v8, v25
	v_fma_f32 v26, -v14, v14, 1.0
	v_lshlrev_b64 v[20:21], 1, v[20:21]
	v_lshlrev_b64 v[11:12], 1, v[11:12]
	;; [unrolled: 1-line block ×3, first 2 shown]
	v_ashrrev_i32_e32 v18, 31, v17
	v_fmac_f32_e32 v10, v24, v26
	v_cvt_f32_f16_e32 v26, v13
	v_add_co_u32 v19, vcc_lo, s16, v20
	v_add_co_ci_u32_e64 v20, null, s17, v21, vcc_lo
	v_add_co_u32 v11, vcc_lo, s16, v11
	v_add_co_ci_u32_e64 v12, null, s17, v12, vcc_lo
	;; [unrolled: 2-line block ×3, first 2 shown]
	v_cvt_f32_f16_e32 v23, v15
	v_cvt_f32_f16_e32 v24, v6
	v_ashrrev_i32_e32 v6, 31, v5
	v_sub_f32_e32 v30, 1.0, v26
	v_sub_f32_e32 v27, 1.0, v27
	v_mul_f32_e32 v28, v10, v23
	v_mul_f32_e32 v29, v10, v24
	v_lshlrev_b64 v[17:18], 1, v[17:18]
	v_lshlrev_b64 v[23:24], 1, v[5:6]
	v_mul_f32_e32 v6, v8, v14
	v_mul_f32_e32 v8, v30, v28
	v_sub_f32_e32 v25, 1.0, v25
	v_mul_f32_e32 v14, v27, v29
	v_add_co_u32 v17, vcc_lo, s16, v17
	v_mul_f32_e32 v26, v10, v26
	v_fma_mix_f32 v15, -v15, v15, s31 op_sel_hi:[1,1,0]
	v_fma_mixlo_f16 v8, v8, v13, 0 op_sel_hi:[0,1,0]
	v_mul_f32_e32 v6, v25, v6
	v_add_co_ci_u32_e64 v18, null, s17, v18, vcc_lo
	v_fma_mixlo_f16 v27, v14, v2, 0 op_sel_hi:[0,1,0]
	v_add_co_u32 v13, vcc_lo, s12, v23
	v_add_co_ci_u32_e64 v14, null, s13, v24, vcc_lo
	v_cmp_le_i32_e32 vcc_lo, s1, v0
	global_store_short v[19:20], v8, off
	global_store_short v[11:12], v27, off
	v_fma_mixlo_f16 v8, v15, v26, 0
	v_fma_mixlo_f16 v4, v6, v4, 0 op_sel_hi:[0,1,0]
	v_add_nc_u32_e32 v1, s24, v1
	v_add_nc_u32_e32 v3, s25, v3
	;; [unrolled: 1-line block ×5, first 2 shown]
	v_fma_mixlo_f16 v2, v10, v2, 0 op_sel_hi:[0,1,0]
	s_or_b32 s5, vcc_lo, s5
	global_store_short v[21:22], v8, off
	global_store_short v[17:18], v4, off
	;; [unrolled: 1-line block ×3, first 2 shown]
	s_andn2_b32 exec_lo, exec_lo, s5
	s_cbranch_execz .LBB24_12
.LBB24_3:                               ; =>This Inner Loop Header: Depth=1
	v_sub_nc_u32_e32 v2, 0, v0
	v_max_i32_e32 v2, v0, v2
	v_mul_hi_u32 v4, v2, v16
	v_mul_lo_u32 v6, v4, s20
	v_sub_nc_u32_e32 v2, v2, v6
	v_add_nc_u32_e32 v6, 1, v4
	v_subrev_nc_u32_e32 v8, s20, v2
	v_cmp_le_u32_e32 vcc_lo, s20, v2
	v_cndmask_b32_e32 v4, v4, v6, vcc_lo
	v_cndmask_b32_e32 v2, v2, v8, vcc_lo
	v_ashrrev_i32_e32 v6, 31, v0
	v_add_nc_u32_e32 v8, 1, v4
	v_cmp_le_u32_e32 vcc_lo, s20, v2
	v_xor_b32_e32 v6, s28, v6
	v_cndmask_b32_e32 v2, v4, v8, vcc_lo
	v_mul_i32_i24_e32 v4, 3, v6
	v_xor_b32_e32 v2, v2, v6
	v_lshl_add_u32 v8, v2, 1, v2
	v_sub_nc_u32_e32 v2, v2, v6
	v_sub_nc_u32_e32 v6, v8, v4
	v_mad_u64_u32 v[11:12], null, s22, v2, v[0:1]
	v_ashrrev_i32_e32 v2, 31, v1
	v_ashrrev_i32_e32 v4, 31, v3
	v_mul_lo_u32 v8, s0, v6
	v_lshlrev_b64 v[18:19], 1, v[1:2]
	v_add_nc_u32_e32 v2, 2, v6
	v_lshlrev_b64 v[22:23], 1, v[3:4]
	v_add_nc_u32_e32 v4, 3, v6
	s_waitcnt lgkmcnt(0)
	v_mul_lo_u32 v20, v11, s21
	v_add3_u32 v17, v8, s0, v0
	v_mad_u64_u32 v[14:15], null, s0, v2, v[0:1]
	v_mad_u64_u32 v[12:13], null, s0, v4, v[0:1]
	v_mul_lo_u32 v24, v17, s21
	v_add_co_u32 v18, vcc_lo, s8, v18
	v_ashrrev_i32_e32 v21, 31, v20
	v_mul_lo_u32 v26, v14, s21
	v_add_co_ci_u32_e64 v19, null, s9, v19, vcc_lo
	v_mul_lo_u32 v28, v12, s21
	v_ashrrev_i32_e32 v25, 31, v24
	v_lshlrev_b64 v[20:21], 1, v[20:21]
	v_add_co_u32 v22, vcc_lo, s10, v22
	v_ashrrev_i32_e32 v27, 31, v26
	v_lshlrev_b64 v[24:25], 1, v[24:25]
	v_add_co_ci_u32_e64 v23, null, s11, v23, vcc_lo
	v_ashrrev_i32_e32 v29, 31, v28
	v_lshlrev_b64 v[26:27], 1, v[26:27]
	v_add_co_u32 v20, vcc_lo, s14, v20
	v_add_co_ci_u32_e64 v21, null, s15, v21, vcc_lo
	v_lshlrev_b64 v[28:29], 1, v[28:29]
	v_add_co_u32 v24, vcc_lo, s14, v24
	v_add_co_ci_u32_e64 v25, null, s15, v25, vcc_lo
	v_add_co_u32 v26, vcc_lo, s14, v26
	v_add_co_ci_u32_e64 v27, null, s15, v27, vcc_lo
	;; [unrolled: 2-line block ×3, first 2 shown]
	global_load_ushort v6, v[18:19], off
	s_clause 0x3
	global_load_ushort v13, v[20:21], off
	global_load_ushort v2, v[24:25], off
	;; [unrolled: 1-line block ×5, first 2 shown]
	v_mov_b32_e32 v8, 0
	s_andn2_b32 vcc_lo, exec_lo, s18
	s_cbranch_vccnz .LBB24_5
; %bb.4:                                ;   in Loop: Header=BB24_3 Depth=1
	v_ashrrev_i32_e32 v8, 31, v7
	v_lshlrev_b64 v[19:20], 1, v[7:8]
	v_add_co_u32 v19, vcc_lo, s2, v19
	v_add_co_ci_u32_e64 v20, null, s3, v20, vcc_lo
	global_load_ushort v8, v[19:20], off
	s_waitcnt vmcnt(0)
	v_cvt_f32_f16_e32 v8, v8
.LBB24_5:                               ;   in Loop: Header=BB24_3 Depth=1
	s_andn2_b32 vcc_lo, exec_lo, s19
	s_cbranch_vccnz .LBB24_7
; %bb.6:                                ;   in Loop: Header=BB24_3 Depth=1
	v_ashrrev_i32_e32 v10, 31, v9
	v_lshlrev_b64 v[19:20], 1, v[9:10]
	v_add_co_u32 v19, vcc_lo, s6, v19
	v_add_co_ci_u32_e64 v20, null, s7, v20, vcc_lo
	global_load_ushort v10, v[19:20], off
	s_waitcnt vmcnt(0)
	v_cvt_f32_f16_e32 v10, v10
	s_branch .LBB24_8
.LBB24_7:                               ;   in Loop: Header=BB24_3 Depth=1
	v_mov_b32_e32 v10, 0
.LBB24_8:                               ;   in Loop: Header=BB24_3 Depth=1
	s_waitcnt vmcnt(0)
	v_cvt_f32_f16_e32 v18, v18
                                        ; implicit-def: $vgpr19
	v_cmp_ngt_f32_e64 s33, 0x3f200000, |v18|
	s_and_saveexec_b32 s34, s33
	s_xor_b32 s33, exec_lo, s34
	s_cbranch_execz .LBB24_10
; %bb.9:                                ;   in Loop: Header=BB24_3 Depth=1
	v_add_f32_e64 v19, |v18|, |v18|
	v_mul_f32_e32 v20, 0x3fb8aa3b, v19
	v_cmp_ngt_f32_e32 vcc_lo, 0xc2ce8ed0, v19
	v_rndne_f32_e32 v21, v20
	v_fma_f32 v22, 0x3fb8aa3b, v19, -v20
	v_sub_f32_e32 v20, v20, v21
	v_fmac_f32_e32 v22, 0x32a5705f, v19
	v_cvt_i32_f32_e32 v21, v21
	v_add_f32_e32 v20, v20, v22
	v_exp_f32_e32 v20, v20
	v_ldexp_f32 v20, v20, v21
	v_cndmask_b32_e32 v20, 0, v20, vcc_lo
	v_cmp_nlt_f32_e32 vcc_lo, 0x42b17218, v19
	v_cndmask_b32_e32 v19, 0x7f800000, v20, vcc_lo
	v_add_f32_e32 v19, 1.0, v19
	v_rcp_f32_e32 v19, v19
	v_fma_f32 v19, v19, -2.0, 1.0
.LBB24_10:                              ;   in Loop: Header=BB24_3 Depth=1
	s_andn2_saveexec_b32 s33, s33
	s_cbranch_execz .LBB24_2
; %bb.11:                               ;   in Loop: Header=BB24_3 Depth=1
	v_mul_f32_e32 v19, v18, v18
	v_fmaak_f32 v20, s30, v19, 0x3ca908c9
	v_fmaak_f32 v20, v19, v20, 0xbd5c1c4e
	;; [unrolled: 1-line block ×4, first 2 shown]
	v_mul_f32_e64 v20, |v18|, v20
	v_fma_f32 v19, v19, v20, |v18|
	s_branch .LBB24_2
.LBB24_12:
	s_endpgm
	.section	.rodata,"a",@progbits
	.p2align	6, 0x0
	.amdhsa_kernel _ZN2at6native12_GLOBAL__N_16kernel18lstm_cell_backwardIN3c104HalfEfiLi1EEEvNS_4cuda6detail10TensorInfoIT_T1_EESB_SB_SB_SB_SB_SB_SA_SA_
		.amdhsa_group_segment_fixed_size 0
		.amdhsa_private_segment_fixed_size 0
		.amdhsa_kernarg_size 1776
		.amdhsa_user_sgpr_count 6
		.amdhsa_user_sgpr_private_segment_buffer 1
		.amdhsa_user_sgpr_dispatch_ptr 0
		.amdhsa_user_sgpr_queue_ptr 0
		.amdhsa_user_sgpr_kernarg_segment_ptr 1
		.amdhsa_user_sgpr_dispatch_id 0
		.amdhsa_user_sgpr_flat_scratch_init 0
		.amdhsa_user_sgpr_private_segment_size 0
		.amdhsa_wavefront_size32 1
		.amdhsa_uses_dynamic_stack 0
		.amdhsa_system_sgpr_private_segment_wavefront_offset 0
		.amdhsa_system_sgpr_workgroup_id_x 1
		.amdhsa_system_sgpr_workgroup_id_y 0
		.amdhsa_system_sgpr_workgroup_id_z 0
		.amdhsa_system_sgpr_workgroup_info 0
		.amdhsa_system_vgpr_workitem_id 0
		.amdhsa_next_free_vgpr 31
		.amdhsa_next_free_sgpr 35
		.amdhsa_reserve_vcc 1
		.amdhsa_reserve_flat_scratch 0
		.amdhsa_float_round_mode_32 0
		.amdhsa_float_round_mode_16_64 0
		.amdhsa_float_denorm_mode_32 3
		.amdhsa_float_denorm_mode_16_64 3
		.amdhsa_dx10_clamp 1
		.amdhsa_ieee_mode 1
		.amdhsa_fp16_overflow 0
		.amdhsa_workgroup_processor_mode 1
		.amdhsa_memory_ordered 1
		.amdhsa_forward_progress 1
		.amdhsa_shared_vgpr_count 0
		.amdhsa_exception_fp_ieee_invalid_op 0
		.amdhsa_exception_fp_denorm_src 0
		.amdhsa_exception_fp_ieee_div_zero 0
		.amdhsa_exception_fp_ieee_overflow 0
		.amdhsa_exception_fp_ieee_underflow 0
		.amdhsa_exception_fp_ieee_inexact 0
		.amdhsa_exception_int_div_zero 0
	.end_amdhsa_kernel
	.section	.text._ZN2at6native12_GLOBAL__N_16kernel18lstm_cell_backwardIN3c104HalfEfiLi1EEEvNS_4cuda6detail10TensorInfoIT_T1_EESB_SB_SB_SB_SB_SB_SA_SA_,"axG",@progbits,_ZN2at6native12_GLOBAL__N_16kernel18lstm_cell_backwardIN3c104HalfEfiLi1EEEvNS_4cuda6detail10TensorInfoIT_T1_EESB_SB_SB_SB_SB_SB_SA_SA_,comdat
.Lfunc_end24:
	.size	_ZN2at6native12_GLOBAL__N_16kernel18lstm_cell_backwardIN3c104HalfEfiLi1EEEvNS_4cuda6detail10TensorInfoIT_T1_EESB_SB_SB_SB_SB_SB_SA_SA_, .Lfunc_end24-_ZN2at6native12_GLOBAL__N_16kernel18lstm_cell_backwardIN3c104HalfEfiLi1EEEvNS_4cuda6detail10TensorInfoIT_T1_EESB_SB_SB_SB_SB_SB_SA_SA_
                                        ; -- End function
	.set _ZN2at6native12_GLOBAL__N_16kernel18lstm_cell_backwardIN3c104HalfEfiLi1EEEvNS_4cuda6detail10TensorInfoIT_T1_EESB_SB_SB_SB_SB_SB_SA_SA_.num_vgpr, 31
	.set _ZN2at6native12_GLOBAL__N_16kernel18lstm_cell_backwardIN3c104HalfEfiLi1EEEvNS_4cuda6detail10TensorInfoIT_T1_EESB_SB_SB_SB_SB_SB_SA_SA_.num_agpr, 0
	.set _ZN2at6native12_GLOBAL__N_16kernel18lstm_cell_backwardIN3c104HalfEfiLi1EEEvNS_4cuda6detail10TensorInfoIT_T1_EESB_SB_SB_SB_SB_SB_SA_SA_.numbered_sgpr, 35
	.set _ZN2at6native12_GLOBAL__N_16kernel18lstm_cell_backwardIN3c104HalfEfiLi1EEEvNS_4cuda6detail10TensorInfoIT_T1_EESB_SB_SB_SB_SB_SB_SA_SA_.num_named_barrier, 0
	.set _ZN2at6native12_GLOBAL__N_16kernel18lstm_cell_backwardIN3c104HalfEfiLi1EEEvNS_4cuda6detail10TensorInfoIT_T1_EESB_SB_SB_SB_SB_SB_SA_SA_.private_seg_size, 0
	.set _ZN2at6native12_GLOBAL__N_16kernel18lstm_cell_backwardIN3c104HalfEfiLi1EEEvNS_4cuda6detail10TensorInfoIT_T1_EESB_SB_SB_SB_SB_SB_SA_SA_.uses_vcc, 1
	.set _ZN2at6native12_GLOBAL__N_16kernel18lstm_cell_backwardIN3c104HalfEfiLi1EEEvNS_4cuda6detail10TensorInfoIT_T1_EESB_SB_SB_SB_SB_SB_SA_SA_.uses_flat_scratch, 0
	.set _ZN2at6native12_GLOBAL__N_16kernel18lstm_cell_backwardIN3c104HalfEfiLi1EEEvNS_4cuda6detail10TensorInfoIT_T1_EESB_SB_SB_SB_SB_SB_SA_SA_.has_dyn_sized_stack, 0
	.set _ZN2at6native12_GLOBAL__N_16kernel18lstm_cell_backwardIN3c104HalfEfiLi1EEEvNS_4cuda6detail10TensorInfoIT_T1_EESB_SB_SB_SB_SB_SB_SA_SA_.has_recursion, 0
	.set _ZN2at6native12_GLOBAL__N_16kernel18lstm_cell_backwardIN3c104HalfEfiLi1EEEvNS_4cuda6detail10TensorInfoIT_T1_EESB_SB_SB_SB_SB_SB_SA_SA_.has_indirect_call, 0
	.section	.AMDGPU.csdata,"",@progbits
; Kernel info:
; codeLenInByte = 1472
; TotalNumSgprs: 37
; NumVgprs: 31
; ScratchSize: 0
; MemoryBound: 0
; FloatMode: 240
; IeeeMode: 1
; LDSByteSize: 0 bytes/workgroup (compile time only)
; SGPRBlocks: 0
; VGPRBlocks: 3
; NumSGPRsForWavesPerEU: 37
; NumVGPRsForWavesPerEU: 31
; Occupancy: 16
; WaveLimiterHint : 1
; COMPUTE_PGM_RSRC2:SCRATCH_EN: 0
; COMPUTE_PGM_RSRC2:USER_SGPR: 6
; COMPUTE_PGM_RSRC2:TRAP_HANDLER: 0
; COMPUTE_PGM_RSRC2:TGID_X_EN: 1
; COMPUTE_PGM_RSRC2:TGID_Y_EN: 0
; COMPUTE_PGM_RSRC2:TGID_Z_EN: 0
; COMPUTE_PGM_RSRC2:TIDIG_COMP_CNT: 0
	.section	.text._ZN2at6native12_GLOBAL__N_16kernel18lstm_cell_backwardIN3c104HalfEfiLi2EEEvNS_4cuda6detail10TensorInfoIT_T1_EESB_SB_SB_SB_SB_SB_SA_SA_,"axG",@progbits,_ZN2at6native12_GLOBAL__N_16kernel18lstm_cell_backwardIN3c104HalfEfiLi2EEEvNS_4cuda6detail10TensorInfoIT_T1_EESB_SB_SB_SB_SB_SB_SA_SA_,comdat
	.globl	_ZN2at6native12_GLOBAL__N_16kernel18lstm_cell_backwardIN3c104HalfEfiLi2EEEvNS_4cuda6detail10TensorInfoIT_T1_EESB_SB_SB_SB_SB_SB_SA_SA_ ; -- Begin function _ZN2at6native12_GLOBAL__N_16kernel18lstm_cell_backwardIN3c104HalfEfiLi2EEEvNS_4cuda6detail10TensorInfoIT_T1_EESB_SB_SB_SB_SB_SB_SA_SA_
	.p2align	8
	.type	_ZN2at6native12_GLOBAL__N_16kernel18lstm_cell_backwardIN3c104HalfEfiLi2EEEvNS_4cuda6detail10TensorInfoIT_T1_EESB_SB_SB_SB_SB_SB_SA_SA_,@function
_ZN2at6native12_GLOBAL__N_16kernel18lstm_cell_backwardIN3c104HalfEfiLi2EEEvNS_4cuda6detail10TensorInfoIT_T1_EESB_SB_SB_SB_SB_SB_SA_SA_: ; @_ZN2at6native12_GLOBAL__N_16kernel18lstm_cell_backwardIN3c104HalfEfiLi2EEEvNS_4cuda6detail10TensorInfoIT_T1_EESB_SB_SB_SB_SB_SB_SA_SA_
; %bb.0:
	s_clause 0x1
	s_load_dword s7, s[4:5], 0x5fc
	s_load_dwordx2 s[2:3], s[4:5], 0x5e8
	s_add_u32 s0, s4, 0x5f0
	s_addc_u32 s1, s5, 0
	s_waitcnt lgkmcnt(0)
	s_and_b32 s40, s7, 0xffff
	v_mad_u64_u32 v[0:1], null, s6, s40, v[0:1]
	s_mov_b32 s6, exec_lo
	v_cmpx_gt_i32_e64 s3, v0
	s_cbranch_execz .LBB25_12
; %bb.1:
	s_clause 0xb
	s_load_dwordx2 s[6:7], s[4:5], 0x360
	s_load_dwordx2 s[8:9], s[4:5], 0x438
	s_load_dword s33, s[4:5], 0xc
	s_load_dword s59, s[4:5], 0x36c
	s_load_dwordx2 s[10:11], s[4:5], 0x3cc
	s_load_dwordx2 s[12:13], s[4:5], 0x0
	s_load_dwordx2 s[14:15], s[4:5], 0x6c
	s_load_dwordx2 s[16:17], s[4:5], 0xd8
	s_load_dword s34, s[4:5], 0xe4
	s_load_dwordx2 s[18:19], s[4:5], 0x144
	s_load_dwordx2 s[20:21], s[4:5], 0x1b0
	s_load_dword s56, s[4:5], 0x1bc
	s_load_dword s0, s[0:1], 0x0
	s_clause 0x8
	s_load_dword s1, s[4:5], 0x294
	s_load_dword s60, s[4:5], 0x444
	s_load_dwordx2 s[22:23], s[4:5], 0x4a4
	s_load_dwordx2 s[24:25], s[4:5], 0x510
	s_load_dword s58, s[4:5], 0x51c
	s_load_dwordx2 s[26:27], s[4:5], 0x21c
	s_load_dwordx2 s[28:29], s[4:5], 0x288
	;; [unrolled: 1-line block ×4, first 2 shown]
	s_mov_b32 s39, 0
	s_mul_i32 s55, s2, 3
	s_mov_b32 s61, 0xbbbac73d
	s_waitcnt lgkmcnt(0)
	s_cmp_lg_u64 s[6:7], 0
	s_mov_b32 s62, 1.0
	s_cselect_b32 s35, -1, 0
	s_cmp_lg_u64 s[8:9], 0
	s_cselect_b32 s36, -1, 0
	s_abs_i32 s37, s2
	s_abs_i32 s38, s33
	v_cvt_f32_u32_e32 v1, s37
	v_cvt_f32_u32_e32 v2, s38
	s_abs_i32 s42, s34
	s_sub_i32 s49, 0, s38
	v_cvt_f32_u32_e32 v3, s42
	v_rcp_iflag_f32_e32 v1, v1
	v_rcp_iflag_f32_e32 v2, v2
	s_mul_i32 s40, s0, s40
	s_sub_i32 s0, 0, s37
	v_rcp_iflag_f32_e32 v3, v3
	s_abs_i32 s44, s56
	s_abs_i32 s45, s1
	v_cvt_f32_u32_e32 v4, s44
	v_cvt_f32_u32_e32 v7, s45
	s_abs_i32 s46, s58
	v_mul_f32_e32 v1, 0x4f7ffffe, v1
	v_mul_f32_e32 v2, 0x4f7ffffe, v2
	v_rcp_iflag_f32_e32 v4, v4
	s_abs_i32 s47, s59
	v_mul_f32_e32 v3, 0x4f7ffffe, v3
	v_cvt_u32_f32_e32 v1, v1
	v_cvt_u32_f32_e32 v2, v2
	s_abs_i32 s48, s60
	v_cvt_f32_u32_e32 v8, s46
	v_cvt_u32_f32_e32 v9, v3
	v_mul_lo_u32 v5, s0, v1
	v_mul_lo_u32 v6, s49, v2
	v_cvt_f32_u32_e32 v10, s48
	v_rcp_iflag_f32_e32 v8, v8
	v_mul_f32_e32 v12, 0x4f7ffffe, v4
	s_sub_i32 s0, 0, s42
	s_sub_i32 s49, 0, s45
	v_mul_lo_u32 v11, s0, v9
	v_mul_hi_u32 v3, v1, v5
	v_rcp_iflag_f32_e32 v5, v7
	v_mul_hi_u32 v6, v2, v6
	v_cvt_f32_u32_e32 v7, s47
	s_sub_i32 s0, 0, s44
	v_mul_f32_e32 v8, 0x4f7ffffe, v8
	s_ashr_i32 s41, s2, 31
	s_ashr_i32 s43, s33, 31
	v_add_nc_u32_e32 v3, v1, v3
	v_rcp_iflag_f32_e32 v1, v7
	v_add_nc_u32_e32 v4, v2, v6
	v_mul_f32_e32 v2, 0x4f7ffffe, v5
	v_rcp_iflag_f32_e32 v5, v10
	v_cvt_u32_f32_e32 v7, v12
	v_cvt_u32_f32_e32 v8, v8
	v_mul_hi_u32 v6, v9, v11
	v_cvt_u32_f32_e32 v2, v2
	s_ashr_i32 s50, s56, 31
	v_mul_lo_u32 v10, s0, v7
	v_mul_f32_e32 v1, 0x4f7ffffe, v1
	s_sub_i32 s0, 0, s46
	v_mul_lo_u32 v11, s49, v2
	v_mul_f32_e32 v5, 0x4f7ffffe, v5
	s_sub_i32 s49, 0, s47
	v_cvt_u32_f32_e32 v1, v1
	v_mul_lo_u32 v13, s0, v8
	s_sub_i32 s0, 0, s48
	v_cvt_u32_f32_e32 v12, v5
	v_mul_hi_u32 v10, v7, v10
	v_mul_lo_u32 v14, s49, v1
	v_mul_hi_u32 v11, v2, v11
	v_add_nc_u32_e32 v5, v9, v6
	v_mul_lo_u32 v15, s0, v12
	v_mul_hi_u32 v9, v8, v13
	s_ashr_i32 s49, s34, 31
	s_ashr_i32 s51, s1, 31
	v_add_nc_u32_e32 v6, v7, v10
	v_mul_hi_u32 v13, v1, v14
	v_add_nc_u32_e32 v7, v2, v11
	s_ashr_i32 s52, s58, 31
	v_mul_hi_u32 v10, v12, v15
	v_add_nc_u32_e32 v8, v8, v9
	s_ashr_i32 s53, s59, 31
	s_ashr_i32 s54, s60, 31
	s_sub_i32 s56, 0, s56
	v_add_nc_u32_e32 v9, v1, v13
	s_sub_i32 s57, 0, s1
	s_sub_i32 s58, 0, s58
	v_add_nc_u32_e32 v10, v12, v10
	s_sub_i32 s59, 0, s59
	s_sub_i32 s60, 0, s60
	s_branch .LBB25_3
.LBB25_2:                               ;   in Loop: Header=BB25_3 Depth=1
	s_or_b32 exec_lo, exec_lo, s0
	v_mul_hi_u32 v32, v19, v5
	v_mul_hi_u32 v33, v20, v5
	;; [unrolled: 1-line block ×4, first 2 shown]
	v_xor_b32_e32 v29, s49, v29
	v_xor_b32_e32 v28, s49, v28
	v_mul_hi_u32 v37, v11, v8
	v_xor_b32_e32 v27, s49, v27
	v_mul_lo_u32 v34, v32, s42
	v_mul_lo_u32 v39, v33, s42
	v_add_nc_u32_e32 v38, 1, v32
	v_add_nc_u32_e32 v40, 1, v33
	;; [unrolled: 1-line block ×3, first 2 shown]
	v_mul_lo_u32 v41, v36, s42
	v_add_nc_u32_e32 v43, 1, v36
	v_xor_b32_e32 v25, s49, v25
	v_sub_nc_u32_e32 v19, v19, v34
	v_mul_lo_u32 v34, v35, s42
	v_sub_nc_u32_e32 v20, v20, v39
	v_cvt_f32_f16_e32 v21, v21
	v_sub_nc_u32_e32 v23, v23, v41
	v_subrev_nc_u32_e32 v44, s42, v19
	v_cmp_le_u32_e32 vcc_lo, s42, v19
	v_sub_nc_u32_e32 v22, v22, v34
	v_cndmask_b32_e32 v32, v32, v38, vcc_lo
	v_cndmask_b32_e32 v19, v19, v44, vcc_lo
	v_cmp_le_u32_e32 vcc_lo, s42, v20
	v_subrev_nc_u32_e32 v38, s42, v20
	v_add_nc_u32_e32 v34, 1, v32
	v_cmp_le_u32_e64 s0, s42, v19
	v_cndmask_b32_e32 v33, v33, v40, vcc_lo
	v_cndmask_b32_e32 v20, v20, v38, vcc_lo
	v_cmp_le_u32_e32 vcc_lo, s42, v23
	v_cndmask_b32_e64 v19, v32, v34, s0
	v_cmp_le_u32_e64 s0, s42, v22
	v_subrev_nc_u32_e32 v34, s42, v22
	v_cmp_le_u32_e64 s1, s42, v20
	v_cndmask_b32_e32 v36, v36, v43, vcc_lo
	v_xor_b32_e32 v19, v19, v29
	v_cndmask_b32_e64 v32, v35, v42, s0
	v_add_nc_u32_e32 v35, 1, v33
	v_cndmask_b32_e64 v22, v22, v34, s0
	v_sub_nc_u32_e32 v19, v19, v29
	v_add_nc_u32_e32 v29, 1, v32
	v_cndmask_b32_e64 v20, v33, v35, s1
	v_cmp_le_u32_e64 s0, s42, v22
	v_subrev_nc_u32_e32 v33, s42, v23
	v_mul_lo_u32 v34, v19, s34
	v_xor_b32_e32 v20, v20, v28
	v_cndmask_b32_e64 v22, v32, v29, s0
	v_mul_lo_u32 v29, v37, s46
	v_sub_nc_u32_e32 v28, v20, v28
	v_cndmask_b32_e32 v20, v23, v33, vcc_lo
	v_xor_b32_e32 v22, v22, v27
	v_sub_nc_u32_e32 v14, v14, v34
	v_add_nc_u32_e32 v23, 1, v36
	v_mul_lo_u32 v32, v28, s34
	v_cmp_le_u32_e32 vcc_lo, s42, v20
	v_sub_nc_u32_e32 v22, v22, v27
	v_add_nc_u32_e32 v14, v0, v14
	v_sub_nc_u32_e32 v11, v11, v29
	v_cndmask_b32_e32 v20, v36, v23, vcc_lo
	v_add_nc_u32_e32 v23, 1, v37
	v_sub_nc_u32_e32 v27, v1, v32
	v_mul_lo_u32 v1, v14, s19
	v_mul_lo_u32 v14, v22, s34
	v_xor_b32_e32 v20, v20, v25
	v_cmp_le_u32_e32 vcc_lo, s46, v11
	v_subrev_nc_u32_e32 v29, s46, v11
	v_add_nc_u32_e32 v27, v0, v27
	v_sub_nc_u32_e32 v25, v20, v25
	v_cndmask_b32_e32 v23, v37, v23, vcc_lo
	v_sub_nc_u32_e32 v13, v13, v14
	v_cndmask_b32_e32 v11, v11, v29, vcc_lo
	v_mad_u64_u32 v[19:20], null, v19, s18, v[1:2]
	v_mul_lo_u32 v1, v27, s19
	v_mul_lo_u32 v27, v25, s34
	v_add_nc_u32_e32 v13, v0, v13
	v_add_nc_u32_e32 v14, 1, v23
	v_cmp_le_u32_e32 vcc_lo, s46, v11
	v_xor_b32_e32 v29, s52, v12
	v_ashrrev_i32_e32 v20, 31, v19
	v_mad_u64_u32 v[11:12], null, v28, s18, v[1:2]
	v_mul_lo_u32 v1, v13, s19
	v_cndmask_b32_e32 v14, v23, v14, vcc_lo
	v_sub_nc_u32_e32 v2, v2, v27
	v_bfi_b32 v28, 0x7fffffff, v31, v30
	v_cvt_f32_f16_e32 v30, v15
	v_xor_b32_e32 v23, v14, v29
	v_lshlrev_b64 v[13:14], 1, v[19:20]
	v_add_nc_u32_e32 v19, v0, v2
	v_mad_u64_u32 v[1:2], null, v22, s18, v[1:2]
	v_sub_nc_u32_e32 v27, v23, v29
	v_fma_f32 v29, -v28, v28, 1.0
	v_mul_lo_u32 v2, v19, s19
	v_ashrrev_i32_e32 v12, 31, v11
	v_add_co_u32 v13, vcc_lo, s16, v13
	v_mad_u64_u32 v[19:20], null, s58, v27, v[0:1]
	v_lshlrev_b64 v[11:12], 1, v[11:12]
	v_add_co_ci_u32_e64 v14, null, s17, v14, vcc_lo
	v_mad_u64_u32 v[22:23], null, v25, s18, v[2:3]
	v_cvt_f32_f16_e32 v25, v16
	v_mul_lo_u32 v19, v19, s5
	v_ashrrev_i32_e32 v2, 31, v1
	v_add_co_u32 v11, vcc_lo, s16, v11
	v_sub_f32_e32 v30, 1.0, v30
	v_ashrrev_i32_e32 v23, 31, v22
	v_lshlrev_b64 v[1:2], 1, v[1:2]
	v_add_co_ci_u32_e64 v12, null, s17, v12, vcc_lo
	v_mad_u64_u32 v[19:20], null, v27, s4, v[19:20]
	v_mul_f32_e32 v27, v24, v25
	v_lshlrev_b64 v[22:23], 1, v[22:23]
	v_mul_f32_e32 v24, v24, v28
	v_sub_f32_e32 v25, 1.0, v25
	v_add_co_u32 v1, vcc_lo, s16, v1
	v_fmac_f32_e32 v26, v27, v29
	v_cvt_f32_f16_e32 v27, v18
	v_cvt_f32_f16_e32 v29, v17
	v_ashrrev_i32_e32 v20, 31, v19
	v_add_nc_u32_e32 v0, s40, v0
	v_mul_f32_e32 v21, v26, v21
	v_mul_f32_e32 v27, v26, v27
	v_sub_f32_e32 v31, 1.0, v29
	v_lshlrev_b64 v[19:20], 1, v[19:20]
	v_add_co_ci_u32_e64 v2, null, s17, v2, vcc_lo
	v_add_co_u32 v22, vcc_lo, s16, v22
	v_mul_f32_e32 v27, v31, v27
	v_mul_f32_e32 v21, v30, v21
	;; [unrolled: 1-line block ×3, first 2 shown]
	v_add_co_ci_u32_e64 v23, null, s17, v23, vcc_lo
	v_fma_mixlo_f16 v17, v27, v17, 0 op_sel_hi:[0,1,0]
	v_add_co_u32 v19, vcc_lo, s24, v19
	v_mul_f32_e32 v28, v26, v29
	v_fma_mix_f32 v18, -v18, v18, s62 op_sel_hi:[1,1,0]
	v_add_co_ci_u32_e64 v20, null, s25, v20, vcc_lo
	v_cmp_le_i32_e32 vcc_lo, s3, v0
	global_store_short v[13:14], v17, off
	v_fma_mixlo_f16 v13, v21, v15, 0 op_sel_hi:[0,1,0]
	v_fma_mixlo_f16 v16, v24, v16, 0 op_sel_hi:[0,1,0]
	v_fma_mixlo_f16 v14, v18, v28, 0
	v_fma_mixlo_f16 v15, v26, v15, 0 op_sel_hi:[0,1,0]
	s_or_b32 s39, vcc_lo, s39
	global_store_short v[11:12], v13, off
	global_store_short v[1:2], v14, off
	;; [unrolled: 1-line block ×4, first 2 shown]
	s_andn2_b32 exec_lo, exec_lo, s39
	s_cbranch_execz .LBB25_12
.LBB25_3:                               ; =>This Inner Loop Header: Depth=1
	v_sub_nc_u32_e32 v1, 0, v0
	v_max_i32_e32 v11, v0, v1
	v_mul_hi_u32 v1, v11, v3
	v_mul_hi_u32 v13, v11, v6
	;; [unrolled: 1-line block ×3, first 2 shown]
	v_mul_lo_u32 v2, v1, s37
	v_add_nc_u32_e32 v12, 1, v1
	v_mul_lo_u32 v17, v13, s44
	v_add_nc_u32_e32 v20, 1, v15
	v_sub_nc_u32_e32 v2, v11, v2
	v_sub_nc_u32_e32 v17, v11, v17
	v_subrev_nc_u32_e32 v14, s37, v2
	v_cmp_le_u32_e32 vcc_lo, s37, v2
	v_cndmask_b32_e32 v1, v1, v12, vcc_lo
	v_cndmask_b32_e32 v2, v2, v14, vcc_lo
	v_ashrrev_i32_e32 v12, 31, v0
	v_add_nc_u32_e32 v14, 1, v1
	v_cmp_le_u32_e32 vcc_lo, s37, v2
	v_xor_b32_e32 v16, s41, v12
	v_mul_lo_u32 v2, v15, s45
	v_xor_b32_e32 v18, s50, v12
	v_xor_b32_e32 v21, s51, v12
	v_cndmask_b32_e32 v1, v1, v14, vcc_lo
	v_add_nc_u32_e32 v14, 1, v13
	v_cmp_le_u32_e32 vcc_lo, s44, v17
	v_mul_i32_i24_e32 v19, 3, v16
	v_xor_b32_e32 v1, v1, v16
	v_sub_nc_u32_e32 v22, v11, v2
	v_sub_nc_u32_e32 v2, v1, v16
	v_lshl_add_u32 v1, v1, 1, v1
	v_cndmask_b32_e32 v16, v13, v14, vcc_lo
	v_subrev_nc_u32_e32 v13, s44, v17
	v_cmp_le_u32_e64 s0, s45, v22
	v_mul_lo_u32 v14, s55, v2
	v_sub_nc_u32_e32 v19, v1, v19
	v_add_nc_u32_e32 v24, 1, v16
	v_cndmask_b32_e32 v17, v17, v13, vcc_lo
	v_cndmask_b32_e64 v15, v15, v20, s0
	v_subrev_nc_u32_e32 v20, s45, v22
	v_mad_u64_u32 v[1:2], null, s2, v19, s[2:3]
	v_add_nc_u32_e32 v23, v0, v14
	v_add_nc_u32_e32 v2, 2, v19
	;; [unrolled: 1-line block ×3, first 2 shown]
	v_cmp_le_u32_e32 vcc_lo, s44, v17
	v_cndmask_b32_e64 v20, v22, v20, s0
	v_ashrrev_i32_e32 v29, 31, v23
	v_mul_lo_u32 v13, s2, v2
	v_mul_lo_u32 v2, s2, v19
	v_add_nc_u32_e32 v23, v0, v1
	v_cndmask_b32_e32 v16, v16, v24, vcc_lo
	v_add3_u32 v19, v29, v14, v0
	v_add_nc_u32_e32 v22, 1, v15
	v_cmp_le_u32_e32 vcc_lo, s45, v20
	v_ashrrev_i32_e32 v28, 31, v23
	v_add_nc_u32_e32 v23, v0, v13
	v_add_nc_u32_e32 v17, v0, v2
	v_xor_b32_e32 v19, v19, v29
	v_cndmask_b32_e32 v15, v15, v22, vcc_lo
	v_add3_u32 v24, v28, v1, v0
	v_ashrrev_i32_e32 v27, 31, v23
	v_ashrrev_i32_e32 v25, 31, v17
	v_mul_hi_u32 v17, v19, v4
	v_xor_b32_e32 v31, s43, v28
	v_xor_b32_e32 v20, v24, v28
	v_add3_u32 v22, v27, v13, v0
	v_add3_u32 v23, v25, v2, v0
	v_xor_b32_e32 v24, s43, v29
	v_xor_b32_e32 v32, s43, v27
	v_mul_hi_u32 v26, v20, v4
	v_mul_lo_u32 v30, v17, s38
	v_xor_b32_e32 v22, v22, v27
	v_xor_b32_e32 v23, v23, v25
	v_add_nc_u32_e32 v35, 1, v17
	v_xor_b32_e32 v34, s43, v25
	v_xor_b32_e32 v16, v16, v18
	v_mul_hi_u32 v33, v22, v4
	v_mul_lo_u32 v36, v26, s38
	v_sub_nc_u32_e32 v30, v19, v30
	v_mul_hi_u32 v37, v23, v4
	v_add_nc_u32_e32 v38, 1, v26
	v_xor_b32_e32 v15, v15, v21
	v_cmp_le_u32_e32 vcc_lo, s38, v30
	v_subrev_nc_u32_e32 v41, s38, v30
	v_mul_lo_u32 v39, v33, s38
	v_add_nc_u32_e32 v40, 1, v33
	v_add_nc_u32_e32 v42, 1, v37
	v_cndmask_b32_e32 v17, v17, v35, vcc_lo
	v_sub_nc_u32_e32 v35, v20, v36
	v_cndmask_b32_e32 v30, v30, v41, vcc_lo
	v_mul_lo_u32 v36, v37, s38
	v_sub_nc_u32_e32 v21, v15, v21
	v_sub_nc_u32_e32 v39, v22, v39
	v_cmp_le_u32_e32 vcc_lo, s38, v35
	v_add_nc_u32_e32 v41, 1, v17
	v_cmp_le_u32_e64 s0, s38, v30
	v_cndmask_b32_e32 v26, v26, v38, vcc_lo
	v_subrev_nc_u32_e32 v38, s38, v35
	v_sub_nc_u32_e32 v36, v23, v36
	v_cndmask_b32_e64 v17, v17, v41, s0
	v_cndmask_b32_e32 v30, v35, v38, vcc_lo
	v_cmp_le_u32_e32 vcc_lo, s38, v39
	v_subrev_nc_u32_e32 v38, s38, v39
	v_add_nc_u32_e32 v35, 1, v26
	v_cmp_le_u32_e64 s0, s38, v36
	v_cmp_le_u32_e64 s1, s38, v30
	v_cndmask_b32_e32 v33, v33, v40, vcc_lo
	v_subrev_nc_u32_e32 v40, s38, v36
	v_cndmask_b32_e32 v30, v39, v38, vcc_lo
	v_cndmask_b32_e64 v37, v37, v42, s0
	v_xor_b32_e32 v17, v17, v24
	v_cndmask_b32_e64 v26, v26, v35, s1
	v_add_nc_u32_e32 v35, 1, v33
	v_cndmask_b32_e64 v36, v36, v40, s0
	v_cmp_le_u32_e32 vcc_lo, s38, v30
	v_add_nc_u32_e32 v38, 1, v37
	v_sub_nc_u32_e32 v24, v17, v24
	v_xor_b32_e32 v17, v26, v31
	v_cndmask_b32_e32 v26, v33, v35, vcc_lo
	v_cmp_le_u32_e32 vcc_lo, s38, v36
	v_mul_lo_u32 v33, v24, s33
	v_sub_nc_u32_e32 v35, v17, v31
	v_xor_b32_e32 v17, v26, v32
	v_cndmask_b32_e32 v30, v37, v38, vcc_lo
	v_sub_nc_u32_e32 v38, v17, v32
	v_xor_b32_e32 v26, v30, v34
	v_sub_nc_u32_e32 v30, v16, v18
	v_mul_lo_u32 v18, v35, s33
	v_sub_nc_u32_e32 v31, v14, v33
	v_mul_lo_u32 v32, v38, s33
	v_sub_nc_u32_e32 v26, v26, v34
	v_mad_u64_u32 v[15:16], null, s56, v30, v[0:1]
	v_mad_u64_u32 v[16:17], null, s57, v21, v[0:1]
	v_mul_lo_u32 v33, v26, s33
	v_sub_nc_u32_e32 v18, v1, v18
	v_add_nc_u32_e32 v17, v0, v31
	v_sub_nc_u32_e32 v31, v13, v32
	v_mul_lo_u32 v15, v15, s27
	v_add_nc_u32_e32 v18, v0, v18
	v_mul_lo_u32 v17, v17, s15
	v_sub_nc_u32_e32 v32, v2, v33
	v_mul_lo_u32 v16, v16, s31
	v_add_nc_u32_e32 v34, v0, v31
	v_mul_lo_u32 v18, v18, s15
	v_add_nc_u32_e32 v36, v0, v32
	v_mad_u64_u32 v[30:31], null, v30, s26, v[15:16]
	v_mad_u64_u32 v[32:33], null, v24, s14, v[17:18]
	v_mul_lo_u32 v15, v34, s15
	v_mul_lo_u32 v17, v36, s15
	v_mad_u64_u32 v[34:35], null, v35, s14, v[18:19]
	v_ashrrev_i32_e32 v31, 31, v30
	v_mov_b32_e32 v24, 0
	v_ashrrev_i32_e32 v33, 31, v32
	v_mad_u64_u32 v[36:37], null, v21, s30, v[16:17]
	v_mad_u64_u32 v[15:16], null, v38, s14, v[15:16]
	;; [unrolled: 1-line block ×3, first 2 shown]
	v_ashrrev_i32_e32 v35, 31, v34
	v_lshlrev_b64 v[32:33], 1, v[32:33]
	v_ashrrev_i32_e32 v37, 31, v36
	v_lshlrev_b64 v[30:31], 1, v[30:31]
	;; [unrolled: 2-line block ×3, first 2 shown]
	v_ashrrev_i32_e32 v18, 31, v17
	v_add_co_u32 v32, vcc_lo, s12, v32
	v_lshlrev_b64 v[15:16], 1, v[15:16]
	v_add_co_ci_u32_e64 v33, null, s13, v33, vcc_lo
	v_lshlrev_b64 v[17:18], 1, v[17:18]
	v_add_co_u32 v34, vcc_lo, s12, v34
	v_add_co_ci_u32_e64 v35, null, s13, v35, vcc_lo
	v_add_co_u32 v38, vcc_lo, s12, v15
	v_add_co_ci_u32_e64 v39, null, s13, v16, vcc_lo
	v_lshlrev_b64 v[15:16], 1, v[36:37]
	v_add_co_u32 v40, vcc_lo, s12, v17
	v_add_co_ci_u32_e64 v41, null, s13, v18, vcc_lo
	v_add_co_u32 v30, vcc_lo, s20, v30
	v_add_co_ci_u32_e64 v31, null, s21, v31, vcc_lo
	;; [unrolled: 2-line block ×3, first 2 shown]
	s_clause 0x3
	global_load_ushort v17, v[32:33], off
	global_load_ushort v15, v[34:35], off
	;; [unrolled: 1-line block ×6, first 2 shown]
	s_andn2_b32 vcc_lo, exec_lo, s35
	s_cbranch_vccnz .LBB25_5
; %bb.4:                                ;   in Loop: Header=BB25_3 Depth=1
	v_mul_hi_u32 v24, v11, v9
	v_mul_lo_u32 v26, v24, s47
	v_add_nc_u32_e32 v31, 1, v24
	v_sub_nc_u32_e32 v26, v11, v26
	v_subrev_nc_u32_e32 v32, s47, v26
	v_cmp_le_u32_e32 vcc_lo, s47, v26
	v_cndmask_b32_e32 v24, v24, v31, vcc_lo
	v_cndmask_b32_e32 v26, v26, v32, vcc_lo
	v_xor_b32_e32 v32, s53, v12
	v_add_nc_u32_e32 v31, 1, v24
	v_cmp_le_u32_e32 vcc_lo, s47, v26
	v_cndmask_b32_e32 v24, v24, v31, vcc_lo
	v_xor_b32_e32 v24, v24, v32
	v_sub_nc_u32_e32 v26, v24, v32
	v_mad_u64_u32 v[31:32], null, s59, v26, v[0:1]
	v_mul_lo_u32 v24, v31, s11
	v_mad_u64_u32 v[31:32], null, v26, s10, v[24:25]
	v_ashrrev_i32_e32 v32, 31, v31
	v_lshlrev_b64 v[31:32], 1, v[31:32]
	v_add_co_u32 v31, vcc_lo, s6, v31
	v_add_co_ci_u32_e64 v32, null, s7, v32, vcc_lo
	global_load_ushort v24, v[31:32], off
	s_waitcnt vmcnt(0)
	v_cvt_f32_f16_e32 v24, v24
.LBB25_5:                               ;   in Loop: Header=BB25_3 Depth=1
	s_andn2_b32 vcc_lo, exec_lo, s36
	s_cbranch_vccnz .LBB25_7
; %bb.6:                                ;   in Loop: Header=BB25_3 Depth=1
	v_mul_hi_u32 v26, v11, v10
	v_mul_lo_u32 v31, v26, s48
	v_add_nc_u32_e32 v32, 1, v26
	v_sub_nc_u32_e32 v31, v11, v31
	v_subrev_nc_u32_e32 v33, s48, v31
	v_cmp_le_u32_e32 vcc_lo, s48, v31
	v_cndmask_b32_e32 v26, v26, v32, vcc_lo
	v_cndmask_b32_e32 v31, v31, v33, vcc_lo
	v_xor_b32_e32 v33, s54, v12
	v_add_nc_u32_e32 v32, 1, v26
	v_cmp_le_u32_e32 vcc_lo, s48, v31
	v_cndmask_b32_e32 v26, v26, v32, vcc_lo
	v_xor_b32_e32 v26, v26, v33
	v_sub_nc_u32_e32 v33, v26, v33
	v_mad_u64_u32 v[31:32], null, s60, v33, v[0:1]
	v_mul_lo_u32 v26, v31, s23
	v_mad_u64_u32 v[31:32], null, v33, s22, v[26:27]
	v_ashrrev_i32_e32 v32, 31, v31
	v_lshlrev_b64 v[31:32], 1, v[31:32]
	v_add_co_u32 v31, vcc_lo, s8, v31
	v_add_co_ci_u32_e64 v32, null, s9, v32, vcc_lo
	global_load_ushort v26, v[31:32], off
	s_waitcnt vmcnt(0)
	v_cvt_f32_f16_e32 v26, v26
	s_branch .LBB25_8
.LBB25_7:                               ;   in Loop: Header=BB25_3 Depth=1
	v_mov_b32_e32 v26, 0
.LBB25_8:                               ;   in Loop: Header=BB25_3 Depth=1
	s_waitcnt vmcnt(0)
	v_cvt_f32_f16_e32 v30, v30
                                        ; implicit-def: $vgpr31
	v_cmp_ngt_f32_e64 s0, 0x3f200000, |v30|
	s_and_saveexec_b32 s1, s0
	s_xor_b32 s0, exec_lo, s1
	s_cbranch_execz .LBB25_10
; %bb.9:                                ;   in Loop: Header=BB25_3 Depth=1
	v_add_f32_e64 v31, |v30|, |v30|
	v_mul_f32_e32 v32, 0x3fb8aa3b, v31
	v_cmp_ngt_f32_e32 vcc_lo, 0xc2ce8ed0, v31
	v_rndne_f32_e32 v33, v32
	v_fma_f32 v34, 0x3fb8aa3b, v31, -v32
	v_sub_f32_e32 v32, v32, v33
	v_fmac_f32_e32 v34, 0x32a5705f, v31
	v_cvt_i32_f32_e32 v33, v33
	v_add_f32_e32 v32, v32, v34
	v_exp_f32_e32 v32, v32
	v_ldexp_f32 v32, v32, v33
	v_cndmask_b32_e32 v32, 0, v32, vcc_lo
	v_cmp_nlt_f32_e32 vcc_lo, 0x42b17218, v31
	v_cndmask_b32_e32 v31, 0x7f800000, v32, vcc_lo
	v_add_f32_e32 v31, 1.0, v31
	v_rcp_f32_e32 v31, v31
	v_fma_f32 v31, v31, -2.0, 1.0
.LBB25_10:                              ;   in Loop: Header=BB25_3 Depth=1
	s_andn2_saveexec_b32 s0, s0
	s_cbranch_execz .LBB25_2
; %bb.11:                               ;   in Loop: Header=BB25_3 Depth=1
	v_mul_f32_e32 v31, v30, v30
	v_fmaak_f32 v32, s61, v31, 0x3ca908c9
	v_fmaak_f32 v32, v31, v32, 0xbd5c1c4e
	;; [unrolled: 1-line block ×4, first 2 shown]
	v_mul_f32_e64 v32, |v30|, v32
	v_fma_f32 v31, v31, v32, |v30|
	s_branch .LBB25_2
.LBB25_12:
	s_endpgm
	.section	.rodata,"a",@progbits
	.p2align	6, 0x0
	.amdhsa_kernel _ZN2at6native12_GLOBAL__N_16kernel18lstm_cell_backwardIN3c104HalfEfiLi2EEEvNS_4cuda6detail10TensorInfoIT_T1_EESB_SB_SB_SB_SB_SB_SA_SA_
		.amdhsa_group_segment_fixed_size 0
		.amdhsa_private_segment_fixed_size 0
		.amdhsa_kernarg_size 1776
		.amdhsa_user_sgpr_count 6
		.amdhsa_user_sgpr_private_segment_buffer 1
		.amdhsa_user_sgpr_dispatch_ptr 0
		.amdhsa_user_sgpr_queue_ptr 0
		.amdhsa_user_sgpr_kernarg_segment_ptr 1
		.amdhsa_user_sgpr_dispatch_id 0
		.amdhsa_user_sgpr_flat_scratch_init 0
		.amdhsa_user_sgpr_private_segment_size 0
		.amdhsa_wavefront_size32 1
		.amdhsa_uses_dynamic_stack 0
		.amdhsa_system_sgpr_private_segment_wavefront_offset 0
		.amdhsa_system_sgpr_workgroup_id_x 1
		.amdhsa_system_sgpr_workgroup_id_y 0
		.amdhsa_system_sgpr_workgroup_id_z 0
		.amdhsa_system_sgpr_workgroup_info 0
		.amdhsa_system_vgpr_workitem_id 0
		.amdhsa_next_free_vgpr 45
		.amdhsa_next_free_sgpr 63
		.amdhsa_reserve_vcc 1
		.amdhsa_reserve_flat_scratch 0
		.amdhsa_float_round_mode_32 0
		.amdhsa_float_round_mode_16_64 0
		.amdhsa_float_denorm_mode_32 3
		.amdhsa_float_denorm_mode_16_64 3
		.amdhsa_dx10_clamp 1
		.amdhsa_ieee_mode 1
		.amdhsa_fp16_overflow 0
		.amdhsa_workgroup_processor_mode 1
		.amdhsa_memory_ordered 1
		.amdhsa_forward_progress 1
		.amdhsa_shared_vgpr_count 0
		.amdhsa_exception_fp_ieee_invalid_op 0
		.amdhsa_exception_fp_denorm_src 0
		.amdhsa_exception_fp_ieee_div_zero 0
		.amdhsa_exception_fp_ieee_overflow 0
		.amdhsa_exception_fp_ieee_underflow 0
		.amdhsa_exception_fp_ieee_inexact 0
		.amdhsa_exception_int_div_zero 0
	.end_amdhsa_kernel
	.section	.text._ZN2at6native12_GLOBAL__N_16kernel18lstm_cell_backwardIN3c104HalfEfiLi2EEEvNS_4cuda6detail10TensorInfoIT_T1_EESB_SB_SB_SB_SB_SB_SA_SA_,"axG",@progbits,_ZN2at6native12_GLOBAL__N_16kernel18lstm_cell_backwardIN3c104HalfEfiLi2EEEvNS_4cuda6detail10TensorInfoIT_T1_EESB_SB_SB_SB_SB_SB_SA_SA_,comdat
.Lfunc_end25:
	.size	_ZN2at6native12_GLOBAL__N_16kernel18lstm_cell_backwardIN3c104HalfEfiLi2EEEvNS_4cuda6detail10TensorInfoIT_T1_EESB_SB_SB_SB_SB_SB_SA_SA_, .Lfunc_end25-_ZN2at6native12_GLOBAL__N_16kernel18lstm_cell_backwardIN3c104HalfEfiLi2EEEvNS_4cuda6detail10TensorInfoIT_T1_EESB_SB_SB_SB_SB_SB_SA_SA_
                                        ; -- End function
	.set _ZN2at6native12_GLOBAL__N_16kernel18lstm_cell_backwardIN3c104HalfEfiLi2EEEvNS_4cuda6detail10TensorInfoIT_T1_EESB_SB_SB_SB_SB_SB_SA_SA_.num_vgpr, 45
	.set _ZN2at6native12_GLOBAL__N_16kernel18lstm_cell_backwardIN3c104HalfEfiLi2EEEvNS_4cuda6detail10TensorInfoIT_T1_EESB_SB_SB_SB_SB_SB_SA_SA_.num_agpr, 0
	.set _ZN2at6native12_GLOBAL__N_16kernel18lstm_cell_backwardIN3c104HalfEfiLi2EEEvNS_4cuda6detail10TensorInfoIT_T1_EESB_SB_SB_SB_SB_SB_SA_SA_.numbered_sgpr, 63
	.set _ZN2at6native12_GLOBAL__N_16kernel18lstm_cell_backwardIN3c104HalfEfiLi2EEEvNS_4cuda6detail10TensorInfoIT_T1_EESB_SB_SB_SB_SB_SB_SA_SA_.num_named_barrier, 0
	.set _ZN2at6native12_GLOBAL__N_16kernel18lstm_cell_backwardIN3c104HalfEfiLi2EEEvNS_4cuda6detail10TensorInfoIT_T1_EESB_SB_SB_SB_SB_SB_SA_SA_.private_seg_size, 0
	.set _ZN2at6native12_GLOBAL__N_16kernel18lstm_cell_backwardIN3c104HalfEfiLi2EEEvNS_4cuda6detail10TensorInfoIT_T1_EESB_SB_SB_SB_SB_SB_SA_SA_.uses_vcc, 1
	.set _ZN2at6native12_GLOBAL__N_16kernel18lstm_cell_backwardIN3c104HalfEfiLi2EEEvNS_4cuda6detail10TensorInfoIT_T1_EESB_SB_SB_SB_SB_SB_SA_SA_.uses_flat_scratch, 0
	.set _ZN2at6native12_GLOBAL__N_16kernel18lstm_cell_backwardIN3c104HalfEfiLi2EEEvNS_4cuda6detail10TensorInfoIT_T1_EESB_SB_SB_SB_SB_SB_SA_SA_.has_dyn_sized_stack, 0
	.set _ZN2at6native12_GLOBAL__N_16kernel18lstm_cell_backwardIN3c104HalfEfiLi2EEEvNS_4cuda6detail10TensorInfoIT_T1_EESB_SB_SB_SB_SB_SB_SA_SA_.has_recursion, 0
	.set _ZN2at6native12_GLOBAL__N_16kernel18lstm_cell_backwardIN3c104HalfEfiLi2EEEvNS_4cuda6detail10TensorInfoIT_T1_EESB_SB_SB_SB_SB_SB_SA_SA_.has_indirect_call, 0
	.section	.AMDGPU.csdata,"",@progbits
; Kernel info:
; codeLenInByte = 3116
; TotalNumSgprs: 65
; NumVgprs: 45
; ScratchSize: 0
; MemoryBound: 0
; FloatMode: 240
; IeeeMode: 1
; LDSByteSize: 0 bytes/workgroup (compile time only)
; SGPRBlocks: 0
; VGPRBlocks: 5
; NumSGPRsForWavesPerEU: 65
; NumVGPRsForWavesPerEU: 45
; Occupancy: 16
; WaveLimiterHint : 1
; COMPUTE_PGM_RSRC2:SCRATCH_EN: 0
; COMPUTE_PGM_RSRC2:USER_SGPR: 6
; COMPUTE_PGM_RSRC2:TRAP_HANDLER: 0
; COMPUTE_PGM_RSRC2:TGID_X_EN: 1
; COMPUTE_PGM_RSRC2:TGID_Y_EN: 0
; COMPUTE_PGM_RSRC2:TGID_Z_EN: 0
; COMPUTE_PGM_RSRC2:TIDIG_COMP_CNT: 0
	.section	.text._ZN2at6native12_GLOBAL__N_16kernel18lstm_cell_backwardIN3c104HalfEflLi1EEEvNS_4cuda6detail10TensorInfoIT_T1_EESB_SB_SB_SB_SB_SB_SA_SA_,"axG",@progbits,_ZN2at6native12_GLOBAL__N_16kernel18lstm_cell_backwardIN3c104HalfEflLi1EEEvNS_4cuda6detail10TensorInfoIT_T1_EESB_SB_SB_SB_SB_SB_SA_SA_,comdat
	.globl	_ZN2at6native12_GLOBAL__N_16kernel18lstm_cell_backwardIN3c104HalfEflLi1EEEvNS_4cuda6detail10TensorInfoIT_T1_EESB_SB_SB_SB_SB_SB_SA_SA_ ; -- Begin function _ZN2at6native12_GLOBAL__N_16kernel18lstm_cell_backwardIN3c104HalfEflLi1EEEvNS_4cuda6detail10TensorInfoIT_T1_EESB_SB_SB_SB_SB_SB_SA_SA_
	.p2align	8
	.type	_ZN2at6native12_GLOBAL__N_16kernel18lstm_cell_backwardIN3c104HalfEflLi1EEEvNS_4cuda6detail10TensorInfoIT_T1_EESB_SB_SB_SB_SB_SB_SA_SA_,@function
_ZN2at6native12_GLOBAL__N_16kernel18lstm_cell_backwardIN3c104HalfEflLi1EEEvNS_4cuda6detail10TensorInfoIT_T1_EESB_SB_SB_SB_SB_SB_SA_SA_: ; @_ZN2at6native12_GLOBAL__N_16kernel18lstm_cell_backwardIN3c104HalfEflLi1EEEvNS_4cuda6detail10TensorInfoIT_T1_EESB_SB_SB_SB_SB_SB_SA_SA_
; %bb.0:
	s_clause 0x1
	s_load_dword s0, s[4:5], 0xb7c
	s_load_dwordx4 s[8:11], s[4:5], 0xb60
	v_mov_b32_e32 v1, 0
	s_add_u32 s2, s4, 0xb70
	s_addc_u32 s3, s5, 0
	s_waitcnt lgkmcnt(0)
	s_and_b32 s16, s0, 0xffff
	s_mov_b32 s0, exec_lo
	v_mad_u64_u32 v[3:4], null, s6, s16, v[0:1]
	v_mov_b32_e32 v4, v1
	v_cmpx_gt_i64_e64 s[10:11], v[3:4]
	s_cbranch_execz .LBB26_15
; %bb.1:
	s_clause 0x2
	s_load_dwordx2 s[36:37], s[4:5], 0x410
	s_load_dwordx2 s[20:21], s[4:5], 0x680
	;; [unrolled: 1-line block ×3, first 2 shown]
	s_load_dword s17, s[2:3], 0x0
	s_clause 0xa
	s_load_dwordx2 s[38:39], s[4:5], 0x340
	s_load_dwordx2 s[40:41], s[4:5], 0x4e0
	;; [unrolled: 1-line block ×11, first 2 shown]
	s_mul_i32 s4, s9, 3
	s_mul_hi_u32 s5, s8, 3
	s_mov_b32 s28, 0
	s_mul_i32 s34, s8, 3
	s_waitcnt lgkmcnt(0)
	v_mul_lo_u32 v0, 0, s36
	v_mul_lo_u32 v2, v3, s37
	v_mad_u64_u32 v[5:6], null, v3, s36, 0
	s_cmp_lg_u64 s[20:21], 0
	s_mul_i32 s29, s17, s16
	v_mul_lo_u32 v9, 0, s42
	v_mad_u64_u32 v[7:8], null, v3, s42, 0
	s_cselect_b32 s30, -1, 0
	v_add3_u32 v6, v6, v2, v0
	v_mul_lo_u32 v0, v3, s43
	v_mad_u64_u32 v[11:12], null, v3, s24, 0
	v_mul_lo_u32 v2, v3, s19
	v_mad_u64_u32 v[13:14], null, v3, s22, 0
	v_lshlrev_b64 v[5:6], 1, v[5:6]
	s_cmp_lg_u64 s[0:1], 0
	v_add3_u32 v8, v8, v0, v9
	v_mul_lo_u32 v0, 0, s18
	v_mad_u64_u32 v[9:10], null, v3, s18, 0
	v_add_co_u32 v5, vcc_lo, s38, v5
	v_lshlrev_b64 v[7:8], 1, v[7:8]
	v_add_co_ci_u32_e64 v6, null, s39, v6, vcc_lo
	s_cselect_b32 s31, -1, 0
	v_add3_u32 v10, v10, v2, v0
	v_mul_lo_u32 v0, 0, s24
	v_mul_lo_u32 v2, v3, s25
	v_add_co_u32 v7, vcc_lo, s40, v7
	v_lshlrev_b64 v[9:10], 1, v[9:10]
	v_add_co_ci_u32_e64 v8, null, s41, v8, vcc_lo
	s_add_i32 s33, s5, s4
	s_mul_i32 s4, s29, s37
	v_add3_u32 v12, v12, v2, v0
	v_mul_lo_u32 v0, 0, s22
	v_mul_lo_u32 v2, v3, s23
	v_add_co_u32 v9, vcc_lo, s26, v9
	v_lshlrev_b64 v[11:12], 1, v[11:12]
	v_add_co_ci_u32_e64 v10, null, s27, v10, vcc_lo
	s_mul_hi_u32 s5, s29, s36
	s_mul_i32 s16, s29, s43
	v_add3_u32 v14, v14, v2, v0
	v_add_co_u32 v11, vcc_lo, s20, v11
	v_add_co_ci_u32_e64 v12, null, s21, v12, vcc_lo
	v_lshlrev_b64 v[13:14], 1, v[13:14]
	s_mul_hi_u32 s17, s29, s42
	s_mul_i32 s19, s29, s19
	s_mul_hi_u32 s35, s29, s18
	s_mul_i32 s25, s29, s25
	s_mul_hi_u32 s26, s29, s24
	v_add_co_u32 v13, vcc_lo, s0, v13
	s_mul_i32 s20, s29, s24
	s_mul_i32 s23, s29, s23
	s_mul_hi_u32 s24, s29, s22
	v_add_co_ci_u32_e64 v14, null, s1, v14, vcc_lo
	s_add_i32 s5, s5, s4
	s_mul_i32 s4, s29, s36
	s_add_i32 s17, s17, s16
	s_mul_i32 s16, s29, s42
	;; [unrolled: 2-line block ×3, first 2 shown]
	s_add_i32 s21, s26, s25
	s_add_i32 s23, s24, s23
	s_mul_i32 s22, s29, s22
	s_lshl_b64 s[4:5], s[4:5], 1
	s_lshl_b64 s[16:17], s[16:17], 1
	;; [unrolled: 1-line block ×5, first 2 shown]
	s_ashr_i32 s24, s9, 31
	s_mov_b32 s1, 0xbbbac73d
	s_mov_b32 s35, 1.0
	s_branch .LBB26_3
.LBB26_2:                               ;   in Loop: Header=BB26_3 Depth=1
	s_or_b32 exec_lo, exec_lo, s0
	v_mul_lo_u32 v21, v21, s14
	v_mul_lo_u32 v32, v15, s15
	v_mad_u64_u32 v[30:31], null, v15, s14, 0
	v_mul_lo_u32 v33, v27, s14
	v_mul_lo_u32 v34, v16, s15
	v_mad_u64_u32 v[15:16], null, v16, s14, 0
	v_add_co_u32 v13, s0, v13, s22
	v_add3_u32 v31, v31, v32, v21
	v_mul_lo_u32 v21, v26, s14
	v_mul_lo_u32 v32, v19, s15
	v_mad_u64_u32 v[26:27], null, v19, s14, 0
	v_add3_u32 v16, v16, v34, v33
	v_mul_lo_u32 v19, v23, s14
	v_cvt_f32_f16_e32 v23, v2
	v_lshlrev_b64 v[30:31], 1, v[30:31]
	v_cvt_f32_f16_e32 v34, v0
	v_lshlrev_b64 v[15:16], 1, v[15:16]
	v_add3_u32 v27, v27, v32, v21
	v_mul_lo_u32 v21, v17, s15
	v_mad_u64_u32 v[32:33], null, v17, s14, 0
	v_bfi_b32 v17, 0x7fffffff, v29, v28
	v_mul_f32_e32 v28, v24, v23
	v_lshlrev_b64 v[26:27], 1, v[26:27]
	v_add_co_u32 v30, vcc_lo, s12, v30
	v_fma_f32 v29, -v17, v17, 1.0
	v_add3_u32 v33, v33, v21, v19
	v_cvt_f32_f16_e32 v19, v22
	v_cvt_f32_f16_e32 v21, v25
	;; [unrolled: 1-line block ×3, first 2 shown]
	v_fmac_f32_e32 v20, v28, v29
	v_lshlrev_b64 v[28:29], 1, v[32:33]
	v_sub_f32_e32 v33, 1.0, v34
	v_add_co_ci_u32_e64 v31, null, s13, v31, vcc_lo
	v_mul_f32_e32 v19, v20, v19
	v_sub_f32_e32 v32, 1.0, v25
	v_mul_f32_e32 v21, v20, v21
	v_add_co_u32 v15, vcc_lo, s12, v15
	v_mul_f32_e32 v17, v24, v17
	v_sub_f32_e32 v23, 1.0, v23
	v_add_co_ci_u32_e64 v16, null, s13, v16, vcc_lo
	v_add_co_u32 v26, vcc_lo, s12, v26
	v_mul_f32_e32 v19, v32, v19
	v_mul_f32_e32 v24, v20, v25
	;; [unrolled: 1-line block ×3, first 2 shown]
	v_add_co_ci_u32_e64 v27, null, s13, v27, vcc_lo
	v_fma_mix_f32 v32, -v22, v22, s35 op_sel_hi:[1,1,0]
	v_add_co_u32 v21, vcc_lo, s12, v28
	v_mul_f32_e32 v17, v23, v17
	v_add_co_ci_u32_e64 v22, null, s13, v29, vcc_lo
	v_add_co_u32 v3, vcc_lo, v3, s29
	v_fma_mixlo_f16 v18, v19, v18, 0 op_sel_hi:[0,1,0]
	v_fma_mixlo_f16 v19, v25, v0, 0 op_sel_hi:[0,1,0]
	v_add_co_ci_u32_e64 v4, null, 0, v4, vcc_lo
	v_add_co_u32 v5, vcc_lo, v5, s4
	v_fma_mixlo_f16 v23, v32, v24, 0
	v_fma_mixlo_f16 v2, v17, v2, 0 op_sel_hi:[0,1,0]
	v_add_co_ci_u32_e64 v6, null, s5, v6, vcc_lo
	v_add_co_u32 v7, vcc_lo, v7, s16
	v_fma_mixlo_f16 v0, v20, v0, 0 op_sel_hi:[0,1,0]
	global_store_short v[30:31], v18, off
	global_store_short v[15:16], v19, off
	global_store_short v[26:27], v23, off
	global_store_short v[21:22], v2, off
	global_store_short v[9:10], v0, off
	v_add_co_ci_u32_e64 v8, null, s17, v8, vcc_lo
	v_add_co_u32 v9, vcc_lo, v9, s18
	v_add_co_ci_u32_e64 v10, null, s19, v10, vcc_lo
	v_add_co_u32 v11, vcc_lo, v11, s20
	v_add_co_ci_u32_e64 v12, null, s21, v12, vcc_lo
	v_cmp_le_i64_e32 vcc_lo, s[10:11], v[3:4]
	v_add_co_ci_u32_e64 v14, null, s23, v14, s0
	s_or_b32 s28, vcc_lo, s28
	s_andn2_b32 exec_lo, exec_lo, s28
	s_cbranch_execz .LBB26_15
.LBB26_3:                               ; =>This Inner Loop Header: Depth=1
	v_or_b32_e32 v2, s9, v4
                                        ; implicit-def: $vgpr17_vgpr18
	s_mov_b32 s0, exec_lo
	v_cmpx_ne_u64_e32 0, v[1:2]
	s_xor_b32 s36, exec_lo, s0
	s_cbranch_execz .LBB26_5
; %bb.4:                                ;   in Loop: Header=BB26_3 Depth=1
	s_add_u32 s26, s8, s24
	s_mov_b32 s25, s24
	s_addc_u32 s27, s9, s24
	v_ashrrev_i32_e32 v21, 31, v4
	s_xor_b64 s[26:27], s[26:27], s[24:25]
	v_cvt_f32_u32_e32 v0, s26
	v_cvt_f32_u32_e32 v2, s27
	s_sub_u32 s0, 0, s26
	s_subb_u32 s38, 0, s27
	v_add_co_u32 v15, vcc_lo, v3, v21
	v_fmac_f32_e32 v0, 0x4f800000, v2
	v_rcp_f32_e32 v0, v0
	v_mul_f32_e32 v0, 0x5f7ffffc, v0
	v_mul_f32_e32 v2, 0x2f800000, v0
	v_trunc_f32_e32 v2, v2
	v_fmac_f32_e32 v0, 0xcf800000, v2
	v_cvt_u32_f32_e32 v2, v2
	v_cvt_u32_f32_e32 v0, v0
	v_readfirstlane_b32 s25, v2
	v_xor_b32_e32 v2, v15, v21
	v_readfirstlane_b32 s37, v0
	s_mul_i32 s39, s0, s25
	v_add_co_ci_u32_e64 v0, null, v4, v21, vcc_lo
	s_mul_hi_u32 s41, s0, s37
	s_mul_i32 s40, s38, s37
	s_add_i32 s39, s41, s39
	s_mul_i32 s42, s0, s37
	s_add_i32 s39, s39, s40
	s_mul_hi_u32 s41, s37, s42
	s_mul_i32 s44, s37, s39
	s_mul_hi_u32 s43, s25, s42
	s_mul_i32 s40, s25, s42
	s_mul_hi_u32 s42, s37, s39
	s_add_u32 s41, s41, s44
	s_addc_u32 s42, 0, s42
	s_mul_hi_u32 s45, s25, s39
	s_add_u32 s40, s41, s40
	s_mul_i32 s39, s25, s39
	s_addc_u32 s40, s42, s43
	s_addc_u32 s41, s45, 0
	s_add_u32 s39, s40, s39
	s_addc_u32 s40, 0, s41
	s_add_u32 s37, s37, s39
	s_cselect_b32 s39, -1, 0
	s_mul_hi_u32 s41, s0, s37
	s_cmp_lg_u32 s39, 0
	s_mul_i32 s39, s0, s37
	s_addc_u32 s25, s25, s40
	s_mul_i32 s38, s38, s37
	s_mul_i32 s0, s0, s25
	s_mul_hi_u32 s40, s37, s39
	s_add_i32 s0, s41, s0
	s_mul_hi_u32 s41, s25, s39
	s_add_i32 s0, s0, s38
	s_mul_i32 s38, s25, s39
	s_mul_i32 s43, s37, s0
	s_mul_hi_u32 s42, s37, s0
	s_add_u32 s40, s40, s43
	s_addc_u32 s42, 0, s42
	s_mul_hi_u32 s39, s25, s0
	s_add_u32 s38, s40, s38
	s_mul_i32 s0, s25, s0
	s_addc_u32 s38, s42, s41
	s_addc_u32 s39, s39, 0
	s_add_u32 s0, s38, s0
	s_addc_u32 s38, 0, s39
	s_add_u32 s0, s37, s0
	s_cselect_b32 s37, -1, 0
	v_xor_b32_e32 v0, v0, v21
	s_cmp_lg_u32 s37, 0
	v_mul_hi_u32 v22, v2, s0
	s_addc_u32 s25, s25, s38
	v_mad_u64_u32 v[15:16], null, v2, s25, 0
	v_mad_u64_u32 v[17:18], null, v0, s0, 0
	;; [unrolled: 1-line block ×3, first 2 shown]
	v_add_co_u32 v15, vcc_lo, v22, v15
	v_add_co_ci_u32_e64 v16, null, 0, v16, vcc_lo
	v_add_co_u32 v15, vcc_lo, v15, v17
	v_add_co_ci_u32_e32 v15, vcc_lo, v16, v18, vcc_lo
	v_add_co_ci_u32_e32 v16, vcc_lo, 0, v20, vcc_lo
	v_add_co_u32 v17, vcc_lo, v15, v19
	v_add_co_ci_u32_e64 v18, null, 0, v16, vcc_lo
	v_mul_lo_u32 v19, s27, v17
	v_mad_u64_u32 v[15:16], null, s26, v17, 0
	v_mul_lo_u32 v20, s26, v18
	v_sub_co_u32 v2, vcc_lo, v2, v15
	v_add3_u32 v16, v16, v20, v19
	v_sub_nc_u32_e32 v19, v0, v16
	v_sub_co_ci_u32_e64 v0, null, v0, v16, vcc_lo
	v_subrev_co_ci_u32_e64 v15, null, s27, v19, vcc_lo
	v_add_co_u32 v19, s0, v17, 2
	v_add_co_ci_u32_e64 v20, null, 0, v18, s0
	v_sub_co_u32 v22, s0, v2, s26
	v_subrev_co_ci_u32_e64 v15, null, 0, v15, s0
	v_cmp_le_u32_e32 vcc_lo, s26, v22
	v_cndmask_b32_e64 v16, 0, -1, vcc_lo
	v_cmp_le_u32_e32 vcc_lo, s27, v15
	v_cndmask_b32_e64 v22, 0, -1, vcc_lo
	;; [unrolled: 2-line block ×4, first 2 shown]
	v_cmp_eq_u32_e32 vcc_lo, s27, v15
	v_cndmask_b32_e32 v15, v22, v16, vcc_lo
	v_add_co_u32 v16, vcc_lo, v17, 1
	v_add_co_ci_u32_e64 v22, null, 0, v18, vcc_lo
	v_cmp_eq_u32_e32 vcc_lo, s27, v0
	v_cndmask_b32_e32 v0, v23, v2, vcc_lo
	v_cmp_ne_u32_e32 vcc_lo, 0, v15
	v_xor_b32_e32 v15, s24, v21
	v_cmp_ne_u32_e64 s0, 0, v0
	v_cndmask_b32_e32 v0, v16, v19, vcc_lo
	v_cndmask_b32_e32 v2, v22, v20, vcc_lo
	v_cndmask_b32_e64 v0, v17, v0, s0
	v_cndmask_b32_e64 v2, v18, v2, s0
	v_xor_b32_e32 v0, v0, v15
	v_xor_b32_e32 v2, v2, v15
	v_sub_co_u32 v17, vcc_lo, v0, v15
	v_sub_co_ci_u32_e64 v18, null, v2, v15, vcc_lo
.LBB26_5:                               ;   in Loop: Header=BB26_3 Depth=1
	s_andn2_saveexec_b32 s0, s36
	s_cbranch_execz .LBB26_7
; %bb.6:                                ;   in Loop: Header=BB26_3 Depth=1
	v_cvt_f32_u32_e32 v0, s8
	s_sub_i32 s25, 0, s8
	v_mov_b32_e32 v18, v1
	v_rcp_iflag_f32_e32 v0, v0
	v_mul_f32_e32 v0, 0x4f7ffffe, v0
	v_cvt_u32_f32_e32 v0, v0
	v_mul_lo_u32 v2, s25, v0
	v_mul_hi_u32 v2, v0, v2
	v_add_nc_u32_e32 v0, v0, v2
	v_mul_hi_u32 v0, v3, v0
	v_mul_lo_u32 v2, v0, s8
	v_add_nc_u32_e32 v15, 1, v0
	v_sub_nc_u32_e32 v2, v3, v2
	v_subrev_nc_u32_e32 v16, s8, v2
	v_cmp_le_u32_e32 vcc_lo, s8, v2
	v_cndmask_b32_e32 v2, v2, v16, vcc_lo
	v_cndmask_b32_e32 v0, v0, v15, vcc_lo
	v_cmp_le_u32_e32 vcc_lo, s8, v2
	v_add_nc_u32_e32 v15, 1, v0
	v_cndmask_b32_e32 v17, v0, v15, vcc_lo
.LBB26_7:                               ;   in Loop: Header=BB26_3 Depth=1
	s_or_b32 exec_lo, exec_lo, s0
	v_mad_u64_u32 v[19:20], null, v17, 3, 0
	v_mad_u64_u32 v[15:16], null, s34, v17, v[3:4]
	v_mul_lo_u32 v2, s34, v18
	v_mul_lo_u32 v17, s33, v17
	v_mov_b32_e32 v0, v20
	v_mad_u64_u32 v[24:25], null, v15, s6, 0
	v_add3_u32 v21, v17, v16, v2
	v_mad_u64_u32 v[22:23], null, v18, 3, v[0:1]
	v_add_co_u32 v2, vcc_lo, v19, 1
	v_mul_lo_u32 v0, v15, s7
	v_mul_lo_u32 v23, v21, s6
	;; [unrolled: 1-line block ×3, first 2 shown]
	v_add_co_ci_u32_e64 v18, null, 0, v22, vcc_lo
	v_mad_u64_u32 v[16:17], null, s8, v2, v[3:4]
	v_add_co_u32 v2, vcc_lo, v19, 2
	v_add_co_ci_u32_e64 v27, null, 0, v22, vcc_lo
	v_mul_lo_u32 v18, s8, v18
	v_add_co_u32 v28, vcc_lo, v19, 3
	v_add_co_ci_u32_e64 v22, null, 0, v22, vcc_lo
	v_mul_lo_u32 v29, s9, v2
	v_mad_u64_u32 v[19:20], null, s8, v2, v[3:4]
	v_mul_lo_u32 v2, s8, v27
	v_add3_u32 v27, v26, v17, v18
	v_mul_lo_u32 v30, s9, v28
	v_mad_u64_u32 v[17:18], null, s8, v28, v[3:4]
	v_mul_lo_u32 v22, s8, v22
	v_mul_lo_u32 v32, v27, s6
	v_add3_u32 v25, v25, v0, v23
	v_add3_u32 v26, v29, v20, v2
	v_mul_lo_u32 v2, v16, s7
	v_mad_u64_u32 v[28:29], null, v16, s6, 0
	v_mul_lo_u32 v20, v19, s7
	v_add3_u32 v23, v30, v18, v22
	v_mul_lo_u32 v0, v26, s6
	v_mad_u64_u32 v[30:31], null, v19, s6, 0
	v_mul_lo_u32 v18, v17, s7
	v_add3_u32 v29, v29, v2, v32
	v_mul_lo_u32 v2, v23, s6
	v_mad_u64_u32 v[32:33], null, v17, s6, 0
	v_lshlrev_b64 v[24:25], 1, v[24:25]
	v_add3_u32 v31, v31, v20, v0
	v_lshlrev_b64 v[28:29], 1, v[28:29]
	v_mov_b32_e32 v20, 0
	v_add3_u32 v33, v33, v18, v2
	v_lshlrev_b64 v[30:31], 1, v[30:31]
	v_add_co_u32 v24, vcc_lo, s2, v24
	v_add_co_ci_u32_e64 v25, null, s3, v25, vcc_lo
	v_lshlrev_b64 v[32:33], 1, v[32:33]
	v_add_co_u32 v28, vcc_lo, s2, v28
	v_add_co_ci_u32_e64 v29, null, s3, v29, vcc_lo
	v_add_co_u32 v30, vcc_lo, s2, v30
	v_add_co_ci_u32_e64 v31, null, s3, v31, vcc_lo
	v_add_co_u32 v32, vcc_lo, s2, v32
	v_add_co_ci_u32_e64 v33, null, s3, v33, vcc_lo
	s_clause 0x3
	global_load_ushort v18, v[24:25], off
	global_load_ushort v0, v[28:29], off
	;; [unrolled: 1-line block ×6, first 2 shown]
	v_mov_b32_e32 v24, 0
	s_andn2_b32 vcc_lo, exec_lo, s30
	s_cbranch_vccnz .LBB26_9
; %bb.8:                                ;   in Loop: Header=BB26_3 Depth=1
	global_load_ushort v24, v[11:12], off
	s_waitcnt vmcnt(0)
	v_cvt_f32_f16_e32 v24, v24
.LBB26_9:                               ;   in Loop: Header=BB26_3 Depth=1
	s_andn2_b32 vcc_lo, exec_lo, s31
	s_cbranch_vccnz .LBB26_11
; %bb.10:                               ;   in Loop: Header=BB26_3 Depth=1
	global_load_ushort v20, v[13:14], off
	s_waitcnt vmcnt(0)
	v_cvt_f32_f16_e32 v20, v20
.LBB26_11:                              ;   in Loop: Header=BB26_3 Depth=1
	s_waitcnt vmcnt(0)
	v_cvt_f32_f16_e32 v28, v28
                                        ; implicit-def: $vgpr29
	v_cmp_ngt_f32_e64 s0, 0x3f200000, |v28|
	s_and_saveexec_b32 s25, s0
	s_xor_b32 s0, exec_lo, s25
	s_cbranch_execz .LBB26_13
; %bb.12:                               ;   in Loop: Header=BB26_3 Depth=1
	v_add_f32_e64 v29, |v28|, |v28|
	v_mul_f32_e32 v30, 0x3fb8aa3b, v29
	v_cmp_ngt_f32_e32 vcc_lo, 0xc2ce8ed0, v29
	v_rndne_f32_e32 v31, v30
	v_fma_f32 v32, 0x3fb8aa3b, v29, -v30
	v_sub_f32_e32 v30, v30, v31
	v_fmac_f32_e32 v32, 0x32a5705f, v29
	v_cvt_i32_f32_e32 v31, v31
	v_add_f32_e32 v30, v30, v32
	v_exp_f32_e32 v30, v30
	v_ldexp_f32 v30, v30, v31
	v_cndmask_b32_e32 v30, 0, v30, vcc_lo
	v_cmp_nlt_f32_e32 vcc_lo, 0x42b17218, v29
	v_cndmask_b32_e32 v29, 0x7f800000, v30, vcc_lo
	v_add_f32_e32 v29, 1.0, v29
	v_rcp_f32_e32 v29, v29
	v_fma_f32 v29, v29, -2.0, 1.0
.LBB26_13:                              ;   in Loop: Header=BB26_3 Depth=1
	s_andn2_saveexec_b32 s0, s0
	s_cbranch_execz .LBB26_2
; %bb.14:                               ;   in Loop: Header=BB26_3 Depth=1
	v_mul_f32_e32 v29, v28, v28
	v_fmaak_f32 v30, s1, v29, 0x3ca908c9
	v_fmaak_f32 v30, v29, v30, 0xbd5c1c4e
	;; [unrolled: 1-line block ×4, first 2 shown]
	v_mul_f32_e64 v30, |v28|, v30
	v_fma_f32 v29, v29, v30, |v28|
	s_branch .LBB26_2
.LBB26_15:
	s_endpgm
	.section	.rodata,"a",@progbits
	.p2align	6, 0x0
	.amdhsa_kernel _ZN2at6native12_GLOBAL__N_16kernel18lstm_cell_backwardIN3c104HalfEflLi1EEEvNS_4cuda6detail10TensorInfoIT_T1_EESB_SB_SB_SB_SB_SB_SA_SA_
		.amdhsa_group_segment_fixed_size 0
		.amdhsa_private_segment_fixed_size 0
		.amdhsa_kernarg_size 3184
		.amdhsa_user_sgpr_count 6
		.amdhsa_user_sgpr_private_segment_buffer 1
		.amdhsa_user_sgpr_dispatch_ptr 0
		.amdhsa_user_sgpr_queue_ptr 0
		.amdhsa_user_sgpr_kernarg_segment_ptr 1
		.amdhsa_user_sgpr_dispatch_id 0
		.amdhsa_user_sgpr_flat_scratch_init 0
		.amdhsa_user_sgpr_private_segment_size 0
		.amdhsa_wavefront_size32 1
		.amdhsa_uses_dynamic_stack 0
		.amdhsa_system_sgpr_private_segment_wavefront_offset 0
		.amdhsa_system_sgpr_workgroup_id_x 1
		.amdhsa_system_sgpr_workgroup_id_y 0
		.amdhsa_system_sgpr_workgroup_id_z 0
		.amdhsa_system_sgpr_workgroup_info 0
		.amdhsa_system_vgpr_workitem_id 0
		.amdhsa_next_free_vgpr 35
		.amdhsa_next_free_sgpr 46
		.amdhsa_reserve_vcc 1
		.amdhsa_reserve_flat_scratch 0
		.amdhsa_float_round_mode_32 0
		.amdhsa_float_round_mode_16_64 0
		.amdhsa_float_denorm_mode_32 3
		.amdhsa_float_denorm_mode_16_64 3
		.amdhsa_dx10_clamp 1
		.amdhsa_ieee_mode 1
		.amdhsa_fp16_overflow 0
		.amdhsa_workgroup_processor_mode 1
		.amdhsa_memory_ordered 1
		.amdhsa_forward_progress 1
		.amdhsa_shared_vgpr_count 0
		.amdhsa_exception_fp_ieee_invalid_op 0
		.amdhsa_exception_fp_denorm_src 0
		.amdhsa_exception_fp_ieee_div_zero 0
		.amdhsa_exception_fp_ieee_overflow 0
		.amdhsa_exception_fp_ieee_underflow 0
		.amdhsa_exception_fp_ieee_inexact 0
		.amdhsa_exception_int_div_zero 0
	.end_amdhsa_kernel
	.section	.text._ZN2at6native12_GLOBAL__N_16kernel18lstm_cell_backwardIN3c104HalfEflLi1EEEvNS_4cuda6detail10TensorInfoIT_T1_EESB_SB_SB_SB_SB_SB_SA_SA_,"axG",@progbits,_ZN2at6native12_GLOBAL__N_16kernel18lstm_cell_backwardIN3c104HalfEflLi1EEEvNS_4cuda6detail10TensorInfoIT_T1_EESB_SB_SB_SB_SB_SB_SA_SA_,comdat
.Lfunc_end26:
	.size	_ZN2at6native12_GLOBAL__N_16kernel18lstm_cell_backwardIN3c104HalfEflLi1EEEvNS_4cuda6detail10TensorInfoIT_T1_EESB_SB_SB_SB_SB_SB_SA_SA_, .Lfunc_end26-_ZN2at6native12_GLOBAL__N_16kernel18lstm_cell_backwardIN3c104HalfEflLi1EEEvNS_4cuda6detail10TensorInfoIT_T1_EESB_SB_SB_SB_SB_SB_SA_SA_
                                        ; -- End function
	.set _ZN2at6native12_GLOBAL__N_16kernel18lstm_cell_backwardIN3c104HalfEflLi1EEEvNS_4cuda6detail10TensorInfoIT_T1_EESB_SB_SB_SB_SB_SB_SA_SA_.num_vgpr, 35
	.set _ZN2at6native12_GLOBAL__N_16kernel18lstm_cell_backwardIN3c104HalfEflLi1EEEvNS_4cuda6detail10TensorInfoIT_T1_EESB_SB_SB_SB_SB_SB_SA_SA_.num_agpr, 0
	.set _ZN2at6native12_GLOBAL__N_16kernel18lstm_cell_backwardIN3c104HalfEflLi1EEEvNS_4cuda6detail10TensorInfoIT_T1_EESB_SB_SB_SB_SB_SB_SA_SA_.numbered_sgpr, 46
	.set _ZN2at6native12_GLOBAL__N_16kernel18lstm_cell_backwardIN3c104HalfEflLi1EEEvNS_4cuda6detail10TensorInfoIT_T1_EESB_SB_SB_SB_SB_SB_SA_SA_.num_named_barrier, 0
	.set _ZN2at6native12_GLOBAL__N_16kernel18lstm_cell_backwardIN3c104HalfEflLi1EEEvNS_4cuda6detail10TensorInfoIT_T1_EESB_SB_SB_SB_SB_SB_SA_SA_.private_seg_size, 0
	.set _ZN2at6native12_GLOBAL__N_16kernel18lstm_cell_backwardIN3c104HalfEflLi1EEEvNS_4cuda6detail10TensorInfoIT_T1_EESB_SB_SB_SB_SB_SB_SA_SA_.uses_vcc, 1
	.set _ZN2at6native12_GLOBAL__N_16kernel18lstm_cell_backwardIN3c104HalfEflLi1EEEvNS_4cuda6detail10TensorInfoIT_T1_EESB_SB_SB_SB_SB_SB_SA_SA_.uses_flat_scratch, 0
	.set _ZN2at6native12_GLOBAL__N_16kernel18lstm_cell_backwardIN3c104HalfEflLi1EEEvNS_4cuda6detail10TensorInfoIT_T1_EESB_SB_SB_SB_SB_SB_SA_SA_.has_dyn_sized_stack, 0
	.set _ZN2at6native12_GLOBAL__N_16kernel18lstm_cell_backwardIN3c104HalfEflLi1EEEvNS_4cuda6detail10TensorInfoIT_T1_EESB_SB_SB_SB_SB_SB_SA_SA_.has_recursion, 0
	.set _ZN2at6native12_GLOBAL__N_16kernel18lstm_cell_backwardIN3c104HalfEflLi1EEEvNS_4cuda6detail10TensorInfoIT_T1_EESB_SB_SB_SB_SB_SB_SA_SA_.has_indirect_call, 0
	.section	.AMDGPU.csdata,"",@progbits
; Kernel info:
; codeLenInByte = 2656
; TotalNumSgprs: 48
; NumVgprs: 35
; ScratchSize: 0
; MemoryBound: 0
; FloatMode: 240
; IeeeMode: 1
; LDSByteSize: 0 bytes/workgroup (compile time only)
; SGPRBlocks: 0
; VGPRBlocks: 4
; NumSGPRsForWavesPerEU: 48
; NumVGPRsForWavesPerEU: 35
; Occupancy: 16
; WaveLimiterHint : 1
; COMPUTE_PGM_RSRC2:SCRATCH_EN: 0
; COMPUTE_PGM_RSRC2:USER_SGPR: 6
; COMPUTE_PGM_RSRC2:TRAP_HANDLER: 0
; COMPUTE_PGM_RSRC2:TGID_X_EN: 1
; COMPUTE_PGM_RSRC2:TGID_Y_EN: 0
; COMPUTE_PGM_RSRC2:TGID_Z_EN: 0
; COMPUTE_PGM_RSRC2:TIDIG_COMP_CNT: 0
	.section	.text._ZN2at6native12_GLOBAL__N_16kernel18lstm_cell_backwardIN3c104HalfEflLi2EEEvNS_4cuda6detail10TensorInfoIT_T1_EESB_SB_SB_SB_SB_SB_SA_SA_,"axG",@progbits,_ZN2at6native12_GLOBAL__N_16kernel18lstm_cell_backwardIN3c104HalfEflLi2EEEvNS_4cuda6detail10TensorInfoIT_T1_EESB_SB_SB_SB_SB_SB_SA_SA_,comdat
	.globl	_ZN2at6native12_GLOBAL__N_16kernel18lstm_cell_backwardIN3c104HalfEflLi2EEEvNS_4cuda6detail10TensorInfoIT_T1_EESB_SB_SB_SB_SB_SB_SA_SA_ ; -- Begin function _ZN2at6native12_GLOBAL__N_16kernel18lstm_cell_backwardIN3c104HalfEflLi2EEEvNS_4cuda6detail10TensorInfoIT_T1_EESB_SB_SB_SB_SB_SB_SA_SA_
	.p2align	8
	.type	_ZN2at6native12_GLOBAL__N_16kernel18lstm_cell_backwardIN3c104HalfEflLi2EEEvNS_4cuda6detail10TensorInfoIT_T1_EESB_SB_SB_SB_SB_SB_SA_SA_,@function
_ZN2at6native12_GLOBAL__N_16kernel18lstm_cell_backwardIN3c104HalfEflLi2EEEvNS_4cuda6detail10TensorInfoIT_T1_EESB_SB_SB_SB_SB_SB_SA_SA_: ; @_ZN2at6native12_GLOBAL__N_16kernel18lstm_cell_backwardIN3c104HalfEflLi2EEEvNS_4cuda6detail10TensorInfoIT_T1_EESB_SB_SB_SB_SB_SB_SA_SA_
; %bb.0:
	s_clause 0x1
	s_load_dword s2, s[4:5], 0xb7c
	s_load_dwordx4 s[8:11], s[4:5], 0xb60
	v_mov_b32_e32 v1, 0
	s_add_u32 s0, s4, 0xb70
	s_addc_u32 s1, s5, 0
	s_waitcnt lgkmcnt(0)
	s_and_b32 s64, s2, 0xffff
	s_mov_b32 s2, exec_lo
	v_mad_u64_u32 v[3:4], null, s6, s64, v[0:1]
	v_mov_b32_e32 v4, v1
	v_cmpx_gt_i64_e64 s[10:11], v[3:4]
	s_cbranch_execz .LBB27_68
; %bb.1:
	s_clause 0x6
	s_load_dwordx2 s[2:3], s[4:5], 0x680
	s_load_dwordx4 s[12:15], s[4:5], 0x750
	s_load_dwordx2 s[34:35], s[4:5], 0x820
	s_load_dwordx2 s[40:41], s[4:5], 0x0
	;; [unrolled: 1-line block ×3, first 2 shown]
	s_load_dwordx4 s[16:19], s[4:5], 0xd0
	s_load_dwordx2 s[44:45], s[4:5], 0x1a0
	s_load_dword s0, s[0:1], 0x0
	s_clause 0xa
	s_load_dwordx2 s[46:47], s[4:5], 0x1b0
	s_load_dwordx4 s[20:23], s[4:5], 0x270
	s_load_dwordx2 s[48:49], s[4:5], 0x340
	s_load_dwordx2 s[50:51], s[4:5], 0x350
	s_load_dwordx4 s[24:27], s[4:5], 0x410
	s_load_dwordx2 s[52:53], s[4:5], 0x4e0
	;; [unrolled: 3-line block ×3, first 2 shown]
	s_load_dwordx2 s[58:59], s[4:5], 0x9c0
	s_load_dwordx2 s[60:61], s[4:5], 0x9d0
	v_cvt_f32_u32_e32 v0, s8
	s_clause 0x2
	s_load_dwordx2 s[62:63], s[4:5], 0x830
	s_load_dwordx4 s[36:39], s[4:5], 0x8f0
	s_load_dwordx4 s[4:7], s[4:5], 0xa90
	s_waitcnt lgkmcnt(0)
	s_cmp_lg_u64 s[2:3], 0
	s_mov_b32 s69, 0
	v_rcp_iflag_f32_e32 v0, v0
	s_cselect_b32 s1, -1, 0
	s_cmp_lg_u64 s[34:35], 0
	s_mul_i32 s68, s0, s64
	s_mul_i32 s0, s9, 3
	s_mul_hi_u32 s64, s8, 3
	s_cselect_b32 s33, -1, 0
	s_add_i32 s70, s64, s0
	s_sub_u32 s72, 0, s50
	s_subb_u32 s73, 0, s51
	v_mul_f32_e32 v0, 0x4f7ffffe, v0
	s_sub_u32 s74, 0, s54
	s_subb_u32 s75, 0, s55
	s_mul_i32 s71, s8, 3
	s_sub_u32 s76, 0, s60
	s_subb_u32 s77, 0, s61
	s_sub_u32 s78, 0, s56
	v_cvt_u32_f32_e32 v0, v0
	s_subb_u32 s79, 0, s57
	s_sub_u32 s80, 0, s62
	s_subb_u32 s81, 0, s63
	s_mov_b32 s82, 0xbbbac73d
	s_mov_b32 s83, 1.0
	s_branch .LBB27_3
.LBB27_2:                               ;   in Loop: Header=BB27_3 Depth=1
	s_or_b32 exec_lo, exec_lo, s0
	v_mad_u64_u32 v[32:33], null, s76, v21, v[3:4]
	v_mul_lo_u32 v30, s76, v22
	v_mul_lo_u32 v34, s77, v21
	;; [unrolled: 1-line block ×4, first 2 shown]
	v_mad_u64_u32 v[21:22], null, v21, s4, 0
	v_mul_lo_u32 v39, v20, s46
	v_mul_lo_u32 v40, v19, s47
	;; [unrolled: 1-line block ×3, first 2 shown]
	v_add3_u32 v30, v34, v33, v30
	v_mad_u64_u32 v[33:34], null, v19, s46, 0
	v_add3_u32 v22, v22, v38, v37
	v_mad_u64_u32 v[35:36], null, v32, s6, 0
	v_mul_lo_u32 v30, v30, s6
	v_mul_lo_u32 v37, v18, s46
	v_lshlrev_b64 v[21:22], 1, v[21:22]
	v_add3_u32 v32, v34, v40, v39
	v_sub_co_u32 v11, vcc_lo, v11, v33
	v_mul_lo_u32 v38, v17, s47
	v_mul_lo_u32 v39, v20, s20
	v_sub_co_ci_u32_e64 v12, null, v12, v32, vcc_lo
	v_add3_u32 v36, v36, v41, v30
	v_add_co_u32 v30, vcc_lo, s58, v21
	v_add_co_ci_u32_e64 v34, null, s59, v22, vcc_lo
	v_add_co_u32 v32, vcc_lo, v3, v11
	v_add_co_ci_u32_e64 v33, null, v4, v12, vcc_lo
	v_mad_u64_u32 v[11:12], null, v17, s46, 0
	v_mul_lo_u32 v40, v19, s21
	v_mad_u64_u32 v[19:20], null, v19, s20, 0
	v_lshlrev_b64 v[21:22], 1, v[35:36]
	v_mul_lo_u32 v35, v33, s22
	v_mul_lo_u32 v36, v32, s23
	v_add3_u32 v12, v12, v38, v37
	v_sub_co_u32 v9, vcc_lo, v9, v11
	v_mad_u64_u32 v[32:33], null, v32, s22, 0
	v_sub_co_ci_u32_e64 v10, null, v10, v12, vcc_lo
	v_add3_u32 v20, v20, v40, v39
	v_add_co_u32 v37, vcc_lo, v3, v9
	v_add_co_ci_u32_e64 v38, null, v4, v10, vcc_lo
	v_add_co_u32 v9, vcc_lo, v30, v21
	v_lshlrev_b64 v[11:12], 1, v[19:20]
	v_add_co_ci_u32_e64 v10, null, v34, v22, vcc_lo
	v_add3_u32 v33, v33, v36, v35
	v_mul_lo_u32 v35, v16, s46
	v_mul_lo_u32 v36, v15, s47
	v_mad_u64_u32 v[21:22], null, v15, s46, 0
	v_mul_lo_u32 v34, v37, s23
	v_mad_u64_u32 v[19:20], null, v37, s22, 0
	v_add_co_u32 v37, vcc_lo, s44, v11
	v_mul_lo_u32 v30, v38, s22
	v_add_co_ci_u32_e64 v38, null, s45, v12, vcc_lo
	v_mul_lo_u32 v39, v18, s20
	v_mul_lo_u32 v40, v17, s21
	v_mad_u64_u32 v[11:12], null, v17, s20, 0
	v_add3_u32 v22, v22, v36, v35
	v_sub_co_u32 v7, vcc_lo, v7, v21
	v_lshlrev_b64 v[17:18], 1, v[32:33]
	v_add3_u32 v20, v20, v34, v30
	v_sub_co_ci_u32_e64 v8, null, v8, v22, vcc_lo
	v_add3_u32 v12, v12, v40, v39
	v_add_co_u32 v21, vcc_lo, v3, v7
	v_add_co_ci_u32_e64 v22, null, v4, v8, vcc_lo
	v_lshlrev_b64 v[11:12], 1, v[11:12]
	v_add_co_u32 v7, vcc_lo, v37, v17
	v_add_co_ci_u32_e64 v8, null, v38, v18, vcc_lo
	v_lshlrev_b64 v[17:18], 1, v[19:20]
	v_mul_lo_u32 v30, v22, s22
	v_mul_lo_u32 v32, v21, s23
	v_mad_u64_u32 v[19:20], null, v21, s22, 0
	v_mul_lo_u32 v35, v14, s46
	v_mul_lo_u32 v36, v13, s47
	v_mad_u64_u32 v[21:22], null, v13, s46, 0
	;; [unrolled: 3-line block ×3, first 2 shown]
	v_add_co_u32 v11, vcc_lo, s44, v11
	v_add_co_ci_u32_e64 v12, null, s45, v12, vcc_lo
	v_add3_u32 v20, v20, v32, v30
	v_add_co_u32 v11, vcc_lo, v11, v17
	v_add3_u32 v17, v22, v36, v35
	v_add3_u32 v16, v16, v34, v33
	v_add_co_ci_u32_e64 v12, null, v12, v18, vcc_lo
	v_sub_co_u32 v18, vcc_lo, v5, v21
	v_sub_co_ci_u32_e64 v17, null, v6, v17, vcc_lo
	v_lshlrev_b64 v[15:16], 1, v[15:16]
	v_add_co_u32 v18, vcc_lo, v3, v18
	v_mul_lo_u32 v21, v14, s20
	v_mul_lo_u32 v22, v13, s21
	v_mad_u64_u32 v[5:6], null, v13, s20, 0
	v_add_co_ci_u32_e64 v17, null, v4, v17, vcc_lo
	v_add_co_u32 v30, vcc_lo, s44, v15
	v_add_co_ci_u32_e64 v32, null, s45, v16, vcc_lo
	v_lshlrev_b64 v[13:14], 1, v[19:20]
	v_mul_lo_u32 v17, v17, s22
	v_mul_lo_u32 v19, v18, s23
	v_mad_u64_u32 v[15:16], null, v18, s22, 0
	v_add3_u32 v6, v6, v22, v21
	v_bfi_b32 v18, 0x7fffffff, v24, v23
	v_cvt_f32_f16_e32 v20, v28
	v_add_co_u32 v13, vcc_lo, v30, v13
	v_lshlrev_b64 v[5:6], 1, v[5:6]
	v_add3_u32 v16, v16, v19, v17
	v_mul_f32_e32 v17, v31, v20
	v_fma_f32 v19, -v18, v18, 1.0
	v_add_co_ci_u32_e64 v14, null, v32, v14, vcc_lo
	v_add_co_u32 v21, vcc_lo, s44, v5
	v_fmac_f32_e32 v2, v17, v19
	v_cvt_f32_f16_e32 v17, v27
	v_cvt_f32_f16_e32 v19, v29
	;; [unrolled: 1-line block ×4, first 2 shown]
	v_add_co_ci_u32_e64 v22, null, s45, v6, vcc_lo
	v_lshlrev_b64 v[5:6], 1, v[15:16]
	v_mul_f32_e32 v15, v2, v17
	v_mul_f32_e32 v16, v2, v19
	v_sub_f32_e32 v17, 1.0, v23
	v_sub_f32_e32 v19, 1.0, v24
	v_mul_f32_e32 v18, v31, v18
	v_add_co_u32 v5, vcc_lo, v21, v5
	v_add_co_ci_u32_e64 v6, null, v22, v6, vcc_lo
	v_mul_f32_e32 v15, v17, v15
	v_mul_f32_e32 v16, v19, v16
	v_sub_f32_e32 v19, 1.0, v20
	v_add_co_u32 v3, vcc_lo, v3, s68
	v_add_co_ci_u32_e64 v4, null, 0, v4, vcc_lo
	v_fma_mixlo_f16 v15, v15, v25, 0 op_sel_hi:[0,1,0]
	v_mul_f32_e32 v18, v19, v18
	v_mul_f32_e32 v21, v2, v23
	v_fma_mix_f32 v17, -v27, v27, s83 op_sel_hi:[1,1,0]
	v_cmp_le_i64_e32 vcc_lo, s[10:11], v[3:4]
	v_fma_mixlo_f16 v16, v16, v26, 0 op_sel_hi:[0,1,0]
	global_store_short v[5:6], v15, off
	v_fma_mixlo_f16 v5, v18, v28, 0 op_sel_hi:[0,1,0]
	v_fma_mixlo_f16 v17, v17, v21, 0
	v_fma_mixlo_f16 v2, v2, v26, 0 op_sel_hi:[0,1,0]
	s_or_b32 s69, vcc_lo, s69
	global_store_short v[13:14], v16, off
	global_store_short v[11:12], v17, off
	;; [unrolled: 1-line block ×4, first 2 shown]
	s_andn2_b32 exec_lo, exec_lo, s69
	s_cbranch_execz .LBB27_68
.LBB27_3:                               ; =>This Inner Loop Header: Depth=1
	v_or_b32_e32 v2, s9, v4
                                        ; implicit-def: $vgpr7_vgpr8
	s_mov_b32 s0, exec_lo
	v_cmpx_ne_u64_e32 0, v[1:2]
	s_xor_b32 s84, exec_lo, s0
	s_cbranch_execz .LBB27_5
; %bb.4:                                ;   in Loop: Header=BB27_3 Depth=1
	s_ashr_i32 s64, s9, 31
	v_ashrrev_i32_e32 v11, 31, v4
	s_add_u32 s66, s8, s64
	s_mov_b32 s65, s64
	s_addc_u32 s67, s9, s64
	s_xor_b64 s[66:67], s[66:67], s[64:65]
	v_add_co_u32 v6, vcc_lo, v3, v11
	v_cvt_f32_u32_e32 v2, s66
	v_cvt_f32_u32_e32 v5, s67
	s_sub_u32 s85, 0, s66
	s_subb_u32 s86, 0, s67
	v_add_co_ci_u32_e64 v7, null, v4, v11, vcc_lo
	v_fmac_f32_e32 v2, 0x4f800000, v5
	v_xor_b32_e32 v12, v7, v11
	v_rcp_f32_e32 v2, v2
	v_mul_f32_e32 v2, 0x5f7ffffc, v2
	v_mul_f32_e32 v5, 0x2f800000, v2
	v_trunc_f32_e32 v5, v5
	v_fmac_f32_e32 v2, 0xcf800000, v5
	v_cvt_u32_f32_e32 v5, v5
	v_cvt_u32_f32_e32 v2, v2
	v_readfirstlane_b32 s0, v5
	v_readfirstlane_b32 s65, v2
	s_mul_i32 s87, s85, s0
	v_xor_b32_e32 v2, v6, v11
	s_mul_hi_u32 s89, s85, s65
	s_mul_i32 s88, s86, s65
	s_add_i32 s87, s89, s87
	s_mul_i32 s90, s85, s65
	s_add_i32 s87, s87, s88
	s_mul_hi_u32 s89, s65, s90
	s_mul_i32 s92, s65, s87
	s_mul_hi_u32 s91, s0, s90
	s_mul_i32 s88, s0, s90
	s_mul_hi_u32 s90, s65, s87
	s_add_u32 s89, s89, s92
	s_addc_u32 s90, 0, s90
	s_mul_hi_u32 s93, s0, s87
	s_add_u32 s88, s89, s88
	s_mul_i32 s87, s0, s87
	s_addc_u32 s88, s90, s91
	s_addc_u32 s89, s93, 0
	s_add_u32 s87, s88, s87
	s_addc_u32 s88, 0, s89
	s_add_u32 s65, s65, s87
	s_cselect_b32 s87, -1, 0
	s_mul_hi_u32 s89, s85, s65
	s_cmp_lg_u32 s87, 0
	s_mul_i32 s87, s85, s65
	s_addc_u32 s0, s0, s88
	s_mul_i32 s86, s86, s65
	s_mul_i32 s85, s85, s0
	s_mul_hi_u32 s88, s65, s87
	s_add_i32 s85, s89, s85
	s_mul_hi_u32 s89, s0, s87
	s_add_i32 s85, s85, s86
	s_mul_i32 s86, s0, s87
	s_mul_i32 s91, s65, s85
	s_mul_hi_u32 s90, s65, s85
	s_add_u32 s88, s88, s91
	s_addc_u32 s90, 0, s90
	s_mul_hi_u32 s87, s0, s85
	s_add_u32 s86, s88, s86
	s_mul_i32 s85, s0, s85
	s_addc_u32 s86, s90, s89
	s_addc_u32 s87, s87, 0
	s_add_u32 s85, s86, s85
	s_addc_u32 s86, 0, s87
	s_add_u32 s65, s65, s85
	s_cselect_b32 s85, -1, 0
	v_mul_hi_u32 v13, v2, s65
	s_cmp_lg_u32 s85, 0
	v_mad_u64_u32 v[7:8], null, v12, s65, 0
	s_addc_u32 s0, s0, s86
	v_mad_u64_u32 v[5:6], null, v2, s0, 0
	v_mad_u64_u32 v[9:10], null, v12, s0, 0
	v_add_co_u32 v5, vcc_lo, v13, v5
	v_add_co_ci_u32_e64 v6, null, 0, v6, vcc_lo
	v_add_co_u32 v5, vcc_lo, v5, v7
	v_add_co_ci_u32_e32 v5, vcc_lo, v6, v8, vcc_lo
	v_add_co_ci_u32_e32 v6, vcc_lo, 0, v10, vcc_lo
	v_add_co_u32 v7, vcc_lo, v5, v9
	v_add_co_ci_u32_e64 v8, null, 0, v6, vcc_lo
	v_mul_lo_u32 v9, s67, v7
	v_mad_u64_u32 v[5:6], null, s66, v7, 0
	v_mul_lo_u32 v10, s66, v8
	v_sub_co_u32 v2, vcc_lo, v2, v5
	v_add3_u32 v6, v6, v10, v9
	v_sub_nc_u32_e32 v9, v12, v6
	v_sub_co_ci_u32_e64 v6, null, v12, v6, vcc_lo
	v_subrev_co_ci_u32_e64 v5, null, s67, v9, vcc_lo
	v_add_co_u32 v9, s0, v7, 2
	v_add_co_ci_u32_e64 v10, null, 0, v8, s0
	v_sub_co_u32 v13, s0, v2, s66
	v_subrev_co_ci_u32_e64 v5, null, 0, v5, s0
	v_cmp_le_u32_e32 vcc_lo, s66, v13
	v_cndmask_b32_e64 v12, 0, -1, vcc_lo
	v_cmp_le_u32_e32 vcc_lo, s67, v5
	v_cndmask_b32_e64 v13, 0, -1, vcc_lo
	v_cmp_le_u32_e32 vcc_lo, s66, v2
	v_cndmask_b32_e64 v2, 0, -1, vcc_lo
	v_cmp_le_u32_e32 vcc_lo, s67, v6
	v_cndmask_b32_e64 v14, 0, -1, vcc_lo
	v_cmp_eq_u32_e32 vcc_lo, s67, v5
	v_cndmask_b32_e32 v5, v13, v12, vcc_lo
	v_add_co_u32 v12, vcc_lo, v7, 1
	v_add_co_ci_u32_e64 v13, null, 0, v8, vcc_lo
	v_cmp_eq_u32_e32 vcc_lo, s67, v6
	v_xor_b32_e32 v6, s64, v11
	v_cndmask_b32_e32 v2, v14, v2, vcc_lo
	v_cmp_ne_u32_e32 vcc_lo, 0, v5
	v_cmp_ne_u32_e64 s0, 0, v2
	v_cndmask_b32_e32 v2, v12, v9, vcc_lo
	v_cndmask_b32_e32 v5, v13, v10, vcc_lo
	v_cndmask_b32_e64 v2, v7, v2, s0
	v_cndmask_b32_e64 v5, v8, v5, s0
	v_xor_b32_e32 v2, v2, v6
	v_xor_b32_e32 v5, v5, v6
	v_sub_co_u32 v7, vcc_lo, v2, v6
	v_sub_co_ci_u32_e64 v8, null, v5, v6, vcc_lo
.LBB27_5:                               ;   in Loop: Header=BB27_3 Depth=1
	s_andn2_saveexec_b32 s0, s84
	s_cbranch_execz .LBB27_7
; %bb.6:                                ;   in Loop: Header=BB27_3 Depth=1
	s_sub_i32 s64, 0, s8
	v_mov_b32_e32 v8, v1
	v_mul_lo_u32 v2, s64, v0
	v_mul_hi_u32 v2, v0, v2
	v_add_nc_u32_e32 v2, v0, v2
	v_mul_hi_u32 v2, v3, v2
	v_mul_lo_u32 v5, v2, s8
	v_add_nc_u32_e32 v6, 1, v2
	v_sub_nc_u32_e32 v5, v3, v5
	v_subrev_nc_u32_e32 v7, s8, v5
	v_cmp_le_u32_e32 vcc_lo, s8, v5
	v_cndmask_b32_e32 v5, v5, v7, vcc_lo
	v_cndmask_b32_e32 v2, v2, v6, vcc_lo
	v_cmp_le_u32_e32 vcc_lo, s8, v5
	v_add_nc_u32_e32 v6, 1, v2
	v_cndmask_b32_e32 v7, v2, v6, vcc_lo
.LBB27_7:                               ;   in Loop: Header=BB27_3 Depth=1
	s_or_b32 exec_lo, exec_lo, s0
	v_mul_lo_u32 v2, s70, v7
	v_mul_lo_u32 v9, s71, v8
	v_mad_u64_u32 v[5:6], null, s71, v7, 0
	s_mov_b32 s0, exec_lo
	v_add3_u32 v6, v6, v9, v2
	v_add_co_u32 v16, vcc_lo, v3, v5
                                        ; implicit-def: $vgpr9_vgpr10
	v_add_co_ci_u32_e64 v18, null, v4, v6, vcc_lo
	v_or_b32_e32 v2, s43, v18
	v_ashrrev_i32_e32 v15, 31, v18
	v_cmpx_ne_u64_e32 0, v[1:2]
	s_xor_b32 s84, exec_lo, s0
	s_cbranch_execz .LBB27_9
; %bb.8:                                ;   in Loop: Header=BB27_3 Depth=1
	s_ashr_i32 s64, s43, 31
	v_add_co_u32 v10, vcc_lo, v16, v15
	s_add_u32 s66, s42, s64
	s_mov_b32 s65, s64
	s_addc_u32 s67, s43, s64
	v_add_co_ci_u32_e64 v11, null, v18, v15, vcc_lo
	s_xor_b64 s[66:67], s[66:67], s[64:65]
	v_cvt_f32_u32_e32 v2, s66
	v_cvt_f32_u32_e32 v9, s67
	s_sub_u32 s85, 0, s66
	s_subb_u32 s86, 0, s67
	v_xor_b32_e32 v17, v11, v15
	v_fmac_f32_e32 v2, 0x4f800000, v9
	v_rcp_f32_e32 v2, v2
	v_mul_f32_e32 v2, 0x5f7ffffc, v2
	v_mul_f32_e32 v9, 0x2f800000, v2
	v_trunc_f32_e32 v9, v9
	v_fmac_f32_e32 v2, 0xcf800000, v9
	v_cvt_u32_f32_e32 v9, v9
	v_cvt_u32_f32_e32 v2, v2
	v_readfirstlane_b32 s0, v9
	v_readfirstlane_b32 s65, v2
	s_mul_i32 s87, s85, s0
	v_xor_b32_e32 v2, v10, v15
	s_mul_hi_u32 s89, s85, s65
	s_mul_i32 s88, s86, s65
	s_add_i32 s87, s89, s87
	s_mul_i32 s90, s85, s65
	s_add_i32 s87, s87, s88
	s_mul_hi_u32 s89, s65, s90
	s_mul_i32 s92, s65, s87
	s_mul_hi_u32 s91, s0, s90
	s_mul_i32 s88, s0, s90
	s_mul_hi_u32 s90, s65, s87
	s_add_u32 s89, s89, s92
	s_addc_u32 s90, 0, s90
	s_mul_hi_u32 s93, s0, s87
	s_add_u32 s88, s89, s88
	s_mul_i32 s87, s0, s87
	s_addc_u32 s88, s90, s91
	s_addc_u32 s89, s93, 0
	s_add_u32 s87, s88, s87
	s_addc_u32 s88, 0, s89
	s_add_u32 s65, s65, s87
	s_cselect_b32 s87, -1, 0
	s_mul_hi_u32 s89, s85, s65
	s_cmp_lg_u32 s87, 0
	s_mul_i32 s87, s85, s65
	s_addc_u32 s0, s0, s88
	s_mul_i32 s86, s86, s65
	s_mul_i32 s85, s85, s0
	s_mul_hi_u32 s88, s65, s87
	s_add_i32 s85, s89, s85
	s_mul_hi_u32 s89, s0, s87
	s_add_i32 s85, s85, s86
	s_mul_i32 s86, s0, s87
	s_mul_i32 s91, s65, s85
	s_mul_hi_u32 s90, s65, s85
	s_add_u32 s88, s88, s91
	s_addc_u32 s90, 0, s90
	s_mul_hi_u32 s87, s0, s85
	s_add_u32 s86, s88, s86
	s_mul_i32 s85, s0, s85
	s_addc_u32 s86, s90, s89
	s_addc_u32 s87, s87, 0
	s_add_u32 s85, s86, s85
	s_addc_u32 s86, 0, s87
	s_add_u32 s65, s65, s85
	s_cselect_b32 s85, -1, 0
	v_mul_hi_u32 v19, v2, s65
	s_cmp_lg_u32 s85, 0
	v_mad_u64_u32 v[11:12], null, v17, s65, 0
	s_addc_u32 s0, s0, s86
	v_mad_u64_u32 v[9:10], null, v2, s0, 0
	v_mad_u64_u32 v[13:14], null, v17, s0, 0
	v_add_co_u32 v9, vcc_lo, v19, v9
	v_add_co_ci_u32_e64 v10, null, 0, v10, vcc_lo
	v_add_co_u32 v9, vcc_lo, v9, v11
	v_add_co_ci_u32_e32 v9, vcc_lo, v10, v12, vcc_lo
	v_add_co_ci_u32_e32 v10, vcc_lo, 0, v14, vcc_lo
	v_add_co_u32 v11, vcc_lo, v9, v13
	v_add_co_ci_u32_e64 v12, null, 0, v10, vcc_lo
	v_mul_lo_u32 v13, s67, v11
	v_mad_u64_u32 v[9:10], null, s66, v11, 0
	v_mul_lo_u32 v14, s66, v12
	v_sub_co_u32 v2, vcc_lo, v2, v9
	v_add3_u32 v10, v10, v14, v13
	v_sub_nc_u32_e32 v13, v17, v10
	v_sub_co_ci_u32_e64 v10, null, v17, v10, vcc_lo
	v_subrev_co_ci_u32_e64 v9, null, s67, v13, vcc_lo
	v_add_co_u32 v13, s0, v11, 2
	v_add_co_ci_u32_e64 v14, null, 0, v12, s0
	v_sub_co_u32 v19, s0, v2, s66
	v_subrev_co_ci_u32_e64 v9, null, 0, v9, s0
	v_cmp_le_u32_e32 vcc_lo, s66, v19
	v_cndmask_b32_e64 v17, 0, -1, vcc_lo
	v_cmp_le_u32_e32 vcc_lo, s67, v9
	v_cndmask_b32_e64 v19, 0, -1, vcc_lo
	;; [unrolled: 2-line block ×4, first 2 shown]
	v_cmp_eq_u32_e32 vcc_lo, s67, v9
	v_cndmask_b32_e32 v9, v19, v17, vcc_lo
	v_add_co_u32 v17, vcc_lo, v11, 1
	v_add_co_ci_u32_e64 v19, null, 0, v12, vcc_lo
	v_cmp_eq_u32_e32 vcc_lo, s67, v10
	v_xor_b32_e32 v10, s64, v15
	v_cndmask_b32_e32 v2, v20, v2, vcc_lo
	v_cmp_ne_u32_e32 vcc_lo, 0, v9
	v_cmp_ne_u32_e64 s0, 0, v2
	v_cndmask_b32_e32 v2, v17, v13, vcc_lo
	v_cndmask_b32_e32 v9, v19, v14, vcc_lo
	v_cndmask_b32_e64 v2, v11, v2, s0
	v_cndmask_b32_e64 v9, v12, v9, s0
	v_xor_b32_e32 v2, v2, v10
	v_xor_b32_e32 v11, v9, v10
	v_sub_co_u32 v9, vcc_lo, v2, v10
	v_sub_co_ci_u32_e64 v10, null, v11, v10, vcc_lo
.LBB27_9:                               ;   in Loop: Header=BB27_3 Depth=1
	s_or_saveexec_b32 s0, s84
	v_cvt_f32_u32_e32 v28, s42
	s_xor_b32 exec_lo, exec_lo, s0
	s_cbranch_execz .LBB27_11
; %bb.10:                               ;   in Loop: Header=BB27_3 Depth=1
	v_rcp_iflag_f32_e32 v2, v28
	s_sub_i32 s64, 0, s42
	v_mul_f32_e32 v2, 0x4f7ffffe, v2
	v_cvt_u32_f32_e32 v2, v2
	v_mul_lo_u32 v9, s64, v2
	v_mul_hi_u32 v9, v2, v9
	v_add_nc_u32_e32 v2, v2, v9
	v_mul_hi_u32 v2, v16, v2
	v_mul_lo_u32 v9, v2, s42
	v_add_nc_u32_e32 v10, 1, v2
	v_sub_nc_u32_e32 v9, v16, v9
	v_subrev_nc_u32_e32 v11, s42, v9
	v_cmp_le_u32_e32 vcc_lo, s42, v9
	v_cndmask_b32_e32 v9, v9, v11, vcc_lo
	v_cndmask_b32_e32 v2, v2, v10, vcc_lo
	v_cmp_le_u32_e32 vcc_lo, s42, v9
	v_add_nc_u32_e32 v10, 1, v2
	v_cndmask_b32_e32 v9, v2, v10, vcc_lo
	v_mov_b32_e32 v10, v1
.LBB27_11:                              ;   in Loop: Header=BB27_3 Depth=1
	s_or_b32 exec_lo, exec_lo, s0
	v_mul_lo_u32 v2, v10, s42
	v_mul_lo_u32 v13, v9, s43
	v_mad_u64_u32 v[11:12], null, v9, s42, 0
	v_mul_lo_u32 v14, v9, s17
	s_mov_b32 s0, exec_lo
	v_add3_u32 v2, v12, v13, v2
	v_mul_lo_u32 v13, v10, s16
	v_sub_co_u32 v10, vcc_lo, v5, v11
	v_sub_co_ci_u32_e64 v2, null, v6, v2, vcc_lo
	v_add_co_u32 v11, vcc_lo, v3, v10
	v_mad_u64_u32 v[9:10], null, v9, s16, 0
	v_add_co_ci_u32_e64 v2, null, v4, v2, vcc_lo
	v_mul_lo_u32 v17, v11, s19
	v_mad_u64_u32 v[11:12], null, v11, s18, 0
	v_mul_lo_u32 v2, v2, s18
	v_add3_u32 v10, v10, v14, v13
	v_lshlrev_b64 v[9:10], 1, v[9:10]
	v_add3_u32 v12, v12, v17, v2
	v_add_co_u32 v2, vcc_lo, s40, v9
	v_lshlrev_b64 v[11:12], 1, v[11:12]
	v_add_co_ci_u32_e64 v10, null, s41, v10, vcc_lo
	v_add_co_u32 v9, vcc_lo, v2, v11
	v_add_co_ci_u32_e64 v10, null, v10, v12, vcc_lo
	v_mad_u64_u32 v[11:12], null, v7, 3, 0
	global_load_ushort v25, v[9:10], off
	v_mov_b32_e32 v2, v12
	v_mad_u64_u32 v[12:13], null, v8, 3, v[2:3]
	v_mul_lo_u32 v2, s9, v11
	v_mad_u64_u32 v[7:8], null, s8, v11, s[8:9]
	v_mul_lo_u32 v9, s8, v12
	v_add_co_u32 v20, vcc_lo, v3, v7
	v_add3_u32 v8, v2, v8, v9
                                        ; implicit-def: $vgpr9_vgpr10
	v_add_co_ci_u32_e64 v22, null, v4, v8, vcc_lo
	v_or_b32_e32 v2, s43, v22
	v_ashrrev_i32_e32 v17, 31, v22
	v_cmpx_ne_u64_e32 0, v[1:2]
	s_xor_b32 s84, exec_lo, s0
	s_cbranch_execz .LBB27_13
; %bb.12:                               ;   in Loop: Header=BB27_3 Depth=1
	s_ashr_i32 s64, s43, 31
	v_add_co_u32 v10, vcc_lo, v20, v17
	s_add_u32 s66, s42, s64
	s_mov_b32 s65, s64
	s_addc_u32 s67, s43, s64
	v_add_co_ci_u32_e64 v13, null, v22, v17, vcc_lo
	s_xor_b64 s[66:67], s[66:67], s[64:65]
	v_cvt_f32_u32_e32 v2, s66
	v_cvt_f32_u32_e32 v9, s67
	s_sub_u32 s85, 0, s66
	s_subb_u32 s86, 0, s67
	v_xor_b32_e32 v19, v13, v17
	v_fmac_f32_e32 v2, 0x4f800000, v9
	v_rcp_f32_e32 v2, v2
	v_mul_f32_e32 v2, 0x5f7ffffc, v2
	v_mul_f32_e32 v9, 0x2f800000, v2
	v_trunc_f32_e32 v9, v9
	v_fmac_f32_e32 v2, 0xcf800000, v9
	v_cvt_u32_f32_e32 v9, v9
	v_cvt_u32_f32_e32 v2, v2
	v_readfirstlane_b32 s0, v9
	v_readfirstlane_b32 s65, v2
	s_mul_i32 s87, s85, s0
	v_xor_b32_e32 v2, v10, v17
	s_mul_hi_u32 s89, s85, s65
	s_mul_i32 s88, s86, s65
	s_add_i32 s87, s89, s87
	s_mul_i32 s90, s85, s65
	s_add_i32 s87, s87, s88
	s_mul_hi_u32 s89, s65, s90
	s_mul_i32 s92, s65, s87
	s_mul_hi_u32 s91, s0, s90
	s_mul_i32 s88, s0, s90
	s_mul_hi_u32 s90, s65, s87
	s_add_u32 s89, s89, s92
	s_addc_u32 s90, 0, s90
	s_mul_hi_u32 s93, s0, s87
	s_add_u32 s88, s89, s88
	s_mul_i32 s87, s0, s87
	s_addc_u32 s88, s90, s91
	s_addc_u32 s89, s93, 0
	s_add_u32 s87, s88, s87
	s_addc_u32 s88, 0, s89
	s_add_u32 s65, s65, s87
	s_cselect_b32 s87, -1, 0
	s_mul_hi_u32 s89, s85, s65
	s_cmp_lg_u32 s87, 0
	s_mul_i32 s87, s85, s65
	s_addc_u32 s0, s0, s88
	s_mul_i32 s86, s86, s65
	s_mul_i32 s85, s85, s0
	s_mul_hi_u32 s88, s65, s87
	s_add_i32 s85, s89, s85
	s_mul_hi_u32 s89, s0, s87
	s_add_i32 s85, s85, s86
	s_mul_i32 s86, s0, s87
	s_mul_i32 s91, s65, s85
	s_mul_hi_u32 s90, s65, s85
	s_add_u32 s88, s88, s91
	s_addc_u32 s90, 0, s90
	s_mul_hi_u32 s87, s0, s85
	s_add_u32 s86, s88, s86
	s_mul_i32 s85, s0, s85
	s_addc_u32 s86, s90, s89
	s_addc_u32 s87, s87, 0
	s_add_u32 s85, s86, s85
	s_addc_u32 s86, 0, s87
	s_add_u32 s65, s65, s85
	s_cselect_b32 s85, -1, 0
	v_mul_hi_u32 v21, v2, s65
	s_cmp_lg_u32 s85, 0
	v_mad_u64_u32 v[13:14], null, v19, s65, 0
	s_addc_u32 s0, s0, s86
	v_mad_u64_u32 v[9:10], null, v2, s0, 0
	v_mad_u64_u32 v[23:24], null, v19, s0, 0
	v_add_co_u32 v9, vcc_lo, v21, v9
	v_add_co_ci_u32_e64 v10, null, 0, v10, vcc_lo
	v_add_co_u32 v9, vcc_lo, v9, v13
	v_add_co_ci_u32_e32 v9, vcc_lo, v10, v14, vcc_lo
	v_add_co_ci_u32_e32 v10, vcc_lo, 0, v24, vcc_lo
	v_add_co_u32 v13, vcc_lo, v9, v23
	v_add_co_ci_u32_e64 v14, null, 0, v10, vcc_lo
	v_mul_lo_u32 v21, s67, v13
	v_mad_u64_u32 v[9:10], null, s66, v13, 0
	v_mul_lo_u32 v23, s66, v14
	v_sub_co_u32 v2, vcc_lo, v2, v9
	v_add3_u32 v10, v10, v23, v21
	v_sub_nc_u32_e32 v21, v19, v10
	v_sub_co_ci_u32_e64 v10, null, v19, v10, vcc_lo
	v_subrev_co_ci_u32_e64 v9, null, s67, v21, vcc_lo
	v_add_co_u32 v21, s0, v13, 2
	v_add_co_ci_u32_e64 v23, null, 0, v14, s0
	v_sub_co_u32 v24, s0, v2, s66
	v_subrev_co_ci_u32_e64 v9, null, 0, v9, s0
	v_cmp_le_u32_e32 vcc_lo, s66, v24
	v_cndmask_b32_e64 v19, 0, -1, vcc_lo
	v_cmp_le_u32_e32 vcc_lo, s67, v9
	v_cndmask_b32_e64 v24, 0, -1, vcc_lo
	;; [unrolled: 2-line block ×4, first 2 shown]
	v_cmp_eq_u32_e32 vcc_lo, s67, v9
	v_cndmask_b32_e32 v9, v24, v19, vcc_lo
	v_add_co_u32 v19, vcc_lo, v13, 1
	v_add_co_ci_u32_e64 v24, null, 0, v14, vcc_lo
	v_cmp_eq_u32_e32 vcc_lo, s67, v10
	v_xor_b32_e32 v10, s64, v17
	v_cndmask_b32_e32 v2, v26, v2, vcc_lo
	v_cmp_ne_u32_e32 vcc_lo, 0, v9
	v_cmp_ne_u32_e64 s0, 0, v2
	v_cndmask_b32_e32 v2, v19, v21, vcc_lo
	v_cndmask_b32_e32 v9, v24, v23, vcc_lo
	v_cndmask_b32_e64 v2, v13, v2, s0
	v_cndmask_b32_e64 v9, v14, v9, s0
	v_xor_b32_e32 v2, v2, v10
	v_xor_b32_e32 v13, v9, v10
	v_sub_co_u32 v9, vcc_lo, v2, v10
	v_sub_co_ci_u32_e64 v10, null, v13, v10, vcc_lo
.LBB27_13:                              ;   in Loop: Header=BB27_3 Depth=1
	s_andn2_saveexec_b32 s0, s84
	s_cbranch_execz .LBB27_15
; %bb.14:                               ;   in Loop: Header=BB27_3 Depth=1
	v_rcp_iflag_f32_e32 v2, v28
	s_sub_i32 s64, 0, s42
	v_mul_f32_e32 v2, 0x4f7ffffe, v2
	v_cvt_u32_f32_e32 v2, v2
	v_mul_lo_u32 v9, s64, v2
	v_mul_hi_u32 v9, v2, v9
	v_add_nc_u32_e32 v2, v2, v9
	v_mul_hi_u32 v2, v20, v2
	v_mul_lo_u32 v9, v2, s42
	v_add_nc_u32_e32 v10, 1, v2
	v_sub_nc_u32_e32 v9, v20, v9
	v_subrev_nc_u32_e32 v13, s42, v9
	v_cmp_le_u32_e32 vcc_lo, s42, v9
	v_cndmask_b32_e32 v9, v9, v13, vcc_lo
	v_cndmask_b32_e32 v2, v2, v10, vcc_lo
	v_cmp_le_u32_e32 vcc_lo, s42, v9
	v_add_nc_u32_e32 v10, 1, v2
	v_cndmask_b32_e32 v9, v2, v10, vcc_lo
	v_mov_b32_e32 v10, v1
.LBB27_15:                              ;   in Loop: Header=BB27_3 Depth=1
	s_or_b32 exec_lo, exec_lo, s0
	v_mul_lo_u32 v2, v10, s42
	v_mul_lo_u32 v19, v9, s43
	v_mad_u64_u32 v[13:14], null, v9, s42, 0
	v_mul_lo_u32 v21, v9, s17
	s_mov_b32 s0, exec_lo
	v_add3_u32 v2, v14, v19, v2
	v_mul_lo_u32 v19, v10, s16
	v_sub_co_u32 v10, vcc_lo, v7, v13
	v_sub_co_ci_u32_e64 v2, null, v8, v2, vcc_lo
	v_add_co_u32 v13, vcc_lo, v3, v10
	v_mad_u64_u32 v[9:10], null, v9, s16, 0
	v_add_co_ci_u32_e64 v2, null, v4, v2, vcc_lo
	v_mul_lo_u32 v23, v13, s19
	v_mad_u64_u32 v[13:14], null, v13, s18, 0
	v_mul_lo_u32 v2, v2, s18
	v_add3_u32 v10, v10, v21, v19
	v_lshlrev_b64 v[9:10], 1, v[9:10]
	v_add3_u32 v14, v14, v23, v2
	v_add_co_u32 v2, vcc_lo, s40, v9
	v_lshlrev_b64 v[13:14], 1, v[13:14]
	v_add_co_ci_u32_e64 v10, null, s41, v10, vcc_lo
	v_add_co_u32 v9, vcc_lo, v2, v13
	v_add_co_ci_u32_e64 v10, null, v10, v14, vcc_lo
	v_add_co_u32 v2, vcc_lo, v11, 2
	global_load_ushort v26, v[9:10], off
	v_add_co_ci_u32_e64 v9, null, 0, v12, vcc_lo
	v_mul_lo_u32 v13, s9, v2
	v_mul_lo_u32 v14, s8, v9
	v_mad_u64_u32 v[9:10], null, s8, v2, 0
	v_add3_u32 v10, v10, v14, v13
	v_add_co_u32 v23, vcc_lo, v3, v9
                                        ; implicit-def: $vgpr13_vgpr14
	v_add_co_ci_u32_e64 v24, null, v4, v10, vcc_lo
	v_or_b32_e32 v2, s43, v24
	v_ashrrev_i32_e32 v19, 31, v24
	v_cmpx_ne_u64_e32 0, v[1:2]
	s_xor_b32 s84, exec_lo, s0
	s_cbranch_execz .LBB27_17
; %bb.16:                               ;   in Loop: Header=BB27_3 Depth=1
	s_ashr_i32 s64, s43, 31
	v_add_co_u32 v14, vcc_lo, v23, v19
	s_add_u32 s66, s42, s64
	s_mov_b32 s65, s64
	s_addc_u32 s67, s43, s64
	v_add_co_ci_u32_e64 v21, null, v24, v19, vcc_lo
	s_xor_b64 s[66:67], s[66:67], s[64:65]
	v_cvt_f32_u32_e32 v2, s66
	v_cvt_f32_u32_e32 v13, s67
	s_sub_u32 s85, 0, s66
	s_subb_u32 s86, 0, s67
	v_xor_b32_e32 v21, v21, v19
	v_fmac_f32_e32 v2, 0x4f800000, v13
	v_rcp_f32_e32 v2, v2
	v_mul_f32_e32 v2, 0x5f7ffffc, v2
	v_mul_f32_e32 v13, 0x2f800000, v2
	v_trunc_f32_e32 v13, v13
	v_fmac_f32_e32 v2, 0xcf800000, v13
	v_cvt_u32_f32_e32 v13, v13
	v_cvt_u32_f32_e32 v2, v2
	v_readfirstlane_b32 s0, v13
	v_readfirstlane_b32 s65, v2
	s_mul_i32 s87, s85, s0
	v_xor_b32_e32 v2, v14, v19
	s_mul_hi_u32 s89, s85, s65
	s_mul_i32 s88, s86, s65
	s_add_i32 s87, s89, s87
	s_mul_i32 s90, s85, s65
	s_add_i32 s87, s87, s88
	s_mul_hi_u32 s89, s65, s90
	s_mul_i32 s92, s65, s87
	s_mul_hi_u32 s91, s0, s90
	s_mul_i32 s88, s0, s90
	s_mul_hi_u32 s90, s65, s87
	s_add_u32 s89, s89, s92
	s_addc_u32 s90, 0, s90
	s_mul_hi_u32 s93, s0, s87
	s_add_u32 s88, s89, s88
	s_mul_i32 s87, s0, s87
	s_addc_u32 s88, s90, s91
	s_addc_u32 s89, s93, 0
	s_add_u32 s87, s88, s87
	s_addc_u32 s88, 0, s89
	s_add_u32 s65, s65, s87
	s_cselect_b32 s87, -1, 0
	s_mul_hi_u32 s89, s85, s65
	s_cmp_lg_u32 s87, 0
	s_mul_i32 s87, s85, s65
	s_addc_u32 s0, s0, s88
	s_mul_i32 s86, s86, s65
	s_mul_i32 s85, s85, s0
	s_mul_hi_u32 s88, s65, s87
	s_add_i32 s85, s89, s85
	s_mul_hi_u32 s89, s0, s87
	s_add_i32 s85, s85, s86
	s_mul_i32 s86, s0, s87
	s_mul_i32 s91, s65, s85
	s_mul_hi_u32 s90, s65, s85
	s_add_u32 s88, s88, s91
	s_addc_u32 s90, 0, s90
	s_mul_hi_u32 s87, s0, s85
	s_add_u32 s86, s88, s86
	s_mul_i32 s85, s0, s85
	s_addc_u32 s86, s90, s89
	s_addc_u32 s87, s87, 0
	s_add_u32 s85, s86, s85
	s_addc_u32 s86, 0, s87
	s_add_u32 s65, s65, s85
	s_cselect_b32 s85, -1, 0
	v_mul_hi_u32 v27, v2, s65
	s_cmp_lg_u32 s85, 0
	v_mad_u64_u32 v[29:30], null, v21, s65, 0
	s_addc_u32 s0, s0, s86
	v_mad_u64_u32 v[13:14], null, v2, s0, 0
	v_mad_u64_u32 v[31:32], null, v21, s0, 0
	v_add_co_u32 v13, vcc_lo, v27, v13
	v_add_co_ci_u32_e64 v14, null, 0, v14, vcc_lo
	v_add_co_u32 v13, vcc_lo, v13, v29
	v_add_co_ci_u32_e32 v13, vcc_lo, v14, v30, vcc_lo
	v_add_co_ci_u32_e32 v14, vcc_lo, 0, v32, vcc_lo
	v_add_co_u32 v27, vcc_lo, v13, v31
	v_add_co_ci_u32_e64 v29, null, 0, v14, vcc_lo
	v_mul_lo_u32 v30, s67, v27
	v_mad_u64_u32 v[13:14], null, s66, v27, 0
	v_mul_lo_u32 v31, s66, v29
	v_sub_co_u32 v2, vcc_lo, v2, v13
	v_add3_u32 v14, v14, v31, v30
	v_sub_nc_u32_e32 v30, v21, v14
	v_sub_co_ci_u32_e64 v14, null, v21, v14, vcc_lo
	v_subrev_co_ci_u32_e64 v13, null, s67, v30, vcc_lo
	v_add_co_u32 v30, s0, v27, 2
	v_add_co_ci_u32_e64 v31, null, 0, v29, s0
	v_sub_co_u32 v32, s0, v2, s66
	v_subrev_co_ci_u32_e64 v13, null, 0, v13, s0
	v_cmp_le_u32_e32 vcc_lo, s66, v32
	v_cndmask_b32_e64 v21, 0, -1, vcc_lo
	v_cmp_le_u32_e32 vcc_lo, s67, v13
	v_cndmask_b32_e64 v32, 0, -1, vcc_lo
	;; [unrolled: 2-line block ×4, first 2 shown]
	v_cmp_eq_u32_e32 vcc_lo, s67, v13
	v_cndmask_b32_e32 v13, v32, v21, vcc_lo
	v_add_co_u32 v21, vcc_lo, v27, 1
	v_add_co_ci_u32_e64 v32, null, 0, v29, vcc_lo
	v_cmp_eq_u32_e32 vcc_lo, s67, v14
	v_xor_b32_e32 v14, s64, v19
	v_cndmask_b32_e32 v2, v33, v2, vcc_lo
	v_cmp_ne_u32_e32 vcc_lo, 0, v13
	v_cmp_ne_u32_e64 s0, 0, v2
	v_cndmask_b32_e32 v2, v21, v30, vcc_lo
	v_cndmask_b32_e32 v13, v32, v31, vcc_lo
	v_cndmask_b32_e64 v2, v27, v2, s0
	v_cndmask_b32_e64 v13, v29, v13, s0
	v_xor_b32_e32 v2, v2, v14
	v_xor_b32_e32 v21, v13, v14
	v_sub_co_u32 v13, vcc_lo, v2, v14
	v_sub_co_ci_u32_e64 v14, null, v21, v14, vcc_lo
.LBB27_17:                              ;   in Loop: Header=BB27_3 Depth=1
	s_andn2_saveexec_b32 s0, s84
	s_cbranch_execz .LBB27_19
; %bb.18:                               ;   in Loop: Header=BB27_3 Depth=1
	v_rcp_iflag_f32_e32 v2, v28
	s_sub_i32 s64, 0, s42
	v_mul_f32_e32 v2, 0x4f7ffffe, v2
	v_cvt_u32_f32_e32 v2, v2
	v_mul_lo_u32 v13, s64, v2
	v_mul_hi_u32 v13, v2, v13
	v_add_nc_u32_e32 v2, v2, v13
	v_mul_hi_u32 v2, v23, v2
	v_mul_lo_u32 v13, v2, s42
	v_add_nc_u32_e32 v14, 1, v2
	v_sub_nc_u32_e32 v13, v23, v13
	v_subrev_nc_u32_e32 v21, s42, v13
	v_cmp_le_u32_e32 vcc_lo, s42, v13
	v_cndmask_b32_e32 v13, v13, v21, vcc_lo
	v_cndmask_b32_e32 v2, v2, v14, vcc_lo
	v_cmp_le_u32_e32 vcc_lo, s42, v13
	v_add_nc_u32_e32 v14, 1, v2
	v_cndmask_b32_e32 v13, v2, v14, vcc_lo
	v_mov_b32_e32 v14, v1
.LBB27_19:                              ;   in Loop: Header=BB27_3 Depth=1
	s_or_b32 exec_lo, exec_lo, s0
	v_mul_lo_u32 v2, v14, s42
	v_mul_lo_u32 v21, v13, s43
	v_mad_u64_u32 v[29:30], null, v13, s42, 0
	v_mul_lo_u32 v27, v13, s17
	s_mov_b32 s0, exec_lo
	v_add3_u32 v2, v30, v21, v2
	v_mul_lo_u32 v21, v14, s16
	v_sub_co_u32 v14, vcc_lo, v9, v29
	v_sub_co_ci_u32_e64 v2, null, v10, v2, vcc_lo
	v_add_co_u32 v29, vcc_lo, v3, v14
	v_mad_u64_u32 v[13:14], null, v13, s16, 0
	v_add_co_ci_u32_e64 v2, null, v4, v2, vcc_lo
	v_mul_lo_u32 v31, v29, s19
	v_mad_u64_u32 v[29:30], null, v29, s18, 0
	v_mul_lo_u32 v2, v2, s18
	v_add3_u32 v14, v14, v27, v21
	v_lshlrev_b64 v[13:14], 1, v[13:14]
	v_add3_u32 v30, v30, v31, v2
	v_add_co_u32 v2, vcc_lo, s40, v13
	v_lshlrev_b64 v[29:30], 1, v[29:30]
	v_add_co_ci_u32_e64 v14, null, s41, v14, vcc_lo
	v_add_co_u32 v13, vcc_lo, v2, v29
	v_add_co_ci_u32_e64 v14, null, v14, v30, vcc_lo
	v_add_co_u32 v2, vcc_lo, v11, 3
	v_add_co_ci_u32_e64 v11, null, 0, v12, vcc_lo
	global_load_ushort v27, v[13:14], off
	v_mul_lo_u32 v13, s9, v2
	v_mul_lo_u32 v14, s8, v11
	v_mad_u64_u32 v[11:12], null, s8, v2, 0
	v_add3_u32 v12, v12, v14, v13
	v_add_co_u32 v29, vcc_lo, v3, v11
                                        ; implicit-def: $vgpr13_vgpr14
	v_add_co_ci_u32_e64 v30, null, v4, v12, vcc_lo
	v_or_b32_e32 v2, s43, v30
	v_ashrrev_i32_e32 v21, 31, v30
	v_cmpx_ne_u64_e32 0, v[1:2]
	s_xor_b32 s84, exec_lo, s0
	s_cbranch_execz .LBB27_21
; %bb.20:                               ;   in Loop: Header=BB27_3 Depth=1
	s_ashr_i32 s64, s43, 31
	v_add_co_u32 v14, vcc_lo, v29, v21
	s_add_u32 s66, s42, s64
	s_mov_b32 s65, s64
	s_addc_u32 s67, s43, s64
	v_add_co_ci_u32_e64 v28, null, v30, v21, vcc_lo
	s_xor_b64 s[66:67], s[66:67], s[64:65]
	v_cvt_f32_u32_e32 v2, s66
	v_cvt_f32_u32_e32 v13, s67
	s_sub_u32 s85, 0, s66
	s_subb_u32 s86, 0, s67
	v_xor_b32_e32 v28, v28, v21
	v_fmac_f32_e32 v2, 0x4f800000, v13
	v_rcp_f32_e32 v2, v2
	v_mul_f32_e32 v2, 0x5f7ffffc, v2
	v_mul_f32_e32 v13, 0x2f800000, v2
	v_trunc_f32_e32 v13, v13
	v_fmac_f32_e32 v2, 0xcf800000, v13
	v_cvt_u32_f32_e32 v13, v13
	v_cvt_u32_f32_e32 v2, v2
	v_readfirstlane_b32 s0, v13
	v_readfirstlane_b32 s65, v2
	s_mul_i32 s87, s85, s0
	v_xor_b32_e32 v2, v14, v21
	s_mul_hi_u32 s89, s85, s65
	s_mul_i32 s88, s86, s65
	s_add_i32 s87, s89, s87
	s_mul_i32 s90, s85, s65
	s_add_i32 s87, s87, s88
	s_mul_hi_u32 s89, s65, s90
	s_mul_i32 s92, s65, s87
	s_mul_hi_u32 s91, s0, s90
	s_mul_i32 s88, s0, s90
	s_mul_hi_u32 s90, s65, s87
	s_add_u32 s89, s89, s92
	s_addc_u32 s90, 0, s90
	s_mul_hi_u32 s93, s0, s87
	s_add_u32 s88, s89, s88
	s_mul_i32 s87, s0, s87
	s_addc_u32 s88, s90, s91
	s_addc_u32 s89, s93, 0
	s_add_u32 s87, s88, s87
	s_addc_u32 s88, 0, s89
	s_add_u32 s65, s65, s87
	s_cselect_b32 s87, -1, 0
	s_mul_hi_u32 s89, s85, s65
	s_cmp_lg_u32 s87, 0
	s_mul_i32 s87, s85, s65
	s_addc_u32 s0, s0, s88
	s_mul_i32 s86, s86, s65
	s_mul_i32 s85, s85, s0
	s_mul_hi_u32 s88, s65, s87
	s_add_i32 s85, s89, s85
	s_mul_hi_u32 s89, s0, s87
	s_add_i32 s85, s85, s86
	s_mul_i32 s86, s0, s87
	s_mul_i32 s91, s65, s85
	s_mul_hi_u32 s90, s65, s85
	s_add_u32 s88, s88, s91
	s_addc_u32 s90, 0, s90
	s_mul_hi_u32 s87, s0, s85
	s_add_u32 s86, s88, s86
	s_mul_i32 s85, s0, s85
	s_addc_u32 s86, s90, s89
	s_addc_u32 s87, s87, 0
	s_add_u32 s85, s86, s85
	s_addc_u32 s86, 0, s87
	s_add_u32 s65, s65, s85
	s_cselect_b32 s85, -1, 0
	v_mul_hi_u32 v35, v2, s65
	s_cmp_lg_u32 s85, 0
	v_mad_u64_u32 v[31:32], null, v28, s65, 0
	s_addc_u32 s0, s0, s86
	v_mad_u64_u32 v[13:14], null, v2, s0, 0
	v_mad_u64_u32 v[33:34], null, v28, s0, 0
	v_add_co_u32 v13, vcc_lo, v35, v13
	v_add_co_ci_u32_e64 v14, null, 0, v14, vcc_lo
	v_add_co_u32 v13, vcc_lo, v13, v31
	v_add_co_ci_u32_e32 v13, vcc_lo, v14, v32, vcc_lo
	v_add_co_ci_u32_e32 v14, vcc_lo, 0, v34, vcc_lo
	v_add_co_u32 v31, vcc_lo, v13, v33
	v_add_co_ci_u32_e64 v32, null, 0, v14, vcc_lo
	v_mul_lo_u32 v33, s67, v31
	v_mad_u64_u32 v[13:14], null, s66, v31, 0
	v_mul_lo_u32 v34, s66, v32
	v_sub_co_u32 v2, vcc_lo, v2, v13
	v_add3_u32 v14, v14, v34, v33
	v_sub_nc_u32_e32 v33, v28, v14
	v_sub_co_ci_u32_e64 v14, null, v28, v14, vcc_lo
	v_subrev_co_ci_u32_e64 v13, null, s67, v33, vcc_lo
	v_add_co_u32 v33, s0, v31, 2
	v_add_co_ci_u32_e64 v34, null, 0, v32, s0
	v_sub_co_u32 v35, s0, v2, s66
	v_subrev_co_ci_u32_e64 v13, null, 0, v13, s0
	v_cmp_le_u32_e32 vcc_lo, s66, v35
	v_cndmask_b32_e64 v28, 0, -1, vcc_lo
	v_cmp_le_u32_e32 vcc_lo, s67, v13
	v_cndmask_b32_e64 v35, 0, -1, vcc_lo
	;; [unrolled: 2-line block ×4, first 2 shown]
	v_cmp_eq_u32_e32 vcc_lo, s67, v13
	v_cndmask_b32_e32 v13, v35, v28, vcc_lo
	v_add_co_u32 v28, vcc_lo, v31, 1
	v_add_co_ci_u32_e64 v35, null, 0, v32, vcc_lo
	v_cmp_eq_u32_e32 vcc_lo, s67, v14
	v_xor_b32_e32 v14, s64, v21
	v_cndmask_b32_e32 v2, v36, v2, vcc_lo
	v_cmp_ne_u32_e32 vcc_lo, 0, v13
	v_cmp_ne_u32_e64 s0, 0, v2
	v_cndmask_b32_e32 v2, v28, v33, vcc_lo
	v_cndmask_b32_e32 v13, v35, v34, vcc_lo
	v_cndmask_b32_e64 v2, v31, v2, s0
	v_cndmask_b32_e64 v13, v32, v13, s0
	v_xor_b32_e32 v2, v2, v14
	v_xor_b32_e32 v28, v13, v14
	v_sub_co_u32 v13, vcc_lo, v2, v14
	v_sub_co_ci_u32_e64 v14, null, v28, v14, vcc_lo
                                        ; implicit-def: $vgpr28
.LBB27_21:                              ;   in Loop: Header=BB27_3 Depth=1
	s_andn2_saveexec_b32 s0, s84
	s_cbranch_execz .LBB27_23
; %bb.22:                               ;   in Loop: Header=BB27_3 Depth=1
	v_rcp_iflag_f32_e32 v2, v28
	s_sub_i32 s64, 0, s42
	v_mul_f32_e32 v2, 0x4f7ffffe, v2
	v_cvt_u32_f32_e32 v2, v2
	v_mul_lo_u32 v13, s64, v2
	v_mul_hi_u32 v13, v2, v13
	v_add_nc_u32_e32 v2, v2, v13
	v_mul_hi_u32 v2, v29, v2
	v_mul_lo_u32 v13, v2, s42
	v_add_nc_u32_e32 v14, 1, v2
	v_sub_nc_u32_e32 v13, v29, v13
	v_subrev_nc_u32_e32 v28, s42, v13
	v_cmp_le_u32_e32 vcc_lo, s42, v13
	v_cndmask_b32_e32 v13, v13, v28, vcc_lo
	v_cndmask_b32_e32 v2, v2, v14, vcc_lo
	v_cmp_le_u32_e32 vcc_lo, s42, v13
	v_add_nc_u32_e32 v14, 1, v2
	v_cndmask_b32_e32 v13, v2, v14, vcc_lo
	v_mov_b32_e32 v14, v1
.LBB27_23:                              ;   in Loop: Header=BB27_3 Depth=1
	s_or_b32 exec_lo, exec_lo, s0
	v_mul_lo_u32 v2, v14, s42
	v_mul_lo_u32 v28, v13, s43
	v_mad_u64_u32 v[31:32], null, v13, s42, 0
	v_mul_lo_u32 v33, v13, s17
	s_mov_b32 s0, exec_lo
	v_add3_u32 v2, v32, v28, v2
	v_mul_lo_u32 v28, v14, s16
	v_sub_co_u32 v14, vcc_lo, v11, v31
	v_sub_co_ci_u32_e64 v2, null, v12, v2, vcc_lo
	v_add_co_u32 v31, vcc_lo, v3, v14
	v_mad_u64_u32 v[13:14], null, v13, s16, 0
	v_add_co_ci_u32_e64 v2, null, v4, v2, vcc_lo
	v_mul_lo_u32 v34, v31, s19
	v_mad_u64_u32 v[31:32], null, v31, s18, 0
	v_mul_lo_u32 v2, v2, s18
	v_add3_u32 v14, v14, v33, v28
	v_lshlrev_b64 v[13:14], 1, v[13:14]
	v_add3_u32 v32, v32, v34, v2
	v_add_co_u32 v2, vcc_lo, s40, v13
	v_lshlrev_b64 v[31:32], 1, v[31:32]
	v_add_co_ci_u32_e64 v14, null, s41, v14, vcc_lo
	v_add_co_u32 v13, vcc_lo, v2, v31
	v_add_co_ci_u32_e64 v14, null, v14, v32, vcc_lo
	v_or_b32_e32 v2, s47, v18
	global_load_ushort v28, v[13:14], off
                                        ; implicit-def: $vgpr13_vgpr14
	v_cmpx_ne_u64_e32 0, v[1:2]
	s_xor_b32 s84, exec_lo, s0
	s_cbranch_execz .LBB27_25
; %bb.24:                               ;   in Loop: Header=BB27_3 Depth=1
	s_ashr_i32 s64, s47, 31
	v_add_co_u32 v14, vcc_lo, v16, v15
	s_add_u32 s66, s46, s64
	s_mov_b32 s65, s64
	s_addc_u32 s67, s47, s64
	v_add_co_ci_u32_e64 v16, null, v18, v15, vcc_lo
	s_xor_b64 s[66:67], s[66:67], s[64:65]
	v_cvt_f32_u32_e32 v2, s66
	v_cvt_f32_u32_e32 v13, s67
	s_sub_u32 s85, 0, s66
	s_subb_u32 s86, 0, s67
	v_xor_b32_e32 v16, v16, v15
	v_fmac_f32_e32 v2, 0x4f800000, v13
	v_rcp_f32_e32 v2, v2
	v_mul_f32_e32 v2, 0x5f7ffffc, v2
	v_mul_f32_e32 v13, 0x2f800000, v2
	v_trunc_f32_e32 v13, v13
	v_fmac_f32_e32 v2, 0xcf800000, v13
	v_cvt_u32_f32_e32 v13, v13
	v_cvt_u32_f32_e32 v2, v2
	v_readfirstlane_b32 s0, v13
	v_readfirstlane_b32 s65, v2
	s_mul_i32 s87, s85, s0
	v_xor_b32_e32 v2, v14, v15
	s_mul_hi_u32 s89, s85, s65
	s_mul_i32 s88, s86, s65
	s_add_i32 s87, s89, s87
	s_mul_i32 s90, s85, s65
	s_add_i32 s87, s87, s88
	s_mul_hi_u32 s89, s65, s90
	s_mul_i32 s92, s65, s87
	s_mul_hi_u32 s91, s0, s90
	s_mul_i32 s88, s0, s90
	s_mul_hi_u32 s90, s65, s87
	s_add_u32 s89, s89, s92
	s_addc_u32 s90, 0, s90
	s_mul_hi_u32 s93, s0, s87
	s_add_u32 s88, s89, s88
	s_mul_i32 s87, s0, s87
	s_addc_u32 s88, s90, s91
	s_addc_u32 s89, s93, 0
	s_add_u32 s87, s88, s87
	s_addc_u32 s88, 0, s89
	s_add_u32 s65, s65, s87
	s_cselect_b32 s87, -1, 0
	s_mul_hi_u32 s89, s85, s65
	s_cmp_lg_u32 s87, 0
	s_mul_i32 s87, s85, s65
	s_addc_u32 s0, s0, s88
	s_mul_i32 s86, s86, s65
	s_mul_i32 s85, s85, s0
	s_mul_hi_u32 s88, s65, s87
	s_add_i32 s85, s89, s85
	s_mul_hi_u32 s89, s0, s87
	s_add_i32 s85, s85, s86
	s_mul_i32 s86, s0, s87
	s_mul_i32 s91, s65, s85
	s_mul_hi_u32 s90, s65, s85
	s_add_u32 s88, s88, s91
	s_addc_u32 s90, 0, s90
	s_mul_hi_u32 s87, s0, s85
	s_add_u32 s86, s88, s86
	s_mul_i32 s85, s0, s85
	s_addc_u32 s86, s90, s89
	s_addc_u32 s87, s87, 0
	s_add_u32 s85, s86, s85
	s_addc_u32 s86, 0, s87
	s_add_u32 s65, s65, s85
	s_cselect_b32 s85, -1, 0
	v_mul_hi_u32 v18, v2, s65
	s_cmp_lg_u32 s85, 0
	v_mad_u64_u32 v[31:32], null, v16, s65, 0
	s_addc_u32 s0, s0, s86
	v_mad_u64_u32 v[13:14], null, v2, s0, 0
	v_mad_u64_u32 v[33:34], null, v16, s0, 0
	v_add_co_u32 v13, vcc_lo, v18, v13
	v_add_co_ci_u32_e64 v14, null, 0, v14, vcc_lo
	v_add_co_u32 v13, vcc_lo, v13, v31
	v_add_co_ci_u32_e32 v13, vcc_lo, v14, v32, vcc_lo
	v_add_co_ci_u32_e32 v14, vcc_lo, 0, v34, vcc_lo
	v_add_co_u32 v18, vcc_lo, v13, v33
	v_add_co_ci_u32_e64 v31, null, 0, v14, vcc_lo
	v_mul_lo_u32 v32, s67, v18
	v_mad_u64_u32 v[13:14], null, s66, v18, 0
	v_mul_lo_u32 v33, s66, v31
	v_sub_co_u32 v2, vcc_lo, v2, v13
	v_add3_u32 v14, v14, v33, v32
	v_sub_nc_u32_e32 v32, v16, v14
	v_sub_co_ci_u32_e64 v14, null, v16, v14, vcc_lo
	v_subrev_co_ci_u32_e64 v13, null, s67, v32, vcc_lo
	v_add_co_u32 v32, s0, v18, 2
	v_add_co_ci_u32_e64 v33, null, 0, v31, s0
	v_sub_co_u32 v34, s0, v2, s66
	v_subrev_co_ci_u32_e64 v13, null, 0, v13, s0
	v_cmp_le_u32_e32 vcc_lo, s66, v34
	v_cndmask_b32_e64 v16, 0, -1, vcc_lo
	v_cmp_le_u32_e32 vcc_lo, s67, v13
	v_cndmask_b32_e64 v34, 0, -1, vcc_lo
	;; [unrolled: 2-line block ×4, first 2 shown]
	v_cmp_eq_u32_e32 vcc_lo, s67, v13
	v_cndmask_b32_e32 v13, v34, v16, vcc_lo
	v_add_co_u32 v16, vcc_lo, v18, 1
	v_add_co_ci_u32_e64 v34, null, 0, v31, vcc_lo
	v_cmp_eq_u32_e32 vcc_lo, s67, v14
	v_xor_b32_e32 v14, s64, v15
	v_cndmask_b32_e32 v2, v35, v2, vcc_lo
	v_cmp_ne_u32_e32 vcc_lo, 0, v13
	v_cmp_ne_u32_e64 s0, 0, v2
	v_cndmask_b32_e32 v2, v16, v32, vcc_lo
	v_cndmask_b32_e32 v13, v34, v33, vcc_lo
                                        ; implicit-def: $vgpr16
	v_cndmask_b32_e64 v2, v18, v2, s0
	v_cndmask_b32_e64 v13, v31, v13, s0
	v_xor_b32_e32 v2, v2, v14
	v_xor_b32_e32 v15, v13, v14
	v_sub_co_u32 v13, vcc_lo, v2, v14
	v_sub_co_ci_u32_e64 v14, null, v15, v14, vcc_lo
.LBB27_25:                              ;   in Loop: Header=BB27_3 Depth=1
	s_or_saveexec_b32 s0, s84
	v_cvt_f32_u32_e32 v31, s46
	s_xor_b32 exec_lo, exec_lo, s0
	s_cbranch_execz .LBB27_27
; %bb.26:                               ;   in Loop: Header=BB27_3 Depth=1
	v_rcp_iflag_f32_e32 v2, v31
	s_sub_i32 s64, 0, s46
	v_mul_f32_e32 v2, 0x4f7ffffe, v2
	v_cvt_u32_f32_e32 v2, v2
	v_mul_lo_u32 v13, s64, v2
	v_mul_hi_u32 v13, v2, v13
	v_add_nc_u32_e32 v2, v2, v13
	v_mul_hi_u32 v2, v16, v2
	v_mul_lo_u32 v13, v2, s46
	v_add_nc_u32_e32 v14, 1, v2
	v_sub_nc_u32_e32 v13, v16, v13
	v_subrev_nc_u32_e32 v15, s46, v13
	v_cmp_le_u32_e32 vcc_lo, s46, v13
	v_cndmask_b32_e32 v13, v13, v15, vcc_lo
	v_cndmask_b32_e32 v2, v2, v14, vcc_lo
	v_cmp_le_u32_e32 vcc_lo, s46, v13
	v_add_nc_u32_e32 v14, 1, v2
	v_cndmask_b32_e32 v13, v2, v14, vcc_lo
	v_mov_b32_e32 v14, v1
.LBB27_27:                              ;   in Loop: Header=BB27_3 Depth=1
	s_or_b32 exec_lo, exec_lo, s0
	v_or_b32_e32 v2, s47, v22
                                        ; implicit-def: $vgpr15_vgpr16
	s_mov_b32 s0, exec_lo
	v_cmpx_ne_u64_e32 0, v[1:2]
	s_xor_b32 s84, exec_lo, s0
	s_cbranch_execz .LBB27_29
; %bb.28:                               ;   in Loop: Header=BB27_3 Depth=1
	s_ashr_i32 s64, s47, 31
	v_add_co_u32 v16, vcc_lo, v20, v17
	s_add_u32 s66, s46, s64
	s_mov_b32 s65, s64
	s_addc_u32 s67, s47, s64
	v_add_co_ci_u32_e64 v18, null, v22, v17, vcc_lo
	s_xor_b64 s[66:67], s[66:67], s[64:65]
	v_cvt_f32_u32_e32 v2, s66
	v_cvt_f32_u32_e32 v15, s67
	s_sub_u32 s85, 0, s66
	s_subb_u32 s86, 0, s67
	v_xor_b32_e32 v18, v18, v17
	v_fmac_f32_e32 v2, 0x4f800000, v15
	v_rcp_f32_e32 v2, v2
	v_mul_f32_e32 v2, 0x5f7ffffc, v2
	v_mul_f32_e32 v15, 0x2f800000, v2
	v_trunc_f32_e32 v15, v15
	v_fmac_f32_e32 v2, 0xcf800000, v15
	v_cvt_u32_f32_e32 v15, v15
	v_cvt_u32_f32_e32 v2, v2
	v_readfirstlane_b32 s0, v15
	v_readfirstlane_b32 s65, v2
	s_mul_i32 s87, s85, s0
	v_xor_b32_e32 v2, v16, v17
	s_mul_hi_u32 s89, s85, s65
	s_mul_i32 s88, s86, s65
	s_add_i32 s87, s89, s87
	s_mul_i32 s90, s85, s65
	s_add_i32 s87, s87, s88
	s_mul_hi_u32 s89, s65, s90
	s_mul_i32 s92, s65, s87
	s_mul_hi_u32 s91, s0, s90
	s_mul_i32 s88, s0, s90
	s_mul_hi_u32 s90, s65, s87
	s_add_u32 s89, s89, s92
	s_addc_u32 s90, 0, s90
	s_mul_hi_u32 s93, s0, s87
	s_add_u32 s88, s89, s88
	s_mul_i32 s87, s0, s87
	s_addc_u32 s88, s90, s91
	s_addc_u32 s89, s93, 0
	s_add_u32 s87, s88, s87
	s_addc_u32 s88, 0, s89
	s_add_u32 s65, s65, s87
	s_cselect_b32 s87, -1, 0
	s_mul_hi_u32 s89, s85, s65
	s_cmp_lg_u32 s87, 0
	s_mul_i32 s87, s85, s65
	s_addc_u32 s0, s0, s88
	s_mul_i32 s86, s86, s65
	s_mul_i32 s85, s85, s0
	s_mul_hi_u32 s88, s65, s87
	s_add_i32 s85, s89, s85
	s_mul_hi_u32 s89, s0, s87
	s_add_i32 s85, s85, s86
	s_mul_i32 s86, s0, s87
	s_mul_i32 s91, s65, s85
	s_mul_hi_u32 s90, s65, s85
	s_add_u32 s88, s88, s91
	s_addc_u32 s90, 0, s90
	s_mul_hi_u32 s87, s0, s85
	s_add_u32 s86, s88, s86
	s_mul_i32 s85, s0, s85
	s_addc_u32 s86, s90, s89
	s_addc_u32 s87, s87, 0
	s_add_u32 s85, s86, s85
	s_addc_u32 s86, 0, s87
	s_add_u32 s65, s65, s85
	s_cselect_b32 s85, -1, 0
	v_mul_hi_u32 v20, v2, s65
	s_cmp_lg_u32 s85, 0
	v_mad_u64_u32 v[32:33], null, v18, s65, 0
	s_addc_u32 s0, s0, s86
	v_mad_u64_u32 v[15:16], null, v2, s0, 0
	v_mad_u64_u32 v[34:35], null, v18, s0, 0
	v_add_co_u32 v15, vcc_lo, v20, v15
	v_add_co_ci_u32_e64 v16, null, 0, v16, vcc_lo
	v_add_co_u32 v15, vcc_lo, v15, v32
	v_add_co_ci_u32_e32 v15, vcc_lo, v16, v33, vcc_lo
	v_add_co_ci_u32_e32 v16, vcc_lo, 0, v35, vcc_lo
	v_add_co_u32 v20, vcc_lo, v15, v34
	v_add_co_ci_u32_e64 v22, null, 0, v16, vcc_lo
	v_mul_lo_u32 v32, s67, v20
	v_mad_u64_u32 v[15:16], null, s66, v20, 0
	v_mul_lo_u32 v33, s66, v22
	v_sub_co_u32 v2, vcc_lo, v2, v15
	v_add3_u32 v16, v16, v33, v32
	v_sub_nc_u32_e32 v32, v18, v16
	v_sub_co_ci_u32_e64 v16, null, v18, v16, vcc_lo
	v_subrev_co_ci_u32_e64 v15, null, s67, v32, vcc_lo
	v_add_co_u32 v32, s0, v20, 2
	v_add_co_ci_u32_e64 v33, null, 0, v22, s0
	v_sub_co_u32 v34, s0, v2, s66
	v_subrev_co_ci_u32_e64 v15, null, 0, v15, s0
	v_cmp_le_u32_e32 vcc_lo, s66, v34
	v_cndmask_b32_e64 v18, 0, -1, vcc_lo
	v_cmp_le_u32_e32 vcc_lo, s67, v15
	v_cndmask_b32_e64 v34, 0, -1, vcc_lo
	;; [unrolled: 2-line block ×4, first 2 shown]
	v_cmp_eq_u32_e32 vcc_lo, s67, v15
	v_cndmask_b32_e32 v15, v34, v18, vcc_lo
	v_add_co_u32 v18, vcc_lo, v20, 1
	v_add_co_ci_u32_e64 v34, null, 0, v22, vcc_lo
	v_cmp_eq_u32_e32 vcc_lo, s67, v16
	v_xor_b32_e32 v16, s64, v17
	v_cndmask_b32_e32 v2, v35, v2, vcc_lo
	v_cmp_ne_u32_e32 vcc_lo, 0, v15
	v_cmp_ne_u32_e64 s0, 0, v2
	v_cndmask_b32_e32 v2, v18, v32, vcc_lo
	v_cndmask_b32_e32 v15, v34, v33, vcc_lo
	v_cndmask_b32_e64 v2, v20, v2, s0
	v_cndmask_b32_e64 v15, v22, v15, s0
                                        ; implicit-def: $vgpr20
	v_xor_b32_e32 v2, v2, v16
	v_xor_b32_e32 v17, v15, v16
	v_sub_co_u32 v15, vcc_lo, v2, v16
	v_sub_co_ci_u32_e64 v16, null, v17, v16, vcc_lo
.LBB27_29:                              ;   in Loop: Header=BB27_3 Depth=1
	s_andn2_saveexec_b32 s0, s84
	s_cbranch_execz .LBB27_31
; %bb.30:                               ;   in Loop: Header=BB27_3 Depth=1
	v_rcp_iflag_f32_e32 v2, v31
	s_sub_i32 s64, 0, s46
	v_mul_f32_e32 v2, 0x4f7ffffe, v2
	v_cvt_u32_f32_e32 v2, v2
	v_mul_lo_u32 v15, s64, v2
	v_mul_hi_u32 v15, v2, v15
	v_add_nc_u32_e32 v2, v2, v15
	v_mul_hi_u32 v2, v20, v2
	v_mul_lo_u32 v15, v2, s46
	v_add_nc_u32_e32 v16, 1, v2
	v_sub_nc_u32_e32 v15, v20, v15
	v_subrev_nc_u32_e32 v17, s46, v15
	v_cmp_le_u32_e32 vcc_lo, s46, v15
	v_cndmask_b32_e32 v15, v15, v17, vcc_lo
	v_cndmask_b32_e32 v2, v2, v16, vcc_lo
	v_cmp_le_u32_e32 vcc_lo, s46, v15
	v_add_nc_u32_e32 v16, 1, v2
	v_cndmask_b32_e32 v15, v2, v16, vcc_lo
	v_mov_b32_e32 v16, v1
.LBB27_31:                              ;   in Loop: Header=BB27_3 Depth=1
	s_or_b32 exec_lo, exec_lo, s0
	v_or_b32_e32 v2, s47, v24
                                        ; implicit-def: $vgpr17_vgpr18
	s_mov_b32 s0, exec_lo
	v_cmpx_ne_u64_e32 0, v[1:2]
	s_xor_b32 s84, exec_lo, s0
	s_cbranch_execz .LBB27_33
; %bb.32:                               ;   in Loop: Header=BB27_3 Depth=1
	s_ashr_i32 s64, s47, 31
	v_add_co_u32 v18, vcc_lo, v23, v19
	s_add_u32 s66, s46, s64
	s_mov_b32 s65, s64
	s_addc_u32 s67, s47, s64
	v_add_co_ci_u32_e64 v20, null, v24, v19, vcc_lo
	s_xor_b64 s[66:67], s[66:67], s[64:65]
	v_cvt_f32_u32_e32 v2, s66
	v_cvt_f32_u32_e32 v17, s67
	s_sub_u32 s85, 0, s66
	s_subb_u32 s86, 0, s67
	v_xor_b32_e32 v20, v20, v19
	v_fmac_f32_e32 v2, 0x4f800000, v17
	v_rcp_f32_e32 v2, v2
	v_mul_f32_e32 v2, 0x5f7ffffc, v2
	v_mul_f32_e32 v17, 0x2f800000, v2
	v_trunc_f32_e32 v17, v17
	v_fmac_f32_e32 v2, 0xcf800000, v17
	v_cvt_u32_f32_e32 v17, v17
	v_cvt_u32_f32_e32 v2, v2
	v_readfirstlane_b32 s0, v17
	v_readfirstlane_b32 s65, v2
	s_mul_i32 s87, s85, s0
	v_xor_b32_e32 v2, v18, v19
	s_mul_hi_u32 s89, s85, s65
	s_mul_i32 s88, s86, s65
	s_add_i32 s87, s89, s87
	s_mul_i32 s90, s85, s65
	s_add_i32 s87, s87, s88
	s_mul_hi_u32 s89, s65, s90
	s_mul_i32 s92, s65, s87
	s_mul_hi_u32 s91, s0, s90
	s_mul_i32 s88, s0, s90
	s_mul_hi_u32 s90, s65, s87
	s_add_u32 s89, s89, s92
	s_addc_u32 s90, 0, s90
	s_mul_hi_u32 s93, s0, s87
	s_add_u32 s88, s89, s88
	s_mul_i32 s87, s0, s87
	s_addc_u32 s88, s90, s91
	s_addc_u32 s89, s93, 0
	s_add_u32 s87, s88, s87
	s_addc_u32 s88, 0, s89
	s_add_u32 s65, s65, s87
	s_cselect_b32 s87, -1, 0
	s_mul_hi_u32 s89, s85, s65
	s_cmp_lg_u32 s87, 0
	s_mul_i32 s87, s85, s65
	s_addc_u32 s0, s0, s88
	s_mul_i32 s86, s86, s65
	s_mul_i32 s85, s85, s0
	s_mul_hi_u32 s88, s65, s87
	s_add_i32 s85, s89, s85
	s_mul_hi_u32 s89, s0, s87
	s_add_i32 s85, s85, s86
	s_mul_i32 s86, s0, s87
	s_mul_i32 s91, s65, s85
	s_mul_hi_u32 s90, s65, s85
	s_add_u32 s88, s88, s91
	s_addc_u32 s90, 0, s90
	s_mul_hi_u32 s87, s0, s85
	s_add_u32 s86, s88, s86
	s_mul_i32 s85, s0, s85
	s_addc_u32 s86, s90, s89
	s_addc_u32 s87, s87, 0
	s_add_u32 s85, s86, s85
	s_addc_u32 s86, 0, s87
	s_add_u32 s65, s65, s85
	s_cselect_b32 s85, -1, 0
	v_mul_hi_u32 v24, v2, s65
	s_cmp_lg_u32 s85, 0
	v_mad_u64_u32 v[22:23], null, v20, s65, 0
	s_addc_u32 s0, s0, s86
	v_mad_u64_u32 v[17:18], null, v2, s0, 0
	v_mad_u64_u32 v[32:33], null, v20, s0, 0
	v_add_co_u32 v17, vcc_lo, v24, v17
	v_add_co_ci_u32_e64 v18, null, 0, v18, vcc_lo
	v_add_co_u32 v17, vcc_lo, v17, v22
	v_add_co_ci_u32_e32 v17, vcc_lo, v18, v23, vcc_lo
	v_add_co_ci_u32_e32 v18, vcc_lo, 0, v33, vcc_lo
	v_add_co_u32 v22, vcc_lo, v17, v32
	v_add_co_ci_u32_e64 v23, null, 0, v18, vcc_lo
	v_mul_lo_u32 v24, s67, v22
	v_mad_u64_u32 v[17:18], null, s66, v22, 0
	v_mul_lo_u32 v32, s66, v23
	v_sub_co_u32 v2, vcc_lo, v2, v17
	v_add3_u32 v18, v18, v32, v24
	v_sub_nc_u32_e32 v24, v20, v18
	v_sub_co_ci_u32_e64 v18, null, v20, v18, vcc_lo
	v_subrev_co_ci_u32_e64 v17, null, s67, v24, vcc_lo
	v_add_co_u32 v24, s0, v22, 2
	v_add_co_ci_u32_e64 v32, null, 0, v23, s0
	v_sub_co_u32 v33, s0, v2, s66
	v_subrev_co_ci_u32_e64 v17, null, 0, v17, s0
	v_cmp_le_u32_e32 vcc_lo, s66, v33
	v_cndmask_b32_e64 v20, 0, -1, vcc_lo
	v_cmp_le_u32_e32 vcc_lo, s67, v17
	v_cndmask_b32_e64 v33, 0, -1, vcc_lo
	;; [unrolled: 2-line block ×4, first 2 shown]
	v_cmp_eq_u32_e32 vcc_lo, s67, v17
	v_cndmask_b32_e32 v17, v33, v20, vcc_lo
	v_add_co_u32 v20, vcc_lo, v22, 1
	v_add_co_ci_u32_e64 v33, null, 0, v23, vcc_lo
	v_cmp_eq_u32_e32 vcc_lo, s67, v18
	v_xor_b32_e32 v18, s64, v19
	v_cndmask_b32_e32 v2, v34, v2, vcc_lo
	v_cmp_ne_u32_e32 vcc_lo, 0, v17
	v_cmp_ne_u32_e64 s0, 0, v2
	v_cndmask_b32_e32 v2, v20, v24, vcc_lo
	v_cndmask_b32_e32 v17, v33, v32, vcc_lo
	v_cndmask_b32_e64 v2, v22, v2, s0
	v_cndmask_b32_e64 v17, v23, v17, s0
                                        ; implicit-def: $vgpr23
	v_xor_b32_e32 v2, v2, v18
	v_xor_b32_e32 v19, v17, v18
	v_sub_co_u32 v17, vcc_lo, v2, v18
	v_sub_co_ci_u32_e64 v18, null, v19, v18, vcc_lo
.LBB27_33:                              ;   in Loop: Header=BB27_3 Depth=1
	s_andn2_saveexec_b32 s0, s84
	s_cbranch_execz .LBB27_35
; %bb.34:                               ;   in Loop: Header=BB27_3 Depth=1
	v_rcp_iflag_f32_e32 v2, v31
	s_sub_i32 s64, 0, s46
	v_mul_f32_e32 v2, 0x4f7ffffe, v2
	v_cvt_u32_f32_e32 v2, v2
	v_mul_lo_u32 v17, s64, v2
	v_mul_hi_u32 v17, v2, v17
	v_add_nc_u32_e32 v2, v2, v17
	v_mul_hi_u32 v2, v23, v2
	v_mul_lo_u32 v17, v2, s46
	v_add_nc_u32_e32 v18, 1, v2
	v_sub_nc_u32_e32 v17, v23, v17
	v_subrev_nc_u32_e32 v19, s46, v17
	v_cmp_le_u32_e32 vcc_lo, s46, v17
	v_cndmask_b32_e32 v17, v17, v19, vcc_lo
	v_cndmask_b32_e32 v2, v2, v18, vcc_lo
	v_cmp_le_u32_e32 vcc_lo, s46, v17
	v_add_nc_u32_e32 v18, 1, v2
	v_cndmask_b32_e32 v17, v2, v18, vcc_lo
	v_mov_b32_e32 v18, v1
.LBB27_35:                              ;   in Loop: Header=BB27_3 Depth=1
	s_or_b32 exec_lo, exec_lo, s0
	v_or_b32_e32 v2, s47, v30
                                        ; implicit-def: $vgpr19_vgpr20
	s_mov_b32 s0, exec_lo
	v_cmpx_ne_u64_e32 0, v[1:2]
	s_xor_b32 s84, exec_lo, s0
	s_cbranch_execz .LBB27_37
; %bb.36:                               ;   in Loop: Header=BB27_3 Depth=1
	s_ashr_i32 s64, s47, 31
	v_add_co_u32 v20, vcc_lo, v29, v21
	s_add_u32 s66, s46, s64
	s_mov_b32 s65, s64
	s_addc_u32 s67, s47, s64
	v_add_co_ci_u32_e64 v22, null, v30, v21, vcc_lo
	s_xor_b64 s[66:67], s[66:67], s[64:65]
	v_cvt_f32_u32_e32 v2, s66
	v_cvt_f32_u32_e32 v19, s67
	s_sub_u32 s85, 0, s66
	s_subb_u32 s86, 0, s67
	v_xor_b32_e32 v24, v22, v21
	v_fmac_f32_e32 v2, 0x4f800000, v19
	v_rcp_f32_e32 v2, v2
	v_mul_f32_e32 v2, 0x5f7ffffc, v2
	v_mul_f32_e32 v19, 0x2f800000, v2
	v_trunc_f32_e32 v19, v19
	v_fmac_f32_e32 v2, 0xcf800000, v19
	v_cvt_u32_f32_e32 v19, v19
	v_cvt_u32_f32_e32 v2, v2
	v_readfirstlane_b32 s0, v19
	v_readfirstlane_b32 s65, v2
	s_mul_i32 s87, s85, s0
	v_xor_b32_e32 v2, v20, v21
	s_mul_hi_u32 s89, s85, s65
	s_mul_i32 s88, s86, s65
	s_add_i32 s87, s89, s87
	s_mul_i32 s90, s85, s65
	s_add_i32 s87, s87, s88
	s_mul_hi_u32 s89, s65, s90
	s_mul_i32 s92, s65, s87
	s_mul_hi_u32 s91, s0, s90
	s_mul_i32 s88, s0, s90
	s_mul_hi_u32 s90, s65, s87
	s_add_u32 s89, s89, s92
	s_addc_u32 s90, 0, s90
	s_mul_hi_u32 s93, s0, s87
	s_add_u32 s88, s89, s88
	s_mul_i32 s87, s0, s87
	s_addc_u32 s88, s90, s91
	s_addc_u32 s89, s93, 0
	s_add_u32 s87, s88, s87
	s_addc_u32 s88, 0, s89
	s_add_u32 s65, s65, s87
	s_cselect_b32 s87, -1, 0
	s_mul_hi_u32 s89, s85, s65
	s_cmp_lg_u32 s87, 0
	s_mul_i32 s87, s85, s65
	s_addc_u32 s0, s0, s88
	s_mul_i32 s86, s86, s65
	s_mul_i32 s85, s85, s0
	s_mul_hi_u32 s88, s65, s87
	s_add_i32 s85, s89, s85
	s_mul_hi_u32 s89, s0, s87
	s_add_i32 s85, s85, s86
	s_mul_i32 s86, s0, s87
	s_mul_i32 s91, s65, s85
	s_mul_hi_u32 s90, s65, s85
	s_add_u32 s88, s88, s91
	s_addc_u32 s90, 0, s90
	s_mul_hi_u32 s87, s0, s85
	s_add_u32 s86, s88, s86
	s_mul_i32 s85, s0, s85
	s_addc_u32 s86, s90, s89
	s_addc_u32 s87, s87, 0
	s_add_u32 s85, s86, s85
	s_addc_u32 s86, 0, s87
	s_add_u32 s65, s65, s85
	s_cselect_b32 s85, -1, 0
	v_mul_hi_u32 v31, v2, s65
	s_cmp_lg_u32 s85, 0
	v_mad_u64_u32 v[22:23], null, v24, s65, 0
	s_addc_u32 s0, s0, s86
	v_mad_u64_u32 v[19:20], null, v2, s0, 0
	v_mad_u64_u32 v[29:30], null, v24, s0, 0
	v_add_co_u32 v19, vcc_lo, v31, v19
	v_add_co_ci_u32_e64 v20, null, 0, v20, vcc_lo
	v_add_co_u32 v19, vcc_lo, v19, v22
	v_add_co_ci_u32_e32 v19, vcc_lo, v20, v23, vcc_lo
	v_add_co_ci_u32_e32 v20, vcc_lo, 0, v30, vcc_lo
	v_add_co_u32 v22, vcc_lo, v19, v29
	v_add_co_ci_u32_e64 v23, null, 0, v20, vcc_lo
	v_mul_lo_u32 v29, s67, v22
	v_mad_u64_u32 v[19:20], null, s66, v22, 0
	v_mul_lo_u32 v30, s66, v23
	v_sub_co_u32 v2, vcc_lo, v2, v19
	v_add3_u32 v20, v20, v30, v29
	v_sub_nc_u32_e32 v29, v24, v20
	v_sub_co_ci_u32_e64 v20, null, v24, v20, vcc_lo
	v_subrev_co_ci_u32_e64 v19, null, s67, v29, vcc_lo
	v_add_co_u32 v29, s0, v22, 2
	v_add_co_ci_u32_e64 v30, null, 0, v23, s0
	v_sub_co_u32 v31, s0, v2, s66
	v_subrev_co_ci_u32_e64 v19, null, 0, v19, s0
	v_cmp_le_u32_e32 vcc_lo, s66, v31
	v_cndmask_b32_e64 v24, 0, -1, vcc_lo
	v_cmp_le_u32_e32 vcc_lo, s67, v19
	v_cndmask_b32_e64 v31, 0, -1, vcc_lo
	;; [unrolled: 2-line block ×4, first 2 shown]
	v_cmp_eq_u32_e32 vcc_lo, s67, v19
	v_cndmask_b32_e32 v19, v31, v24, vcc_lo
	v_add_co_u32 v24, vcc_lo, v22, 1
	v_add_co_ci_u32_e64 v31, null, 0, v23, vcc_lo
	v_cmp_eq_u32_e32 vcc_lo, s67, v20
	v_xor_b32_e32 v20, s64, v21
	v_cndmask_b32_e32 v2, v32, v2, vcc_lo
	v_cmp_ne_u32_e32 vcc_lo, 0, v19
	v_cmp_ne_u32_e64 s0, 0, v2
	v_cndmask_b32_e32 v2, v24, v29, vcc_lo
	v_cndmask_b32_e32 v19, v31, v30, vcc_lo
                                        ; implicit-def: $vgpr31
                                        ; implicit-def: $vgpr29
	v_cndmask_b32_e64 v2, v22, v2, s0
	v_cndmask_b32_e64 v19, v23, v19, s0
	v_xor_b32_e32 v2, v2, v20
	v_xor_b32_e32 v21, v19, v20
	v_sub_co_u32 v19, vcc_lo, v2, v20
	v_sub_co_ci_u32_e64 v20, null, v21, v20, vcc_lo
.LBB27_37:                              ;   in Loop: Header=BB27_3 Depth=1
	s_andn2_saveexec_b32 s0, s84
	s_cbranch_execz .LBB27_39
; %bb.38:                               ;   in Loop: Header=BB27_3 Depth=1
	v_rcp_iflag_f32_e32 v2, v31
	s_sub_i32 s64, 0, s46
	v_mul_f32_e32 v2, 0x4f7ffffe, v2
	v_cvt_u32_f32_e32 v2, v2
	v_mul_lo_u32 v19, s64, v2
	v_mul_hi_u32 v19, v2, v19
	v_add_nc_u32_e32 v2, v2, v19
	v_mul_hi_u32 v2, v29, v2
	v_mul_lo_u32 v19, v2, s46
	v_add_nc_u32_e32 v20, 1, v2
	v_sub_nc_u32_e32 v19, v29, v19
	v_subrev_nc_u32_e32 v21, s46, v19
	v_cmp_le_u32_e32 vcc_lo, s46, v19
	v_cndmask_b32_e32 v19, v19, v21, vcc_lo
	v_cndmask_b32_e32 v2, v2, v20, vcc_lo
	v_cmp_le_u32_e32 vcc_lo, s46, v19
	v_add_nc_u32_e32 v20, 1, v2
	v_cndmask_b32_e32 v19, v2, v20, vcc_lo
	v_mov_b32_e32 v20, v1
.LBB27_39:                              ;   in Loop: Header=BB27_3 Depth=1
	s_or_b32 exec_lo, exec_lo, s0
	v_or_b32_e32 v2, s51, v4
                                        ; implicit-def: $vgpr21_vgpr22
	s_mov_b32 s0, exec_lo
	v_cmpx_ne_u64_e32 0, v[1:2]
	s_xor_b32 s84, exec_lo, s0
	s_cbranch_execz .LBB27_41
; %bb.40:                               ;   in Loop: Header=BB27_3 Depth=1
	s_ashr_i32 s64, s51, 31
	v_ashrrev_i32_e32 v31, 31, v4
	s_add_u32 s66, s50, s64
	s_mov_b32 s65, s64
	s_addc_u32 s67, s51, s64
	s_xor_b64 s[66:67], s[66:67], s[64:65]
	v_add_co_u32 v22, vcc_lo, v3, v31
	v_cvt_f32_u32_e32 v2, s66
	v_cvt_f32_u32_e32 v21, s67
	s_sub_u32 s85, 0, s66
	s_subb_u32 s86, 0, s67
	v_add_co_ci_u32_e64 v23, null, v4, v31, vcc_lo
	v_fmac_f32_e32 v2, 0x4f800000, v21
	v_xor_b32_e32 v32, v23, v31
	v_rcp_f32_e32 v2, v2
	v_mul_f32_e32 v2, 0x5f7ffffc, v2
	v_mul_f32_e32 v21, 0x2f800000, v2
	v_trunc_f32_e32 v21, v21
	v_fmac_f32_e32 v2, 0xcf800000, v21
	v_cvt_u32_f32_e32 v21, v21
	v_cvt_u32_f32_e32 v2, v2
	v_readfirstlane_b32 s0, v21
	v_readfirstlane_b32 s65, v2
	s_mul_i32 s87, s85, s0
	v_xor_b32_e32 v2, v22, v31
	s_mul_hi_u32 s89, s85, s65
	s_mul_i32 s88, s86, s65
	s_add_i32 s87, s89, s87
	s_mul_i32 s90, s85, s65
	s_add_i32 s87, s87, s88
	s_mul_hi_u32 s89, s65, s90
	s_mul_i32 s92, s65, s87
	s_mul_hi_u32 s91, s0, s90
	s_mul_i32 s88, s0, s90
	s_mul_hi_u32 s90, s65, s87
	s_add_u32 s89, s89, s92
	s_addc_u32 s90, 0, s90
	s_mul_hi_u32 s93, s0, s87
	s_add_u32 s88, s89, s88
	s_mul_i32 s87, s0, s87
	s_addc_u32 s88, s90, s91
	s_addc_u32 s89, s93, 0
	s_add_u32 s87, s88, s87
	s_addc_u32 s88, 0, s89
	s_add_u32 s65, s65, s87
	s_cselect_b32 s87, -1, 0
	s_mul_hi_u32 s89, s85, s65
	s_cmp_lg_u32 s87, 0
	s_mul_i32 s87, s85, s65
	s_addc_u32 s0, s0, s88
	s_mul_i32 s86, s86, s65
	s_mul_i32 s85, s85, s0
	s_mul_hi_u32 s88, s65, s87
	s_add_i32 s85, s89, s85
	s_mul_hi_u32 s89, s0, s87
	s_add_i32 s85, s85, s86
	s_mul_i32 s86, s0, s87
	s_mul_i32 s91, s65, s85
	s_mul_hi_u32 s90, s65, s85
	s_add_u32 s88, s88, s91
	s_addc_u32 s90, 0, s90
	s_mul_hi_u32 s87, s0, s85
	s_add_u32 s86, s88, s86
	s_mul_i32 s85, s0, s85
	s_addc_u32 s86, s90, s89
	s_addc_u32 s87, s87, 0
	s_add_u32 s85, s86, s85
	s_addc_u32 s86, 0, s87
	s_add_u32 s65, s65, s85
	s_cselect_b32 s85, -1, 0
	v_mul_hi_u32 v33, v2, s65
	s_cmp_lg_u32 s85, 0
	v_mad_u64_u32 v[23:24], null, v32, s65, 0
	s_addc_u32 s0, s0, s86
	v_mad_u64_u32 v[21:22], null, v2, s0, 0
	v_mad_u64_u32 v[29:30], null, v32, s0, 0
	v_add_co_u32 v21, vcc_lo, v33, v21
	v_add_co_ci_u32_e64 v22, null, 0, v22, vcc_lo
	v_add_co_u32 v21, vcc_lo, v21, v23
	v_add_co_ci_u32_e32 v21, vcc_lo, v22, v24, vcc_lo
	v_add_co_ci_u32_e32 v22, vcc_lo, 0, v30, vcc_lo
	v_add_co_u32 v23, vcc_lo, v21, v29
	v_add_co_ci_u32_e64 v24, null, 0, v22, vcc_lo
	v_mul_lo_u32 v29, s67, v23
	v_mad_u64_u32 v[21:22], null, s66, v23, 0
	v_mul_lo_u32 v30, s66, v24
	v_sub_co_u32 v2, vcc_lo, v2, v21
	v_add3_u32 v22, v22, v30, v29
	v_sub_nc_u32_e32 v29, v32, v22
	v_sub_co_ci_u32_e64 v22, null, v32, v22, vcc_lo
	v_subrev_co_ci_u32_e64 v21, null, s67, v29, vcc_lo
	v_add_co_u32 v29, s0, v23, 2
	v_add_co_ci_u32_e64 v30, null, 0, v24, s0
	v_sub_co_u32 v33, s0, v2, s66
	v_subrev_co_ci_u32_e64 v21, null, 0, v21, s0
	v_cmp_le_u32_e32 vcc_lo, s66, v33
	v_cndmask_b32_e64 v32, 0, -1, vcc_lo
	v_cmp_le_u32_e32 vcc_lo, s67, v21
	v_cndmask_b32_e64 v33, 0, -1, vcc_lo
	;; [unrolled: 2-line block ×4, first 2 shown]
	v_cmp_eq_u32_e32 vcc_lo, s67, v21
	v_cndmask_b32_e32 v21, v33, v32, vcc_lo
	v_add_co_u32 v32, vcc_lo, v23, 1
	v_add_co_ci_u32_e64 v33, null, 0, v24, vcc_lo
	v_cmp_eq_u32_e32 vcc_lo, s67, v22
	v_xor_b32_e32 v22, s64, v31
	v_cndmask_b32_e32 v2, v34, v2, vcc_lo
	v_cmp_ne_u32_e32 vcc_lo, 0, v21
	v_cmp_ne_u32_e64 s0, 0, v2
	v_cndmask_b32_e32 v2, v32, v29, vcc_lo
	v_cndmask_b32_e32 v21, v33, v30, vcc_lo
	v_cndmask_b32_e64 v2, v23, v2, s0
	v_cndmask_b32_e64 v21, v24, v21, s0
	v_xor_b32_e32 v2, v2, v22
	v_xor_b32_e32 v23, v21, v22
	v_sub_co_u32 v21, vcc_lo, v2, v22
	v_sub_co_ci_u32_e64 v22, null, v23, v22, vcc_lo
.LBB27_41:                              ;   in Loop: Header=BB27_3 Depth=1
	s_andn2_saveexec_b32 s0, s84
	s_cbranch_execz .LBB27_43
; %bb.42:                               ;   in Loop: Header=BB27_3 Depth=1
	v_cvt_f32_u32_e32 v2, s50
	s_sub_i32 s64, 0, s50
	v_rcp_iflag_f32_e32 v2, v2
	v_mul_f32_e32 v2, 0x4f7ffffe, v2
	v_cvt_u32_f32_e32 v2, v2
	v_mul_lo_u32 v21, s64, v2
	v_mul_hi_u32 v21, v2, v21
	v_add_nc_u32_e32 v2, v2, v21
	v_mul_hi_u32 v2, v3, v2
	v_mul_lo_u32 v21, v2, s50
	v_add_nc_u32_e32 v22, 1, v2
	v_sub_nc_u32_e32 v21, v3, v21
	v_subrev_nc_u32_e32 v23, s50, v21
	v_cmp_le_u32_e32 vcc_lo, s50, v21
	v_cndmask_b32_e32 v21, v21, v23, vcc_lo
	v_cndmask_b32_e32 v2, v2, v22, vcc_lo
	v_cmp_le_u32_e32 vcc_lo, s50, v21
	v_add_nc_u32_e32 v22, 1, v2
	v_cndmask_b32_e32 v21, v2, v22, vcc_lo
	v_mov_b32_e32 v22, v1
.LBB27_43:                              ;   in Loop: Header=BB27_3 Depth=1
	s_or_b32 exec_lo, exec_lo, s0
	v_mad_u64_u32 v[23:24], null, s72, v21, v[3:4]
	v_mul_lo_u32 v2, s72, v22
	v_mul_lo_u32 v29, s73, v21
	;; [unrolled: 1-line block ×4, first 2 shown]
	v_mad_u64_u32 v[21:22], null, v21, s24, 0
	s_mov_b32 s0, exec_lo
	v_add3_u32 v2, v29, v24, v2
	v_mul_lo_u32 v29, v23, s27
	v_mad_u64_u32 v[23:24], null, v23, s26, 0
	v_add3_u32 v22, v22, v31, v30
	v_mul_lo_u32 v2, v2, s26
	v_lshlrev_b64 v[21:22], 1, v[21:22]
	v_add3_u32 v24, v24, v29, v2
	v_add_co_u32 v2, vcc_lo, s48, v21
	v_add_co_ci_u32_e64 v22, null, s49, v22, vcc_lo
	v_lshlrev_b64 v[23:24], 1, v[23:24]
	v_add_co_u32 v21, vcc_lo, v2, v23
	v_add_co_ci_u32_e64 v22, null, v22, v24, vcc_lo
	v_or_b32_e32 v2, s55, v4
	global_load_ushort v29, v[21:22], off
                                        ; implicit-def: $vgpr21_vgpr22
	v_cmpx_ne_u64_e32 0, v[1:2]
	s_xor_b32 s84, exec_lo, s0
	s_cbranch_execz .LBB27_45
; %bb.44:                               ;   in Loop: Header=BB27_3 Depth=1
	s_ashr_i32 s64, s55, 31
	v_ashrrev_i32_e32 v32, 31, v4
	s_add_u32 s66, s54, s64
	s_mov_b32 s65, s64
	s_addc_u32 s67, s55, s64
	s_xor_b64 s[66:67], s[66:67], s[64:65]
	v_add_co_u32 v22, vcc_lo, v3, v32
	v_cvt_f32_u32_e32 v2, s66
	v_cvt_f32_u32_e32 v21, s67
	s_sub_u32 s85, 0, s66
	s_subb_u32 s86, 0, s67
	v_add_co_ci_u32_e64 v23, null, v4, v32, vcc_lo
	v_fmac_f32_e32 v2, 0x4f800000, v21
	v_xor_b32_e32 v33, v23, v32
	v_rcp_f32_e32 v2, v2
	v_mul_f32_e32 v2, 0x5f7ffffc, v2
	v_mul_f32_e32 v21, 0x2f800000, v2
	v_trunc_f32_e32 v21, v21
	v_fmac_f32_e32 v2, 0xcf800000, v21
	v_cvt_u32_f32_e32 v21, v21
	v_cvt_u32_f32_e32 v2, v2
	v_readfirstlane_b32 s0, v21
	v_readfirstlane_b32 s65, v2
	s_mul_i32 s87, s85, s0
	v_xor_b32_e32 v2, v22, v32
	s_mul_hi_u32 s89, s85, s65
	s_mul_i32 s88, s86, s65
	s_add_i32 s87, s89, s87
	s_mul_i32 s90, s85, s65
	s_add_i32 s87, s87, s88
	s_mul_hi_u32 s89, s65, s90
	s_mul_i32 s92, s65, s87
	s_mul_hi_u32 s91, s0, s90
	s_mul_i32 s88, s0, s90
	s_mul_hi_u32 s90, s65, s87
	s_add_u32 s89, s89, s92
	s_addc_u32 s90, 0, s90
	s_mul_hi_u32 s93, s0, s87
	s_add_u32 s88, s89, s88
	s_mul_i32 s87, s0, s87
	s_addc_u32 s88, s90, s91
	s_addc_u32 s89, s93, 0
	s_add_u32 s87, s88, s87
	s_addc_u32 s88, 0, s89
	s_add_u32 s65, s65, s87
	s_cselect_b32 s87, -1, 0
	s_mul_hi_u32 s89, s85, s65
	s_cmp_lg_u32 s87, 0
	s_mul_i32 s87, s85, s65
	s_addc_u32 s0, s0, s88
	s_mul_i32 s86, s86, s65
	s_mul_i32 s85, s85, s0
	s_mul_hi_u32 s88, s65, s87
	s_add_i32 s85, s89, s85
	s_mul_hi_u32 s89, s0, s87
	s_add_i32 s85, s85, s86
	s_mul_i32 s86, s0, s87
	s_mul_i32 s91, s65, s85
	s_mul_hi_u32 s90, s65, s85
	s_add_u32 s88, s88, s91
	s_addc_u32 s90, 0, s90
	s_mul_hi_u32 s87, s0, s85
	s_add_u32 s86, s88, s86
	s_mul_i32 s85, s0, s85
	s_addc_u32 s86, s90, s89
	s_addc_u32 s87, s87, 0
	s_add_u32 s85, s86, s85
	s_addc_u32 s86, 0, s87
	s_add_u32 s65, s65, s85
	s_cselect_b32 s85, -1, 0
	v_mul_hi_u32 v34, v2, s65
	s_cmp_lg_u32 s85, 0
	v_mad_u64_u32 v[23:24], null, v33, s65, 0
	s_addc_u32 s0, s0, s86
	v_mad_u64_u32 v[21:22], null, v2, s0, 0
	v_mad_u64_u32 v[30:31], null, v33, s0, 0
	v_add_co_u32 v21, vcc_lo, v34, v21
	v_add_co_ci_u32_e64 v22, null, 0, v22, vcc_lo
	v_add_co_u32 v21, vcc_lo, v21, v23
	v_add_co_ci_u32_e32 v21, vcc_lo, v22, v24, vcc_lo
	v_add_co_ci_u32_e32 v22, vcc_lo, 0, v31, vcc_lo
	v_add_co_u32 v23, vcc_lo, v21, v30
	v_add_co_ci_u32_e64 v24, null, 0, v22, vcc_lo
	v_mul_lo_u32 v30, s67, v23
	v_mad_u64_u32 v[21:22], null, s66, v23, 0
	v_mul_lo_u32 v31, s66, v24
	v_sub_co_u32 v2, vcc_lo, v2, v21
	v_add3_u32 v22, v22, v31, v30
	v_sub_nc_u32_e32 v30, v33, v22
	v_sub_co_ci_u32_e64 v22, null, v33, v22, vcc_lo
	v_subrev_co_ci_u32_e64 v21, null, s67, v30, vcc_lo
	v_add_co_u32 v30, s0, v23, 2
	v_add_co_ci_u32_e64 v31, null, 0, v24, s0
	v_sub_co_u32 v34, s0, v2, s66
	v_subrev_co_ci_u32_e64 v21, null, 0, v21, s0
	v_cmp_le_u32_e32 vcc_lo, s66, v34
	v_cndmask_b32_e64 v33, 0, -1, vcc_lo
	v_cmp_le_u32_e32 vcc_lo, s67, v21
	v_cndmask_b32_e64 v34, 0, -1, vcc_lo
	;; [unrolled: 2-line block ×4, first 2 shown]
	v_cmp_eq_u32_e32 vcc_lo, s67, v21
	v_cndmask_b32_e32 v21, v34, v33, vcc_lo
	v_add_co_u32 v33, vcc_lo, v23, 1
	v_add_co_ci_u32_e64 v34, null, 0, v24, vcc_lo
	v_cmp_eq_u32_e32 vcc_lo, s67, v22
	v_xor_b32_e32 v22, s64, v32
	v_cndmask_b32_e32 v2, v35, v2, vcc_lo
	v_cmp_ne_u32_e32 vcc_lo, 0, v21
	v_cmp_ne_u32_e64 s0, 0, v2
	v_cndmask_b32_e32 v2, v33, v30, vcc_lo
	v_cndmask_b32_e32 v21, v34, v31, vcc_lo
	v_cndmask_b32_e64 v2, v23, v2, s0
	v_cndmask_b32_e64 v21, v24, v21, s0
	v_xor_b32_e32 v2, v2, v22
	v_xor_b32_e32 v23, v21, v22
	v_sub_co_u32 v21, vcc_lo, v2, v22
	v_sub_co_ci_u32_e64 v22, null, v23, v22, vcc_lo
.LBB27_45:                              ;   in Loop: Header=BB27_3 Depth=1
	s_andn2_saveexec_b32 s0, s84
	s_cbranch_execz .LBB27_47
; %bb.46:                               ;   in Loop: Header=BB27_3 Depth=1
	v_cvt_f32_u32_e32 v2, s54
	s_sub_i32 s64, 0, s54
	v_rcp_iflag_f32_e32 v2, v2
	v_mul_f32_e32 v2, 0x4f7ffffe, v2
	v_cvt_u32_f32_e32 v2, v2
	v_mul_lo_u32 v21, s64, v2
	v_mul_hi_u32 v21, v2, v21
	v_add_nc_u32_e32 v2, v2, v21
	v_mul_hi_u32 v2, v3, v2
	v_mul_lo_u32 v21, v2, s54
	v_add_nc_u32_e32 v22, 1, v2
	v_sub_nc_u32_e32 v21, v3, v21
	v_subrev_nc_u32_e32 v23, s54, v21
	v_cmp_le_u32_e32 vcc_lo, s54, v21
	v_cndmask_b32_e32 v21, v21, v23, vcc_lo
	v_cndmask_b32_e32 v2, v2, v22, vcc_lo
	v_cmp_le_u32_e32 vcc_lo, s54, v21
	v_add_nc_u32_e32 v22, 1, v2
	v_cndmask_b32_e32 v21, v2, v22, vcc_lo
	v_mov_b32_e32 v22, v1
.LBB27_47:                              ;   in Loop: Header=BB27_3 Depth=1
	s_or_b32 exec_lo, exec_lo, s0
	v_mad_u64_u32 v[23:24], null, s74, v21, v[3:4]
	v_mul_lo_u32 v2, s74, v22
	v_mul_lo_u32 v30, s75, v21
	;; [unrolled: 1-line block ×4, first 2 shown]
	v_mad_u64_u32 v[21:22], null, v21, s28, 0
	s_mov_b32 s0, exec_lo
	v_add3_u32 v2, v30, v24, v2
	v_mul_lo_u32 v30, v23, s31
	v_mad_u64_u32 v[23:24], null, v23, s30, 0
	v_add3_u32 v22, v22, v32, v31
	v_mul_lo_u32 v2, v2, s30
	v_lshlrev_b64 v[21:22], 1, v[21:22]
	v_add3_u32 v24, v24, v30, v2
	v_add_co_u32 v2, vcc_lo, s52, v21
	v_add_co_ci_u32_e64 v22, null, s53, v22, vcc_lo
	v_lshlrev_b64 v[23:24], 1, v[23:24]
	v_add_co_u32 v21, vcc_lo, v2, v23
	v_add_co_ci_u32_e64 v22, null, v22, v24, vcc_lo
	v_or_b32_e32 v2, s61, v4
	global_load_ushort v30, v[21:22], off
                                        ; implicit-def: $vgpr21_vgpr22
	v_cmpx_ne_u64_e32 0, v[1:2]
	s_xor_b32 s84, exec_lo, s0
	s_cbranch_execnz .LBB27_60
; %bb.48:                               ;   in Loop: Header=BB27_3 Depth=1
	s_andn2_saveexec_b32 s0, s84
	s_cbranch_execnz .LBB27_61
.LBB27_49:                              ;   in Loop: Header=BB27_3 Depth=1
	s_or_b32 exec_lo, exec_lo, s0
	s_andn2_b32 vcc_lo, exec_lo, s1
	s_cbranch_vccnz .LBB27_62
.LBB27_50:                              ;   in Loop: Header=BB27_3 Depth=1
	v_or_b32_e32 v2, s57, v4
                                        ; implicit-def: $vgpr23_vgpr24
	s_mov_b32 s0, exec_lo
	v_cmpx_ne_u64_e32 0, v[1:2]
	s_xor_b32 s84, exec_lo, s0
	s_cbranch_execz .LBB27_52
; %bb.51:                               ;   in Loop: Header=BB27_3 Depth=1
	s_ashr_i32 s64, s57, 31
	v_ashrrev_i32_e32 v35, 31, v4
	s_add_u32 s66, s56, s64
	s_mov_b32 s65, s64
	s_addc_u32 s67, s57, s64
	s_xor_b64 s[66:67], s[66:67], s[64:65]
	v_add_co_u32 v24, vcc_lo, v3, v35
	v_cvt_f32_u32_e32 v2, s66
	v_cvt_f32_u32_e32 v23, s67
	s_sub_u32 s85, 0, s66
	s_subb_u32 s86, 0, s67
	v_add_co_ci_u32_e64 v31, null, v4, v35, vcc_lo
	v_fmac_f32_e32 v2, 0x4f800000, v23
	v_xor_b32_e32 v36, v31, v35
	v_rcp_f32_e32 v2, v2
	v_mul_f32_e32 v2, 0x5f7ffffc, v2
	v_mul_f32_e32 v23, 0x2f800000, v2
	v_trunc_f32_e32 v23, v23
	v_fmac_f32_e32 v2, 0xcf800000, v23
	v_cvt_u32_f32_e32 v23, v23
	v_cvt_u32_f32_e32 v2, v2
	v_readfirstlane_b32 s0, v23
	v_readfirstlane_b32 s65, v2
	s_mul_i32 s87, s85, s0
	v_xor_b32_e32 v2, v24, v35
	s_mul_hi_u32 s89, s85, s65
	s_mul_i32 s88, s86, s65
	s_add_i32 s87, s89, s87
	s_mul_i32 s90, s85, s65
	s_add_i32 s87, s87, s88
	s_mul_hi_u32 s89, s65, s90
	s_mul_i32 s92, s65, s87
	s_mul_hi_u32 s91, s0, s90
	s_mul_i32 s88, s0, s90
	s_mul_hi_u32 s90, s65, s87
	s_add_u32 s89, s89, s92
	s_addc_u32 s90, 0, s90
	s_mul_hi_u32 s93, s0, s87
	s_add_u32 s88, s89, s88
	s_mul_i32 s87, s0, s87
	s_addc_u32 s88, s90, s91
	s_addc_u32 s89, s93, 0
	s_add_u32 s87, s88, s87
	s_addc_u32 s88, 0, s89
	s_add_u32 s65, s65, s87
	s_cselect_b32 s87, -1, 0
	s_mul_hi_u32 s89, s85, s65
	s_cmp_lg_u32 s87, 0
	s_mul_i32 s87, s85, s65
	s_addc_u32 s0, s0, s88
	s_mul_i32 s86, s86, s65
	s_mul_i32 s85, s85, s0
	s_mul_hi_u32 s88, s65, s87
	s_add_i32 s85, s89, s85
	s_mul_hi_u32 s89, s0, s87
	s_add_i32 s85, s85, s86
	s_mul_i32 s86, s0, s87
	s_mul_i32 s91, s65, s85
	s_mul_hi_u32 s90, s65, s85
	s_add_u32 s88, s88, s91
	s_addc_u32 s90, 0, s90
	s_mul_hi_u32 s87, s0, s85
	s_add_u32 s86, s88, s86
	s_mul_i32 s85, s0, s85
	s_addc_u32 s86, s90, s89
	s_addc_u32 s87, s87, 0
	s_add_u32 s85, s86, s85
	s_addc_u32 s86, 0, s87
	s_add_u32 s65, s65, s85
	s_cselect_b32 s85, -1, 0
	v_mul_hi_u32 v37, v2, s65
	s_cmp_lg_u32 s85, 0
	v_mad_u64_u32 v[31:32], null, v36, s65, 0
	s_addc_u32 s0, s0, s86
	v_mad_u64_u32 v[23:24], null, v2, s0, 0
	v_mad_u64_u32 v[33:34], null, v36, s0, 0
	v_add_co_u32 v23, vcc_lo, v37, v23
	v_add_co_ci_u32_e64 v24, null, 0, v24, vcc_lo
	v_add_co_u32 v23, vcc_lo, v23, v31
	v_add_co_ci_u32_e32 v23, vcc_lo, v24, v32, vcc_lo
	v_add_co_ci_u32_e32 v24, vcc_lo, 0, v34, vcc_lo
	v_add_co_u32 v31, vcc_lo, v23, v33
	v_add_co_ci_u32_e64 v32, null, 0, v24, vcc_lo
	v_mul_lo_u32 v33, s67, v31
	v_mad_u64_u32 v[23:24], null, s66, v31, 0
	v_mul_lo_u32 v34, s66, v32
	v_sub_co_u32 v2, vcc_lo, v2, v23
	v_add3_u32 v24, v24, v34, v33
	v_sub_nc_u32_e32 v33, v36, v24
	v_sub_co_ci_u32_e64 v24, null, v36, v24, vcc_lo
	v_subrev_co_ci_u32_e64 v23, null, s67, v33, vcc_lo
	v_add_co_u32 v33, s0, v31, 2
	v_add_co_ci_u32_e64 v34, null, 0, v32, s0
	v_sub_co_u32 v37, s0, v2, s66
	v_subrev_co_ci_u32_e64 v23, null, 0, v23, s0
	v_cmp_le_u32_e32 vcc_lo, s66, v37
	v_cndmask_b32_e64 v36, 0, -1, vcc_lo
	v_cmp_le_u32_e32 vcc_lo, s67, v23
	v_cndmask_b32_e64 v37, 0, -1, vcc_lo
	;; [unrolled: 2-line block ×4, first 2 shown]
	v_cmp_eq_u32_e32 vcc_lo, s67, v23
	v_cndmask_b32_e32 v23, v37, v36, vcc_lo
	v_add_co_u32 v36, vcc_lo, v31, 1
	v_add_co_ci_u32_e64 v37, null, 0, v32, vcc_lo
	v_cmp_eq_u32_e32 vcc_lo, s67, v24
	v_xor_b32_e32 v24, s64, v35
	v_cndmask_b32_e32 v2, v38, v2, vcc_lo
	v_cmp_ne_u32_e32 vcc_lo, 0, v23
	v_cmp_ne_u32_e64 s0, 0, v2
	v_cndmask_b32_e32 v2, v36, v33, vcc_lo
	v_cndmask_b32_e32 v23, v37, v34, vcc_lo
	v_cndmask_b32_e64 v2, v31, v2, s0
	v_cndmask_b32_e64 v23, v32, v23, s0
	v_xor_b32_e32 v2, v2, v24
	v_xor_b32_e32 v31, v23, v24
	v_sub_co_u32 v23, vcc_lo, v2, v24
	v_sub_co_ci_u32_e64 v24, null, v31, v24, vcc_lo
.LBB27_52:                              ;   in Loop: Header=BB27_3 Depth=1
	s_andn2_saveexec_b32 s0, s84
	s_cbranch_execz .LBB27_54
; %bb.53:                               ;   in Loop: Header=BB27_3 Depth=1
	v_cvt_f32_u32_e32 v2, s56
	s_sub_i32 s64, 0, s56
	v_rcp_iflag_f32_e32 v2, v2
	v_mul_f32_e32 v2, 0x4f7ffffe, v2
	v_cvt_u32_f32_e32 v2, v2
	v_mul_lo_u32 v23, s64, v2
	v_mul_hi_u32 v23, v2, v23
	v_add_nc_u32_e32 v2, v2, v23
	v_mul_hi_u32 v2, v3, v2
	v_mul_lo_u32 v23, v2, s56
	v_add_nc_u32_e32 v24, 1, v2
	v_sub_nc_u32_e32 v23, v3, v23
	v_subrev_nc_u32_e32 v31, s56, v23
	v_cmp_le_u32_e32 vcc_lo, s56, v23
	v_cndmask_b32_e32 v23, v23, v31, vcc_lo
	v_cndmask_b32_e32 v2, v2, v24, vcc_lo
	v_cmp_le_u32_e32 vcc_lo, s56, v23
	v_add_nc_u32_e32 v24, 1, v2
	v_cndmask_b32_e32 v23, v2, v24, vcc_lo
	v_mov_b32_e32 v24, v1
.LBB27_54:                              ;   in Loop: Header=BB27_3 Depth=1
	s_or_b32 exec_lo, exec_lo, s0
	v_mad_u64_u32 v[31:32], null, s78, v23, v[3:4]
	v_mul_lo_u32 v2, s78, v24
	v_mul_lo_u32 v33, s79, v23
	;; [unrolled: 1-line block ×4, first 2 shown]
	v_mad_u64_u32 v[23:24], null, v23, s12, 0
	v_add3_u32 v2, v33, v32, v2
	v_mul_lo_u32 v33, v31, s15
	v_mad_u64_u32 v[31:32], null, v31, s14, 0
	v_add3_u32 v24, v24, v35, v34
	v_mul_lo_u32 v2, v2, s14
	v_lshlrev_b64 v[23:24], 1, v[23:24]
	v_add3_u32 v32, v32, v33, v2
	v_add_co_u32 v2, vcc_lo, s2, v23
	v_add_co_ci_u32_e64 v24, null, s3, v24, vcc_lo
	v_lshlrev_b64 v[31:32], 1, v[31:32]
	v_add_co_u32 v23, vcc_lo, v2, v31
	v_add_co_ci_u32_e64 v24, null, v24, v32, vcc_lo
	global_load_ushort v2, v[23:24], off
	s_waitcnt vmcnt(0)
	v_cvt_f32_f16_e32 v31, v2
	s_andn2_b32 vcc_lo, exec_lo, s33
	s_cbranch_vccnz .LBB27_63
.LBB27_55:                              ;   in Loop: Header=BB27_3 Depth=1
	v_or_b32_e32 v2, s63, v4
                                        ; implicit-def: $vgpr23_vgpr24
	s_mov_b32 s0, exec_lo
	v_cmpx_ne_u64_e32 0, v[1:2]
	s_xor_b32 s84, exec_lo, s0
	s_cbranch_execz .LBB27_57
; %bb.56:                               ;   in Loop: Header=BB27_3 Depth=1
	s_ashr_i32 s64, s63, 31
	v_ashrrev_i32_e32 v36, 31, v4
	s_add_u32 s66, s62, s64
	s_mov_b32 s65, s64
	s_addc_u32 s67, s63, s64
	s_xor_b64 s[66:67], s[66:67], s[64:65]
	v_add_co_u32 v24, vcc_lo, v3, v36
	v_cvt_f32_u32_e32 v2, s66
	v_cvt_f32_u32_e32 v23, s67
	s_sub_u32 s85, 0, s66
	s_subb_u32 s86, 0, s67
	v_add_co_ci_u32_e64 v32, null, v4, v36, vcc_lo
	v_fmac_f32_e32 v2, 0x4f800000, v23
	v_xor_b32_e32 v37, v32, v36
	v_rcp_f32_e32 v2, v2
	v_mul_f32_e32 v2, 0x5f7ffffc, v2
	v_mul_f32_e32 v23, 0x2f800000, v2
	v_trunc_f32_e32 v23, v23
	v_fmac_f32_e32 v2, 0xcf800000, v23
	v_cvt_u32_f32_e32 v23, v23
	v_cvt_u32_f32_e32 v2, v2
	v_readfirstlane_b32 s0, v23
	v_readfirstlane_b32 s65, v2
	s_mul_i32 s87, s85, s0
	v_xor_b32_e32 v2, v24, v36
	s_mul_hi_u32 s89, s85, s65
	s_mul_i32 s88, s86, s65
	s_add_i32 s87, s89, s87
	s_mul_i32 s90, s85, s65
	s_add_i32 s87, s87, s88
	s_mul_hi_u32 s89, s65, s90
	s_mul_i32 s92, s65, s87
	s_mul_hi_u32 s91, s0, s90
	s_mul_i32 s88, s0, s90
	s_mul_hi_u32 s90, s65, s87
	s_add_u32 s89, s89, s92
	s_addc_u32 s90, 0, s90
	s_mul_hi_u32 s93, s0, s87
	s_add_u32 s88, s89, s88
	s_mul_i32 s87, s0, s87
	s_addc_u32 s88, s90, s91
	s_addc_u32 s89, s93, 0
	s_add_u32 s87, s88, s87
	s_addc_u32 s88, 0, s89
	s_add_u32 s65, s65, s87
	s_cselect_b32 s87, -1, 0
	s_mul_hi_u32 s89, s85, s65
	s_cmp_lg_u32 s87, 0
	s_mul_i32 s87, s85, s65
	s_addc_u32 s0, s0, s88
	s_mul_i32 s86, s86, s65
	s_mul_i32 s85, s85, s0
	s_mul_hi_u32 s88, s65, s87
	s_add_i32 s85, s89, s85
	s_mul_hi_u32 s89, s0, s87
	s_add_i32 s85, s85, s86
	s_mul_i32 s86, s0, s87
	s_mul_i32 s91, s65, s85
	s_mul_hi_u32 s90, s65, s85
	s_add_u32 s88, s88, s91
	s_addc_u32 s90, 0, s90
	s_mul_hi_u32 s87, s0, s85
	s_add_u32 s86, s88, s86
	s_mul_i32 s85, s0, s85
	s_addc_u32 s86, s90, s89
	s_addc_u32 s87, s87, 0
	s_add_u32 s85, s86, s85
	s_addc_u32 s86, 0, s87
	s_add_u32 s65, s65, s85
	s_cselect_b32 s85, -1, 0
	v_mul_hi_u32 v38, v2, s65
	s_cmp_lg_u32 s85, 0
	v_mad_u64_u32 v[32:33], null, v37, s65, 0
	s_addc_u32 s0, s0, s86
	v_mad_u64_u32 v[23:24], null, v2, s0, 0
	v_mad_u64_u32 v[34:35], null, v37, s0, 0
	v_add_co_u32 v23, vcc_lo, v38, v23
	v_add_co_ci_u32_e64 v24, null, 0, v24, vcc_lo
	v_add_co_u32 v23, vcc_lo, v23, v32
	v_add_co_ci_u32_e32 v23, vcc_lo, v24, v33, vcc_lo
	v_add_co_ci_u32_e32 v24, vcc_lo, 0, v35, vcc_lo
	v_add_co_u32 v32, vcc_lo, v23, v34
	v_add_co_ci_u32_e64 v33, null, 0, v24, vcc_lo
	v_mul_lo_u32 v34, s67, v32
	v_mad_u64_u32 v[23:24], null, s66, v32, 0
	v_mul_lo_u32 v35, s66, v33
	v_sub_co_u32 v2, vcc_lo, v2, v23
	v_add3_u32 v24, v24, v35, v34
	v_sub_nc_u32_e32 v34, v37, v24
	v_sub_co_ci_u32_e64 v24, null, v37, v24, vcc_lo
	v_subrev_co_ci_u32_e64 v23, null, s67, v34, vcc_lo
	v_add_co_u32 v34, s0, v32, 2
	v_add_co_ci_u32_e64 v35, null, 0, v33, s0
	v_sub_co_u32 v38, s0, v2, s66
	v_subrev_co_ci_u32_e64 v23, null, 0, v23, s0
	v_cmp_le_u32_e32 vcc_lo, s66, v38
	v_cndmask_b32_e64 v37, 0, -1, vcc_lo
	v_cmp_le_u32_e32 vcc_lo, s67, v23
	v_cndmask_b32_e64 v38, 0, -1, vcc_lo
	;; [unrolled: 2-line block ×4, first 2 shown]
	v_cmp_eq_u32_e32 vcc_lo, s67, v23
	v_cndmask_b32_e32 v23, v38, v37, vcc_lo
	v_add_co_u32 v37, vcc_lo, v32, 1
	v_add_co_ci_u32_e64 v38, null, 0, v33, vcc_lo
	v_cmp_eq_u32_e32 vcc_lo, s67, v24
	v_xor_b32_e32 v24, s64, v36
	v_cndmask_b32_e32 v2, v39, v2, vcc_lo
	v_cmp_ne_u32_e32 vcc_lo, 0, v23
	v_cmp_ne_u32_e64 s0, 0, v2
	v_cndmask_b32_e32 v2, v37, v34, vcc_lo
	v_cndmask_b32_e32 v23, v38, v35, vcc_lo
	v_cndmask_b32_e64 v2, v32, v2, s0
	v_cndmask_b32_e64 v23, v33, v23, s0
	v_xor_b32_e32 v2, v2, v24
	v_xor_b32_e32 v32, v23, v24
	v_sub_co_u32 v23, vcc_lo, v2, v24
	v_sub_co_ci_u32_e64 v24, null, v32, v24, vcc_lo
.LBB27_57:                              ;   in Loop: Header=BB27_3 Depth=1
	s_andn2_saveexec_b32 s0, s84
	s_cbranch_execz .LBB27_59
; %bb.58:                               ;   in Loop: Header=BB27_3 Depth=1
	v_cvt_f32_u32_e32 v2, s62
	s_sub_i32 s64, 0, s62
	v_rcp_iflag_f32_e32 v2, v2
	v_mul_f32_e32 v2, 0x4f7ffffe, v2
	v_cvt_u32_f32_e32 v2, v2
	v_mul_lo_u32 v23, s64, v2
	v_mul_hi_u32 v23, v2, v23
	v_add_nc_u32_e32 v2, v2, v23
	v_mul_hi_u32 v2, v3, v2
	v_mul_lo_u32 v23, v2, s62
	v_add_nc_u32_e32 v24, 1, v2
	v_sub_nc_u32_e32 v23, v3, v23
	v_subrev_nc_u32_e32 v32, s62, v23
	v_cmp_le_u32_e32 vcc_lo, s62, v23
	v_cndmask_b32_e32 v23, v23, v32, vcc_lo
	v_cndmask_b32_e32 v2, v2, v24, vcc_lo
	v_cmp_le_u32_e32 vcc_lo, s62, v23
	v_add_nc_u32_e32 v24, 1, v2
	v_cndmask_b32_e32 v23, v2, v24, vcc_lo
	v_mov_b32_e32 v24, v1
.LBB27_59:                              ;   in Loop: Header=BB27_3 Depth=1
	s_or_b32 exec_lo, exec_lo, s0
	v_mad_u64_u32 v[32:33], null, s80, v23, v[3:4]
	v_mul_lo_u32 v2, s80, v24
	v_mul_lo_u32 v34, s81, v23
	;; [unrolled: 1-line block ×4, first 2 shown]
	v_mad_u64_u32 v[23:24], null, v23, s36, 0
	v_add3_u32 v2, v34, v33, v2
	v_mul_lo_u32 v34, v32, s39
	v_mad_u64_u32 v[32:33], null, v32, s38, 0
	v_add3_u32 v24, v24, v36, v35
	v_mul_lo_u32 v2, v2, s38
	v_lshlrev_b64 v[23:24], 1, v[23:24]
	v_add3_u32 v33, v33, v34, v2
	v_add_co_u32 v2, vcc_lo, s34, v23
	v_add_co_ci_u32_e64 v24, null, s35, v24, vcc_lo
	v_lshlrev_b64 v[32:33], 1, v[32:33]
	v_add_co_u32 v23, vcc_lo, v2, v32
	v_add_co_ci_u32_e64 v24, null, v24, v33, vcc_lo
	global_load_ushort v2, v[23:24], off
	s_waitcnt vmcnt(0)
	v_cvt_f32_f16_e32 v2, v2
	s_branch .LBB27_64
.LBB27_60:                              ;   in Loop: Header=BB27_3 Depth=1
	s_ashr_i32 s64, s61, 31
	v_ashrrev_i32_e32 v33, 31, v4
	s_add_u32 s66, s60, s64
	s_mov_b32 s65, s64
	s_addc_u32 s67, s61, s64
	s_xor_b64 s[66:67], s[66:67], s[64:65]
	v_add_co_u32 v22, vcc_lo, v3, v33
	v_cvt_f32_u32_e32 v2, s66
	v_cvt_f32_u32_e32 v21, s67
	s_sub_u32 s85, 0, s66
	s_subb_u32 s86, 0, s67
	v_add_co_ci_u32_e64 v23, null, v4, v33, vcc_lo
	v_fmac_f32_e32 v2, 0x4f800000, v21
	v_xor_b32_e32 v34, v23, v33
	v_rcp_f32_e32 v2, v2
	v_mul_f32_e32 v2, 0x5f7ffffc, v2
	v_mul_f32_e32 v21, 0x2f800000, v2
	v_trunc_f32_e32 v21, v21
	v_fmac_f32_e32 v2, 0xcf800000, v21
	v_cvt_u32_f32_e32 v21, v21
	v_cvt_u32_f32_e32 v2, v2
	v_readfirstlane_b32 s0, v21
	v_readfirstlane_b32 s65, v2
	s_mul_i32 s87, s85, s0
	v_xor_b32_e32 v2, v22, v33
	s_mul_hi_u32 s89, s85, s65
	s_mul_i32 s88, s86, s65
	s_add_i32 s87, s89, s87
	s_mul_i32 s90, s85, s65
	s_add_i32 s87, s87, s88
	s_mul_hi_u32 s89, s65, s90
	s_mul_i32 s92, s65, s87
	s_mul_hi_u32 s91, s0, s90
	s_mul_i32 s88, s0, s90
	s_mul_hi_u32 s90, s65, s87
	s_add_u32 s89, s89, s92
	s_addc_u32 s90, 0, s90
	s_mul_hi_u32 s93, s0, s87
	s_add_u32 s88, s89, s88
	s_mul_i32 s87, s0, s87
	s_addc_u32 s88, s90, s91
	s_addc_u32 s89, s93, 0
	s_add_u32 s87, s88, s87
	s_addc_u32 s88, 0, s89
	s_add_u32 s65, s65, s87
	s_cselect_b32 s87, -1, 0
	s_mul_hi_u32 s89, s85, s65
	s_cmp_lg_u32 s87, 0
	s_mul_i32 s87, s85, s65
	s_addc_u32 s0, s0, s88
	s_mul_i32 s86, s86, s65
	s_mul_i32 s85, s85, s0
	s_mul_hi_u32 s88, s65, s87
	s_add_i32 s85, s89, s85
	s_mul_hi_u32 s89, s0, s87
	s_add_i32 s85, s85, s86
	s_mul_i32 s86, s0, s87
	s_mul_i32 s91, s65, s85
	s_mul_hi_u32 s90, s65, s85
	s_add_u32 s88, s88, s91
	s_addc_u32 s90, 0, s90
	s_mul_hi_u32 s87, s0, s85
	s_add_u32 s86, s88, s86
	s_mul_i32 s85, s0, s85
	s_addc_u32 s86, s90, s89
	s_addc_u32 s87, s87, 0
	s_add_u32 s85, s86, s85
	s_addc_u32 s86, 0, s87
	s_add_u32 s65, s65, s85
	s_cselect_b32 s85, -1, 0
	v_mul_hi_u32 v35, v2, s65
	s_cmp_lg_u32 s85, 0
	v_mad_u64_u32 v[23:24], null, v34, s65, 0
	s_addc_u32 s0, s0, s86
	v_mad_u64_u32 v[21:22], null, v2, s0, 0
	v_mad_u64_u32 v[31:32], null, v34, s0, 0
	v_add_co_u32 v21, vcc_lo, v35, v21
	v_add_co_ci_u32_e64 v22, null, 0, v22, vcc_lo
	v_add_co_u32 v21, vcc_lo, v21, v23
	v_add_co_ci_u32_e32 v21, vcc_lo, v22, v24, vcc_lo
	v_add_co_ci_u32_e32 v22, vcc_lo, 0, v32, vcc_lo
	v_add_co_u32 v23, vcc_lo, v21, v31
	v_add_co_ci_u32_e64 v24, null, 0, v22, vcc_lo
	v_mul_lo_u32 v31, s67, v23
	v_mad_u64_u32 v[21:22], null, s66, v23, 0
	v_mul_lo_u32 v32, s66, v24
	v_sub_co_u32 v2, vcc_lo, v2, v21
	v_add3_u32 v22, v22, v32, v31
	v_sub_nc_u32_e32 v31, v34, v22
	v_sub_co_ci_u32_e64 v22, null, v34, v22, vcc_lo
	v_subrev_co_ci_u32_e64 v21, null, s67, v31, vcc_lo
	v_add_co_u32 v31, s0, v23, 2
	v_add_co_ci_u32_e64 v32, null, 0, v24, s0
	v_sub_co_u32 v35, s0, v2, s66
	v_subrev_co_ci_u32_e64 v21, null, 0, v21, s0
	v_cmp_le_u32_e32 vcc_lo, s66, v35
	v_cndmask_b32_e64 v34, 0, -1, vcc_lo
	v_cmp_le_u32_e32 vcc_lo, s67, v21
	v_cndmask_b32_e64 v35, 0, -1, vcc_lo
	;; [unrolled: 2-line block ×4, first 2 shown]
	v_cmp_eq_u32_e32 vcc_lo, s67, v21
	v_cndmask_b32_e32 v21, v35, v34, vcc_lo
	v_add_co_u32 v34, vcc_lo, v23, 1
	v_add_co_ci_u32_e64 v35, null, 0, v24, vcc_lo
	v_cmp_eq_u32_e32 vcc_lo, s67, v22
	v_xor_b32_e32 v22, s64, v33
	v_cndmask_b32_e32 v2, v36, v2, vcc_lo
	v_cmp_ne_u32_e32 vcc_lo, 0, v21
	v_cmp_ne_u32_e64 s0, 0, v2
	v_cndmask_b32_e32 v2, v34, v31, vcc_lo
	v_cndmask_b32_e32 v21, v35, v32, vcc_lo
	v_cndmask_b32_e64 v2, v23, v2, s0
	v_cndmask_b32_e64 v21, v24, v21, s0
	v_xor_b32_e32 v2, v2, v22
	v_xor_b32_e32 v23, v21, v22
	v_sub_co_u32 v21, vcc_lo, v2, v22
	v_sub_co_ci_u32_e64 v22, null, v23, v22, vcc_lo
	s_andn2_saveexec_b32 s0, s84
	s_cbranch_execz .LBB27_49
.LBB27_61:                              ;   in Loop: Header=BB27_3 Depth=1
	v_cvt_f32_u32_e32 v2, s60
	s_sub_i32 s64, 0, s60
	v_rcp_iflag_f32_e32 v2, v2
	v_mul_f32_e32 v2, 0x4f7ffffe, v2
	v_cvt_u32_f32_e32 v2, v2
	v_mul_lo_u32 v21, s64, v2
	v_mul_hi_u32 v21, v2, v21
	v_add_nc_u32_e32 v2, v2, v21
	v_mul_hi_u32 v2, v3, v2
	v_mul_lo_u32 v21, v2, s60
	v_add_nc_u32_e32 v22, 1, v2
	v_sub_nc_u32_e32 v21, v3, v21
	v_subrev_nc_u32_e32 v23, s60, v21
	v_cmp_le_u32_e32 vcc_lo, s60, v21
	v_cndmask_b32_e32 v21, v21, v23, vcc_lo
	v_cndmask_b32_e32 v2, v2, v22, vcc_lo
	v_cmp_le_u32_e32 vcc_lo, s60, v21
	v_add_nc_u32_e32 v22, 1, v2
	v_cndmask_b32_e32 v21, v2, v22, vcc_lo
	v_mov_b32_e32 v22, v1
	s_or_b32 exec_lo, exec_lo, s0
	s_andn2_b32 vcc_lo, exec_lo, s1
	s_cbranch_vccz .LBB27_50
.LBB27_62:                              ;   in Loop: Header=BB27_3 Depth=1
	v_mov_b32_e32 v31, 0
	s_andn2_b32 vcc_lo, exec_lo, s33
	s_cbranch_vccz .LBB27_55
.LBB27_63:                              ;   in Loop: Header=BB27_3 Depth=1
	v_mov_b32_e32 v2, 0
.LBB27_64:                              ;   in Loop: Header=BB27_3 Depth=1
	s_waitcnt vmcnt(0)
	v_cvt_f32_f16_e32 v23, v30
                                        ; implicit-def: $vgpr24
	v_cmp_ngt_f32_e64 s0, 0x3f200000, |v23|
	s_and_saveexec_b32 s64, s0
	s_xor_b32 s0, exec_lo, s64
	s_cbranch_execz .LBB27_66
; %bb.65:                               ;   in Loop: Header=BB27_3 Depth=1
	v_add_f32_e64 v24, |v23|, |v23|
	v_mul_f32_e32 v30, 0x3fb8aa3b, v24
	v_cmp_ngt_f32_e32 vcc_lo, 0xc2ce8ed0, v24
	v_rndne_f32_e32 v32, v30
	v_fma_f32 v33, 0x3fb8aa3b, v24, -v30
	v_sub_f32_e32 v30, v30, v32
	v_fmac_f32_e32 v33, 0x32a5705f, v24
	v_cvt_i32_f32_e32 v32, v32
	v_add_f32_e32 v30, v30, v33
	v_exp_f32_e32 v30, v30
	v_ldexp_f32 v30, v30, v32
	v_cndmask_b32_e32 v30, 0, v30, vcc_lo
	v_cmp_nlt_f32_e32 vcc_lo, 0x42b17218, v24
	v_cndmask_b32_e32 v24, 0x7f800000, v30, vcc_lo
	v_add_f32_e32 v24, 1.0, v24
	v_rcp_f32_e32 v24, v24
	v_fma_f32 v24, v24, -2.0, 1.0
.LBB27_66:                              ;   in Loop: Header=BB27_3 Depth=1
	s_andn2_saveexec_b32 s0, s0
	s_cbranch_execz .LBB27_2
; %bb.67:                               ;   in Loop: Header=BB27_3 Depth=1
	v_mul_f32_e32 v24, v23, v23
	v_fmaak_f32 v30, s82, v24, 0x3ca908c9
	v_fmaak_f32 v30, v24, v30, 0xbd5c1c4e
	;; [unrolled: 1-line block ×4, first 2 shown]
	v_mul_f32_e64 v30, |v23|, v30
	v_fma_f32 v24, v24, v30, |v23|
	s_branch .LBB27_2
.LBB27_68:
	s_endpgm
	.section	.rodata,"a",@progbits
	.p2align	6, 0x0
	.amdhsa_kernel _ZN2at6native12_GLOBAL__N_16kernel18lstm_cell_backwardIN3c104HalfEflLi2EEEvNS_4cuda6detail10TensorInfoIT_T1_EESB_SB_SB_SB_SB_SB_SA_SA_
		.amdhsa_group_segment_fixed_size 0
		.amdhsa_private_segment_fixed_size 0
		.amdhsa_kernarg_size 3184
		.amdhsa_user_sgpr_count 6
		.amdhsa_user_sgpr_private_segment_buffer 1
		.amdhsa_user_sgpr_dispatch_ptr 0
		.amdhsa_user_sgpr_queue_ptr 0
		.amdhsa_user_sgpr_kernarg_segment_ptr 1
		.amdhsa_user_sgpr_dispatch_id 0
		.amdhsa_user_sgpr_flat_scratch_init 0
		.amdhsa_user_sgpr_private_segment_size 0
		.amdhsa_wavefront_size32 1
		.amdhsa_uses_dynamic_stack 0
		.amdhsa_system_sgpr_private_segment_wavefront_offset 0
		.amdhsa_system_sgpr_workgroup_id_x 1
		.amdhsa_system_sgpr_workgroup_id_y 0
		.amdhsa_system_sgpr_workgroup_id_z 0
		.amdhsa_system_sgpr_workgroup_info 0
		.amdhsa_system_vgpr_workitem_id 0
		.amdhsa_next_free_vgpr 42
		.amdhsa_next_free_sgpr 94
		.amdhsa_reserve_vcc 1
		.amdhsa_reserve_flat_scratch 0
		.amdhsa_float_round_mode_32 0
		.amdhsa_float_round_mode_16_64 0
		.amdhsa_float_denorm_mode_32 3
		.amdhsa_float_denorm_mode_16_64 3
		.amdhsa_dx10_clamp 1
		.amdhsa_ieee_mode 1
		.amdhsa_fp16_overflow 0
		.amdhsa_workgroup_processor_mode 1
		.amdhsa_memory_ordered 1
		.amdhsa_forward_progress 1
		.amdhsa_shared_vgpr_count 0
		.amdhsa_exception_fp_ieee_invalid_op 0
		.amdhsa_exception_fp_denorm_src 0
		.amdhsa_exception_fp_ieee_div_zero 0
		.amdhsa_exception_fp_ieee_overflow 0
		.amdhsa_exception_fp_ieee_underflow 0
		.amdhsa_exception_fp_ieee_inexact 0
		.amdhsa_exception_int_div_zero 0
	.end_amdhsa_kernel
	.section	.text._ZN2at6native12_GLOBAL__N_16kernel18lstm_cell_backwardIN3c104HalfEflLi2EEEvNS_4cuda6detail10TensorInfoIT_T1_EESB_SB_SB_SB_SB_SB_SA_SA_,"axG",@progbits,_ZN2at6native12_GLOBAL__N_16kernel18lstm_cell_backwardIN3c104HalfEflLi2EEEvNS_4cuda6detail10TensorInfoIT_T1_EESB_SB_SB_SB_SB_SB_SA_SA_,comdat
.Lfunc_end27:
	.size	_ZN2at6native12_GLOBAL__N_16kernel18lstm_cell_backwardIN3c104HalfEflLi2EEEvNS_4cuda6detail10TensorInfoIT_T1_EESB_SB_SB_SB_SB_SB_SA_SA_, .Lfunc_end27-_ZN2at6native12_GLOBAL__N_16kernel18lstm_cell_backwardIN3c104HalfEflLi2EEEvNS_4cuda6detail10TensorInfoIT_T1_EESB_SB_SB_SB_SB_SB_SA_SA_
                                        ; -- End function
	.set _ZN2at6native12_GLOBAL__N_16kernel18lstm_cell_backwardIN3c104HalfEflLi2EEEvNS_4cuda6detail10TensorInfoIT_T1_EESB_SB_SB_SB_SB_SB_SA_SA_.num_vgpr, 42
	.set _ZN2at6native12_GLOBAL__N_16kernel18lstm_cell_backwardIN3c104HalfEflLi2EEEvNS_4cuda6detail10TensorInfoIT_T1_EESB_SB_SB_SB_SB_SB_SA_SA_.num_agpr, 0
	.set _ZN2at6native12_GLOBAL__N_16kernel18lstm_cell_backwardIN3c104HalfEflLi2EEEvNS_4cuda6detail10TensorInfoIT_T1_EESB_SB_SB_SB_SB_SB_SA_SA_.numbered_sgpr, 94
	.set _ZN2at6native12_GLOBAL__N_16kernel18lstm_cell_backwardIN3c104HalfEflLi2EEEvNS_4cuda6detail10TensorInfoIT_T1_EESB_SB_SB_SB_SB_SB_SA_SA_.num_named_barrier, 0
	.set _ZN2at6native12_GLOBAL__N_16kernel18lstm_cell_backwardIN3c104HalfEflLi2EEEvNS_4cuda6detail10TensorInfoIT_T1_EESB_SB_SB_SB_SB_SB_SA_SA_.private_seg_size, 0
	.set _ZN2at6native12_GLOBAL__N_16kernel18lstm_cell_backwardIN3c104HalfEflLi2EEEvNS_4cuda6detail10TensorInfoIT_T1_EESB_SB_SB_SB_SB_SB_SA_SA_.uses_vcc, 1
	.set _ZN2at6native12_GLOBAL__N_16kernel18lstm_cell_backwardIN3c104HalfEflLi2EEEvNS_4cuda6detail10TensorInfoIT_T1_EESB_SB_SB_SB_SB_SB_SA_SA_.uses_flat_scratch, 0
	.set _ZN2at6native12_GLOBAL__N_16kernel18lstm_cell_backwardIN3c104HalfEflLi2EEEvNS_4cuda6detail10TensorInfoIT_T1_EESB_SB_SB_SB_SB_SB_SA_SA_.has_dyn_sized_stack, 0
	.set _ZN2at6native12_GLOBAL__N_16kernel18lstm_cell_backwardIN3c104HalfEflLi2EEEvNS_4cuda6detail10TensorInfoIT_T1_EESB_SB_SB_SB_SB_SB_SA_SA_.has_recursion, 0
	.set _ZN2at6native12_GLOBAL__N_16kernel18lstm_cell_backwardIN3c104HalfEflLi2EEEvNS_4cuda6detail10TensorInfoIT_T1_EESB_SB_SB_SB_SB_SB_SA_SA_.has_indirect_call, 0
	.section	.AMDGPU.csdata,"",@progbits
; Kernel info:
; codeLenInByte = 13900
; TotalNumSgprs: 96
; NumVgprs: 42
; ScratchSize: 0
; MemoryBound: 0
; FloatMode: 240
; IeeeMode: 1
; LDSByteSize: 0 bytes/workgroup (compile time only)
; SGPRBlocks: 0
; VGPRBlocks: 5
; NumSGPRsForWavesPerEU: 96
; NumVGPRsForWavesPerEU: 42
; Occupancy: 16
; WaveLimiterHint : 1
; COMPUTE_PGM_RSRC2:SCRATCH_EN: 0
; COMPUTE_PGM_RSRC2:USER_SGPR: 6
; COMPUTE_PGM_RSRC2:TRAP_HANDLER: 0
; COMPUTE_PGM_RSRC2:TGID_X_EN: 1
; COMPUTE_PGM_RSRC2:TGID_Y_EN: 0
; COMPUTE_PGM_RSRC2:TGID_Z_EN: 0
; COMPUTE_PGM_RSRC2:TIDIG_COMP_CNT: 0
	.section	.text._ZN2at6native12_GLOBAL__N_16kernel18lstm_cell_backwardIN3c108BFloat16EfiLi1EEEvNS_4cuda6detail10TensorInfoIT_T1_EESB_SB_SB_SB_SB_SB_SA_SA_,"axG",@progbits,_ZN2at6native12_GLOBAL__N_16kernel18lstm_cell_backwardIN3c108BFloat16EfiLi1EEEvNS_4cuda6detail10TensorInfoIT_T1_EESB_SB_SB_SB_SB_SB_SA_SA_,comdat
	.globl	_ZN2at6native12_GLOBAL__N_16kernel18lstm_cell_backwardIN3c108BFloat16EfiLi1EEEvNS_4cuda6detail10TensorInfoIT_T1_EESB_SB_SB_SB_SB_SB_SA_SA_ ; -- Begin function _ZN2at6native12_GLOBAL__N_16kernel18lstm_cell_backwardIN3c108BFloat16EfiLi1EEEvNS_4cuda6detail10TensorInfoIT_T1_EESB_SB_SB_SB_SB_SB_SA_SA_
	.p2align	8
	.type	_ZN2at6native12_GLOBAL__N_16kernel18lstm_cell_backwardIN3c108BFloat16EfiLi1EEEvNS_4cuda6detail10TensorInfoIT_T1_EESB_SB_SB_SB_SB_SB_SA_SA_,@function
_ZN2at6native12_GLOBAL__N_16kernel18lstm_cell_backwardIN3c108BFloat16EfiLi1EEEvNS_4cuda6detail10TensorInfoIT_T1_EESB_SB_SB_SB_SB_SB_SA_SA_: ; @_ZN2at6native12_GLOBAL__N_16kernel18lstm_cell_backwardIN3c108BFloat16EfiLi1EEEvNS_4cuda6detail10TensorInfoIT_T1_EESB_SB_SB_SB_SB_SB_SA_SA_
; %bb.0:
	s_clause 0x1
	s_load_dword s2, s[4:5], 0x5fc
	s_load_dwordx2 s[0:1], s[4:5], 0x5e8
	s_add_u32 s8, s4, 0x5f0
	s_addc_u32 s9, s5, 0
	s_waitcnt lgkmcnt(0)
	s_and_b32 s23, s2, 0xffff
	s_mov_b32 s2, exec_lo
	v_mad_u64_u32 v[0:1], null, s6, s23, v[0:1]
	v_cmpx_gt_i32_e64 s1, v0
	s_cbranch_execz .LBB28_12
; %bb.1:
	s_clause 0x3
	s_load_dwordx2 s[2:3], s[4:5], 0x360
	s_load_dwordx2 s[6:7], s[4:5], 0x438
	s_load_dword s28, s[4:5], 0x3cc
	s_load_dword s29, s[4:5], 0x4a4
	;; [unrolled: 1-line block ×3, first 2 shown]
	s_clause 0x5
	s_load_dword s25, s[4:5], 0x21c
	s_load_dword s26, s[4:5], 0x2f4
	;; [unrolled: 1-line block ×3, first 2 shown]
	s_load_dwordx2 s[12:13], s[4:5], 0x510
	s_load_dwordx2 s[8:9], s[4:5], 0x1b0
	;; [unrolled: 1-line block ×3, first 2 shown]
	s_mul_i32 s22, s0, 3
	s_mov_b32 s30, 0xbbbac73d
	s_waitcnt lgkmcnt(0)
	s_cmp_lg_u64 s[2:3], 0
	s_mul_i32 s23, s24, s23
	s_cselect_b32 s18, -1, 0
	s_cmp_lg_u64 s[6:7], 0
	v_mul_lo_u32 v3, v0, s26
	s_cselect_b32 s19, -1, 0
	s_abs_i32 s20, s0
	v_mul_lo_u32 v5, v0, s27
	v_cvt_f32_u32_e32 v1, s20
	s_sub_i32 s14, 0, s20
	v_mul_lo_u32 v7, v0, s28
	v_mul_lo_u32 v9, v0, s29
	s_mul_i32 s24, s23, s25
	v_rcp_iflag_f32_e32 v1, v1
	s_mul_i32 s28, s23, s28
	s_mul_i32 s29, s23, s29
	v_mul_f32_e32 v1, 0x4f7ffffe, v1
	v_cvt_u32_f32_e32 v2, v1
	v_mul_lo_u32 v1, v0, s25
	s_mul_i32 s25, s23, s26
	s_mul_i32 s26, s23, s27
	s_ashr_i32 s27, s0, 31
	v_mul_lo_u32 v4, s14, v2
	s_clause 0x3
	s_load_dwordx2 s[14:15], s[4:5], 0x0
	s_load_dword s21, s[4:5], 0x6c
	s_load_dwordx2 s[16:17], s[4:5], 0xd8
	s_load_dword s4, s[4:5], 0x144
	s_mov_b32 s5, 0
	v_mul_hi_u32 v4, v2, v4
	v_add_nc_u32_e32 v16, v2, v4
	s_branch .LBB28_3
.LBB28_2:                               ;   in Loop: Header=BB28_3 Depth=1
	s_or_b32 exec_lo, exec_lo, s31
	v_lshlrev_b32_e32 v15, 16, v15
	v_bfi_b32 v23, 0x7fffffff, v19, v18
	v_mul_lo_u32 v20, v14, s4
	v_lshlrev_b32_e32 v25, 16, v6
	v_mul_lo_u32 v13, v13, s4
	v_mul_f32_e32 v22, v8, v15
	v_fma_f32 v24, -v23, v23, 1.0
	v_mul_lo_u32 v17, v17, s4
	v_lshlrev_b32_e32 v4, 16, v4
	v_lshlrev_b32_e32 v2, 16, v2
	v_ashrrev_i32_e32 v21, 31, v20
	v_fmac_f32_e32 v10, v22, v24
	v_lshlrev_b32_e32 v24, 16, v12
	v_sub_f32_e32 v22, 1.0, v25
	v_mul_lo_u32 v11, v11, s4
	v_lshlrev_b64 v[19:20], 1, v[20:21]
	v_ashrrev_i32_e32 v14, 31, v13
	v_mul_f32_e32 v21, v10, v24
	v_ashrrev_i32_e32 v6, 31, v5
	v_mul_f32_e32 v4, v10, v4
	v_ashrrev_i32_e32 v18, 31, v17
	v_lshlrev_b64 v[13:14], 1, v[13:14]
	v_mul_f32_e32 v26, v22, v21
	v_sub_f32_e32 v21, 1.0, v2
	v_ashrrev_i32_e32 v12, 31, v11
	v_lshlrev_b64 v[17:18], 1, v[17:18]
	v_fma_f32 v24, -v24, v24, 1.0
	v_add_co_u32 v13, vcc_lo, s16, v13
	v_mul_f32_e32 v4, v21, v4
	v_lshlrev_b64 v[21:22], 1, v[5:6]
	v_mul_f32_e32 v6, v8, v23
	v_mul_f32_e32 v8, v26, v25
	v_lshlrev_b64 v[11:12], 1, v[11:12]
	v_mul_f32_e32 v23, v10, v25
	v_mul_f32_e32 v4, v4, v2
	v_sub_f32_e32 v25, 1.0, v15
	v_bfe_u32 v26, v8, 16, 1
	v_add_co_ci_u32_e64 v14, null, s17, v14, vcc_lo
	v_add_co_u32 v17, vcc_lo, s16, v17
	v_add_co_ci_u32_e64 v18, null, s17, v18, vcc_lo
	v_add_co_u32 v19, vcc_lo, s16, v19
	v_add3_u32 v26, v8, v26, 0x7fff
	v_bfe_u32 v27, v4, 16, 1
	v_mul_f32_e32 v6, v25, v6
	v_mul_f32_e32 v23, v24, v23
	v_add_co_ci_u32_e64 v20, null, s17, v20, vcc_lo
	v_add_co_u32 v11, vcc_lo, s16, v11
	v_add_co_ci_u32_e64 v12, null, s17, v12, vcc_lo
	v_add_co_u32 v21, vcc_lo, s12, v21
	v_add_co_ci_u32_e64 v22, null, s13, v22, vcc_lo
	v_mul_f32_e32 v2, v10, v2
	v_lshrrev_b32_e32 v10, 16, v26
	v_add3_u32 v24, v4, v27, 0x7fff
	v_mul_f32_e32 v6, v6, v15
	v_bfe_u32 v15, v23, 16, 1
	v_cmp_o_f32_e32 vcc_lo, v8, v8
	v_bfe_u32 v25, v2, 16, 1
	v_add_nc_u32_e32 v0, s23, v0
	v_add_nc_u32_e32 v1, s24, v1
	v_add3_u32 v15, v23, v15, 0x7fff
	v_cndmask_b32_e32 v8, 0x7fc0, v10, vcc_lo
	v_lshrrev_b32_e32 v10, 16, v24
	v_bfe_u32 v24, v6, 16, 1
	v_cmp_o_f32_e32 vcc_lo, v4, v4
	v_add_nc_u32_e32 v3, s25, v3
	global_store_short v[13:14], v8, off
	v_lshrrev_b32_e32 v8, 16, v15
	v_add3_u32 v13, v2, v25, 0x7fff
	v_cndmask_b32_e32 v4, 0x7fc0, v10, vcc_lo
	v_add3_u32 v10, v6, v24, 0x7fff
	v_cmp_o_f32_e32 vcc_lo, v23, v23
	v_add_nc_u32_e32 v5, s26, v5
	v_add_nc_u32_e32 v7, s28, v7
	global_store_short v[17:18], v4, off
	v_lshrrev_b32_e32 v4, 16, v10
	v_cndmask_b32_e32 v8, 0x7fc0, v8, vcc_lo
	v_cmp_o_f32_e32 vcc_lo, v6, v6
	v_lshrrev_b32_e32 v10, 16, v13
	v_add_nc_u32_e32 v9, s29, v9
	global_store_short v[19:20], v8, off
	v_cndmask_b32_e32 v4, 0x7fc0, v4, vcc_lo
	v_cmp_o_f32_e32 vcc_lo, v2, v2
	v_cndmask_b32_e32 v2, 0x7fc0, v10, vcc_lo
	v_cmp_le_i32_e32 vcc_lo, s1, v0
	global_store_short v[11:12], v4, off
	global_store_short v[21:22], v2, off
	s_or_b32 s5, vcc_lo, s5
	s_andn2_b32 exec_lo, exec_lo, s5
	s_cbranch_execz .LBB28_12
.LBB28_3:                               ; =>This Inner Loop Header: Depth=1
	v_sub_nc_u32_e32 v2, 0, v0
	v_max_i32_e32 v2, v0, v2
	v_mul_hi_u32 v4, v2, v16
	v_mul_lo_u32 v6, v4, s20
	v_sub_nc_u32_e32 v2, v2, v6
	v_add_nc_u32_e32 v6, 1, v4
	v_subrev_nc_u32_e32 v8, s20, v2
	v_cmp_le_u32_e32 vcc_lo, s20, v2
	v_cndmask_b32_e32 v4, v4, v6, vcc_lo
	v_cndmask_b32_e32 v2, v2, v8, vcc_lo
	v_ashrrev_i32_e32 v6, 31, v0
	v_add_nc_u32_e32 v8, 1, v4
	v_cmp_le_u32_e32 vcc_lo, s20, v2
	v_xor_b32_e32 v6, s27, v6
	v_cndmask_b32_e32 v2, v4, v8, vcc_lo
	v_mul_i32_i24_e32 v4, 3, v6
	v_xor_b32_e32 v2, v2, v6
	v_lshl_add_u32 v8, v2, 1, v2
	v_sub_nc_u32_e32 v2, v2, v6
	v_sub_nc_u32_e32 v6, v8, v4
	v_mad_u64_u32 v[13:14], null, s22, v2, v[0:1]
	v_ashrrev_i32_e32 v2, 31, v1
	v_ashrrev_i32_e32 v4, 31, v3
	v_mul_lo_u32 v8, s0, v6
	v_lshlrev_b64 v[18:19], 1, v[1:2]
	v_add_nc_u32_e32 v2, 2, v6
	v_lshlrev_b64 v[22:23], 1, v[3:4]
	v_add_nc_u32_e32 v4, 3, v6
	s_waitcnt lgkmcnt(0)
	v_mul_lo_u32 v20, v13, s21
	v_add3_u32 v17, v8, s0, v0
	v_mad_u64_u32 v[14:15], null, s0, v2, v[0:1]
	v_mad_u64_u32 v[11:12], null, s0, v4, v[0:1]
	v_mul_lo_u32 v24, v17, s21
	v_add_co_u32 v18, vcc_lo, s8, v18
	v_ashrrev_i32_e32 v21, 31, v20
	v_mul_lo_u32 v26, v14, s21
	v_add_co_ci_u32_e64 v19, null, s9, v19, vcc_lo
	v_mul_lo_u32 v28, v11, s21
	v_ashrrev_i32_e32 v25, 31, v24
	v_lshlrev_b64 v[20:21], 1, v[20:21]
	v_add_co_u32 v22, vcc_lo, s10, v22
	v_ashrrev_i32_e32 v27, 31, v26
	v_lshlrev_b64 v[24:25], 1, v[24:25]
	v_add_co_ci_u32_e64 v23, null, s11, v23, vcc_lo
	v_ashrrev_i32_e32 v29, 31, v28
	v_lshlrev_b64 v[26:27], 1, v[26:27]
	v_add_co_u32 v20, vcc_lo, s14, v20
	v_add_co_ci_u32_e64 v21, null, s15, v21, vcc_lo
	v_lshlrev_b64 v[28:29], 1, v[28:29]
	v_add_co_u32 v24, vcc_lo, s14, v24
	v_add_co_ci_u32_e64 v25, null, s15, v25, vcc_lo
	v_add_co_u32 v26, vcc_lo, s14, v26
	v_add_co_ci_u32_e64 v27, null, s15, v27, vcc_lo
	;; [unrolled: 2-line block ×3, first 2 shown]
	global_load_ushort v4, v[18:19], off
	s_clause 0x3
	global_load_ushort v6, v[20:21], off
	global_load_ushort v2, v[24:25], off
	;; [unrolled: 1-line block ×5, first 2 shown]
	v_mov_b32_e32 v8, 0
	s_andn2_b32 vcc_lo, exec_lo, s18
	s_cbranch_vccnz .LBB28_5
; %bb.4:                                ;   in Loop: Header=BB28_3 Depth=1
	v_ashrrev_i32_e32 v8, 31, v7
	v_lshlrev_b64 v[19:20], 1, v[7:8]
	v_add_co_u32 v19, vcc_lo, s2, v19
	v_add_co_ci_u32_e64 v20, null, s3, v20, vcc_lo
	global_load_ushort v8, v[19:20], off
	s_waitcnt vmcnt(0)
	v_lshlrev_b32_e32 v8, 16, v8
.LBB28_5:                               ;   in Loop: Header=BB28_3 Depth=1
	s_andn2_b32 vcc_lo, exec_lo, s19
	s_cbranch_vccnz .LBB28_7
; %bb.6:                                ;   in Loop: Header=BB28_3 Depth=1
	v_ashrrev_i32_e32 v10, 31, v9
	v_lshlrev_b64 v[19:20], 1, v[9:10]
	v_add_co_u32 v19, vcc_lo, s6, v19
	v_add_co_ci_u32_e64 v20, null, s7, v20, vcc_lo
	global_load_ushort v10, v[19:20], off
	s_waitcnt vmcnt(0)
	v_lshlrev_b32_e32 v10, 16, v10
	s_branch .LBB28_8
.LBB28_7:                               ;   in Loop: Header=BB28_3 Depth=1
	v_mov_b32_e32 v10, 0
.LBB28_8:                               ;   in Loop: Header=BB28_3 Depth=1
	s_waitcnt vmcnt(0)
	v_lshlrev_b32_e32 v18, 16, v18
                                        ; implicit-def: $vgpr19
	v_cmp_ngt_f32_e64 s31, 0x3f200000, |v18|
	s_and_saveexec_b32 s33, s31
	s_xor_b32 s31, exec_lo, s33
	s_cbranch_execz .LBB28_10
; %bb.9:                                ;   in Loop: Header=BB28_3 Depth=1
	v_add_f32_e64 v19, |v18|, |v18|
	v_mul_f32_e32 v20, 0x3fb8aa3b, v19
	v_cmp_ngt_f32_e32 vcc_lo, 0xc2ce8ed0, v19
	v_rndne_f32_e32 v21, v20
	v_fma_f32 v22, 0x3fb8aa3b, v19, -v20
	v_sub_f32_e32 v20, v20, v21
	v_fmac_f32_e32 v22, 0x32a5705f, v19
	v_cvt_i32_f32_e32 v21, v21
	v_add_f32_e32 v20, v20, v22
	v_exp_f32_e32 v20, v20
	v_ldexp_f32 v20, v20, v21
	v_cndmask_b32_e32 v20, 0, v20, vcc_lo
	v_cmp_nlt_f32_e32 vcc_lo, 0x42b17218, v19
	v_cndmask_b32_e32 v19, 0x7f800000, v20, vcc_lo
	v_add_f32_e32 v19, 1.0, v19
	v_rcp_f32_e32 v19, v19
	v_fma_f32 v19, v19, -2.0, 1.0
.LBB28_10:                              ;   in Loop: Header=BB28_3 Depth=1
	s_andn2_saveexec_b32 s31, s31
	s_cbranch_execz .LBB28_2
; %bb.11:                               ;   in Loop: Header=BB28_3 Depth=1
	v_mul_f32_e32 v19, v18, v18
	v_fmaak_f32 v20, s30, v19, 0x3ca908c9
	v_fmaak_f32 v20, v19, v20, 0xbd5c1c4e
	;; [unrolled: 1-line block ×4, first 2 shown]
	v_mul_f32_e64 v20, |v18|, v20
	v_fma_f32 v19, v19, v20, |v18|
	s_branch .LBB28_2
.LBB28_12:
	s_endpgm
	.section	.rodata,"a",@progbits
	.p2align	6, 0x0
	.amdhsa_kernel _ZN2at6native12_GLOBAL__N_16kernel18lstm_cell_backwardIN3c108BFloat16EfiLi1EEEvNS_4cuda6detail10TensorInfoIT_T1_EESB_SB_SB_SB_SB_SB_SA_SA_
		.amdhsa_group_segment_fixed_size 0
		.amdhsa_private_segment_fixed_size 0
		.amdhsa_kernarg_size 1776
		.amdhsa_user_sgpr_count 6
		.amdhsa_user_sgpr_private_segment_buffer 1
		.amdhsa_user_sgpr_dispatch_ptr 0
		.amdhsa_user_sgpr_queue_ptr 0
		.amdhsa_user_sgpr_kernarg_segment_ptr 1
		.amdhsa_user_sgpr_dispatch_id 0
		.amdhsa_user_sgpr_flat_scratch_init 0
		.amdhsa_user_sgpr_private_segment_size 0
		.amdhsa_wavefront_size32 1
		.amdhsa_uses_dynamic_stack 0
		.amdhsa_system_sgpr_private_segment_wavefront_offset 0
		.amdhsa_system_sgpr_workgroup_id_x 1
		.amdhsa_system_sgpr_workgroup_id_y 0
		.amdhsa_system_sgpr_workgroup_id_z 0
		.amdhsa_system_sgpr_workgroup_info 0
		.amdhsa_system_vgpr_workitem_id 0
		.amdhsa_next_free_vgpr 30
		.amdhsa_next_free_sgpr 34
		.amdhsa_reserve_vcc 1
		.amdhsa_reserve_flat_scratch 0
		.amdhsa_float_round_mode_32 0
		.amdhsa_float_round_mode_16_64 0
		.amdhsa_float_denorm_mode_32 3
		.amdhsa_float_denorm_mode_16_64 3
		.amdhsa_dx10_clamp 1
		.amdhsa_ieee_mode 1
		.amdhsa_fp16_overflow 0
		.amdhsa_workgroup_processor_mode 1
		.amdhsa_memory_ordered 1
		.amdhsa_forward_progress 1
		.amdhsa_shared_vgpr_count 0
		.amdhsa_exception_fp_ieee_invalid_op 0
		.amdhsa_exception_fp_denorm_src 0
		.amdhsa_exception_fp_ieee_div_zero 0
		.amdhsa_exception_fp_ieee_overflow 0
		.amdhsa_exception_fp_ieee_underflow 0
		.amdhsa_exception_fp_ieee_inexact 0
		.amdhsa_exception_int_div_zero 0
	.end_amdhsa_kernel
	.section	.text._ZN2at6native12_GLOBAL__N_16kernel18lstm_cell_backwardIN3c108BFloat16EfiLi1EEEvNS_4cuda6detail10TensorInfoIT_T1_EESB_SB_SB_SB_SB_SB_SA_SA_,"axG",@progbits,_ZN2at6native12_GLOBAL__N_16kernel18lstm_cell_backwardIN3c108BFloat16EfiLi1EEEvNS_4cuda6detail10TensorInfoIT_T1_EESB_SB_SB_SB_SB_SB_SA_SA_,comdat
.Lfunc_end28:
	.size	_ZN2at6native12_GLOBAL__N_16kernel18lstm_cell_backwardIN3c108BFloat16EfiLi1EEEvNS_4cuda6detail10TensorInfoIT_T1_EESB_SB_SB_SB_SB_SB_SA_SA_, .Lfunc_end28-_ZN2at6native12_GLOBAL__N_16kernel18lstm_cell_backwardIN3c108BFloat16EfiLi1EEEvNS_4cuda6detail10TensorInfoIT_T1_EESB_SB_SB_SB_SB_SB_SA_SA_
                                        ; -- End function
	.set _ZN2at6native12_GLOBAL__N_16kernel18lstm_cell_backwardIN3c108BFloat16EfiLi1EEEvNS_4cuda6detail10TensorInfoIT_T1_EESB_SB_SB_SB_SB_SB_SA_SA_.num_vgpr, 30
	.set _ZN2at6native12_GLOBAL__N_16kernel18lstm_cell_backwardIN3c108BFloat16EfiLi1EEEvNS_4cuda6detail10TensorInfoIT_T1_EESB_SB_SB_SB_SB_SB_SA_SA_.num_agpr, 0
	.set _ZN2at6native12_GLOBAL__N_16kernel18lstm_cell_backwardIN3c108BFloat16EfiLi1EEEvNS_4cuda6detail10TensorInfoIT_T1_EESB_SB_SB_SB_SB_SB_SA_SA_.numbered_sgpr, 34
	.set _ZN2at6native12_GLOBAL__N_16kernel18lstm_cell_backwardIN3c108BFloat16EfiLi1EEEvNS_4cuda6detail10TensorInfoIT_T1_EESB_SB_SB_SB_SB_SB_SA_SA_.num_named_barrier, 0
	.set _ZN2at6native12_GLOBAL__N_16kernel18lstm_cell_backwardIN3c108BFloat16EfiLi1EEEvNS_4cuda6detail10TensorInfoIT_T1_EESB_SB_SB_SB_SB_SB_SA_SA_.private_seg_size, 0
	.set _ZN2at6native12_GLOBAL__N_16kernel18lstm_cell_backwardIN3c108BFloat16EfiLi1EEEvNS_4cuda6detail10TensorInfoIT_T1_EESB_SB_SB_SB_SB_SB_SA_SA_.uses_vcc, 1
	.set _ZN2at6native12_GLOBAL__N_16kernel18lstm_cell_backwardIN3c108BFloat16EfiLi1EEEvNS_4cuda6detail10TensorInfoIT_T1_EESB_SB_SB_SB_SB_SB_SA_SA_.uses_flat_scratch, 0
	.set _ZN2at6native12_GLOBAL__N_16kernel18lstm_cell_backwardIN3c108BFloat16EfiLi1EEEvNS_4cuda6detail10TensorInfoIT_T1_EESB_SB_SB_SB_SB_SB_SA_SA_.has_dyn_sized_stack, 0
	.set _ZN2at6native12_GLOBAL__N_16kernel18lstm_cell_backwardIN3c108BFloat16EfiLi1EEEvNS_4cuda6detail10TensorInfoIT_T1_EESB_SB_SB_SB_SB_SB_SA_SA_.has_recursion, 0
	.set _ZN2at6native12_GLOBAL__N_16kernel18lstm_cell_backwardIN3c108BFloat16EfiLi1EEEvNS_4cuda6detail10TensorInfoIT_T1_EESB_SB_SB_SB_SB_SB_SA_SA_.has_indirect_call, 0
	.section	.AMDGPU.csdata,"",@progbits
; Kernel info:
; codeLenInByte = 1628
; TotalNumSgprs: 36
; NumVgprs: 30
; ScratchSize: 0
; MemoryBound: 0
; FloatMode: 240
; IeeeMode: 1
; LDSByteSize: 0 bytes/workgroup (compile time only)
; SGPRBlocks: 0
; VGPRBlocks: 3
; NumSGPRsForWavesPerEU: 36
; NumVGPRsForWavesPerEU: 30
; Occupancy: 16
; WaveLimiterHint : 1
; COMPUTE_PGM_RSRC2:SCRATCH_EN: 0
; COMPUTE_PGM_RSRC2:USER_SGPR: 6
; COMPUTE_PGM_RSRC2:TRAP_HANDLER: 0
; COMPUTE_PGM_RSRC2:TGID_X_EN: 1
; COMPUTE_PGM_RSRC2:TGID_Y_EN: 0
; COMPUTE_PGM_RSRC2:TGID_Z_EN: 0
; COMPUTE_PGM_RSRC2:TIDIG_COMP_CNT: 0
	.section	.text._ZN2at6native12_GLOBAL__N_16kernel18lstm_cell_backwardIN3c108BFloat16EfiLi2EEEvNS_4cuda6detail10TensorInfoIT_T1_EESB_SB_SB_SB_SB_SB_SA_SA_,"axG",@progbits,_ZN2at6native12_GLOBAL__N_16kernel18lstm_cell_backwardIN3c108BFloat16EfiLi2EEEvNS_4cuda6detail10TensorInfoIT_T1_EESB_SB_SB_SB_SB_SB_SA_SA_,comdat
	.globl	_ZN2at6native12_GLOBAL__N_16kernel18lstm_cell_backwardIN3c108BFloat16EfiLi2EEEvNS_4cuda6detail10TensorInfoIT_T1_EESB_SB_SB_SB_SB_SB_SA_SA_ ; -- Begin function _ZN2at6native12_GLOBAL__N_16kernel18lstm_cell_backwardIN3c108BFloat16EfiLi2EEEvNS_4cuda6detail10TensorInfoIT_T1_EESB_SB_SB_SB_SB_SB_SA_SA_
	.p2align	8
	.type	_ZN2at6native12_GLOBAL__N_16kernel18lstm_cell_backwardIN3c108BFloat16EfiLi2EEEvNS_4cuda6detail10TensorInfoIT_T1_EESB_SB_SB_SB_SB_SB_SA_SA_,@function
_ZN2at6native12_GLOBAL__N_16kernel18lstm_cell_backwardIN3c108BFloat16EfiLi2EEEvNS_4cuda6detail10TensorInfoIT_T1_EESB_SB_SB_SB_SB_SB_SA_SA_: ; @_ZN2at6native12_GLOBAL__N_16kernel18lstm_cell_backwardIN3c108BFloat16EfiLi2EEEvNS_4cuda6detail10TensorInfoIT_T1_EESB_SB_SB_SB_SB_SB_SA_SA_
; %bb.0:
	s_clause 0x1
	s_load_dword s7, s[4:5], 0x5fc
	s_load_dwordx2 s[2:3], s[4:5], 0x5e8
	s_add_u32 s0, s4, 0x5f0
	s_addc_u32 s1, s5, 0
	s_waitcnt lgkmcnt(0)
	s_and_b32 s40, s7, 0xffff
	v_mad_u64_u32 v[0:1], null, s6, s40, v[0:1]
	s_mov_b32 s6, exec_lo
	v_cmpx_gt_i32_e64 s3, v0
	s_cbranch_execz .LBB29_12
; %bb.1:
	s_clause 0xb
	s_load_dwordx2 s[6:7], s[4:5], 0x360
	s_load_dwordx2 s[8:9], s[4:5], 0x438
	s_load_dword s33, s[4:5], 0xc
	s_load_dword s59, s[4:5], 0x36c
	s_load_dwordx2 s[10:11], s[4:5], 0x3cc
	s_load_dwordx2 s[12:13], s[4:5], 0x0
	;; [unrolled: 1-line block ×4, first 2 shown]
	s_load_dword s34, s[4:5], 0xe4
	s_load_dwordx2 s[18:19], s[4:5], 0x144
	s_load_dwordx2 s[20:21], s[4:5], 0x1b0
	s_load_dword s56, s[4:5], 0x1bc
	s_load_dword s0, s[0:1], 0x0
	s_clause 0x8
	s_load_dword s1, s[4:5], 0x294
	s_load_dword s60, s[4:5], 0x444
	s_load_dwordx2 s[22:23], s[4:5], 0x4a4
	s_load_dwordx2 s[24:25], s[4:5], 0x510
	s_load_dword s58, s[4:5], 0x51c
	s_load_dwordx2 s[26:27], s[4:5], 0x21c
	s_load_dwordx2 s[28:29], s[4:5], 0x288
	;; [unrolled: 1-line block ×4, first 2 shown]
	s_mov_b32 s39, 0
	s_mul_i32 s55, s2, 3
	s_mov_b32 s61, 0xbbbac73d
	s_waitcnt lgkmcnt(0)
	s_cmp_lg_u64 s[6:7], 0
	s_cselect_b32 s35, -1, 0
	s_cmp_lg_u64 s[8:9], 0
	s_cselect_b32 s36, -1, 0
	s_abs_i32 s37, s2
	s_abs_i32 s38, s33
	v_cvt_f32_u32_e32 v1, s37
	v_cvt_f32_u32_e32 v2, s38
	s_abs_i32 s42, s34
	s_sub_i32 s49, 0, s38
	v_cvt_f32_u32_e32 v3, s42
	v_rcp_iflag_f32_e32 v1, v1
	v_rcp_iflag_f32_e32 v2, v2
	s_mul_i32 s40, s0, s40
	s_sub_i32 s0, 0, s37
	v_rcp_iflag_f32_e32 v3, v3
	s_abs_i32 s44, s56
	s_abs_i32 s45, s1
	v_cvt_f32_u32_e32 v4, s44
	v_cvt_f32_u32_e32 v7, s45
	s_abs_i32 s46, s58
	v_mul_f32_e32 v1, 0x4f7ffffe, v1
	v_mul_f32_e32 v2, 0x4f7ffffe, v2
	v_rcp_iflag_f32_e32 v4, v4
	s_abs_i32 s47, s59
	v_mul_f32_e32 v3, 0x4f7ffffe, v3
	v_cvt_u32_f32_e32 v1, v1
	v_cvt_u32_f32_e32 v2, v2
	s_abs_i32 s48, s60
	v_cvt_f32_u32_e32 v8, s46
	v_cvt_u32_f32_e32 v9, v3
	v_mul_lo_u32 v5, s0, v1
	v_mul_lo_u32 v6, s49, v2
	v_cvt_f32_u32_e32 v10, s48
	v_rcp_iflag_f32_e32 v8, v8
	v_mul_f32_e32 v12, 0x4f7ffffe, v4
	s_sub_i32 s0, 0, s42
	s_sub_i32 s49, 0, s45
	v_mul_lo_u32 v11, s0, v9
	v_mul_hi_u32 v3, v1, v5
	v_rcp_iflag_f32_e32 v5, v7
	v_mul_hi_u32 v6, v2, v6
	v_cvt_f32_u32_e32 v7, s47
	s_sub_i32 s0, 0, s44
	v_mul_f32_e32 v8, 0x4f7ffffe, v8
	s_ashr_i32 s41, s2, 31
	s_ashr_i32 s43, s33, 31
	v_add_nc_u32_e32 v3, v1, v3
	v_rcp_iflag_f32_e32 v1, v7
	v_add_nc_u32_e32 v4, v2, v6
	v_mul_f32_e32 v2, 0x4f7ffffe, v5
	v_rcp_iflag_f32_e32 v5, v10
	v_cvt_u32_f32_e32 v7, v12
	v_cvt_u32_f32_e32 v8, v8
	v_mul_hi_u32 v6, v9, v11
	v_cvt_u32_f32_e32 v2, v2
	s_ashr_i32 s50, s56, 31
	v_mul_lo_u32 v10, s0, v7
	v_mul_f32_e32 v1, 0x4f7ffffe, v1
	s_sub_i32 s0, 0, s46
	v_mul_lo_u32 v11, s49, v2
	v_mul_f32_e32 v5, 0x4f7ffffe, v5
	s_sub_i32 s49, 0, s47
	v_cvt_u32_f32_e32 v1, v1
	v_mul_lo_u32 v13, s0, v8
	s_sub_i32 s0, 0, s48
	v_cvt_u32_f32_e32 v12, v5
	v_mul_hi_u32 v10, v7, v10
	v_mul_lo_u32 v14, s49, v1
	v_mul_hi_u32 v11, v2, v11
	v_add_nc_u32_e32 v5, v9, v6
	v_mul_lo_u32 v15, s0, v12
	v_mul_hi_u32 v9, v8, v13
	s_ashr_i32 s49, s34, 31
	s_ashr_i32 s51, s1, 31
	v_add_nc_u32_e32 v6, v7, v10
	v_mul_hi_u32 v13, v1, v14
	v_add_nc_u32_e32 v7, v2, v11
	v_mov_b32_e32 v11, 0x7fc0
	v_mul_hi_u32 v10, v12, v15
	v_add_nc_u32_e32 v8, v8, v9
	s_ashr_i32 s52, s58, 31
	s_ashr_i32 s53, s59, 31
	;; [unrolled: 1-line block ×3, first 2 shown]
	v_add_nc_u32_e32 v9, v1, v13
	s_sub_i32 s56, 0, s56
	s_sub_i32 s57, 0, s1
	v_add_nc_u32_e32 v10, v12, v10
	s_sub_i32 s58, 0, s58
	s_sub_i32 s59, 0, s59
	;; [unrolled: 1-line block ×3, first 2 shown]
	s_branch .LBB29_3
.LBB29_2:                               ;   in Loop: Header=BB29_3 Depth=1
	s_or_b32 exec_lo, exec_lo, s0
	v_mul_hi_u32 v33, v19, v5
	v_mul_hi_u32 v34, v20, v5
	;; [unrolled: 1-line block ×4, first 2 shown]
	v_xor_b32_e32 v30, s49, v30
	v_xor_b32_e32 v29, s49, v29
	v_mul_hi_u32 v38, v12, v8
	v_xor_b32_e32 v27, s49, v27
	v_mul_lo_u32 v35, v33, s42
	v_mul_lo_u32 v40, v34, s42
	v_add_nc_u32_e32 v39, 1, v33
	v_mul_lo_u32 v41, v36, s42
	v_mul_lo_u32 v43, v37, s42
	v_add_nc_u32_e32 v42, 1, v36
	v_xor_b32_e32 v26, s49, v26
	v_lshlrev_b32_e32 v24, 16, v24
	v_sub_nc_u32_e32 v19, v19, v35
	v_sub_nc_u32_e32 v20, v20, v40
	v_add_nc_u32_e32 v35, 1, v34
	v_sub_nc_u32_e32 v16, v16, v41
	v_sub_nc_u32_e32 v18, v18, v43
	v_subrev_nc_u32_e32 v44, s42, v19
	v_cmp_le_u32_e32 vcc_lo, s42, v19
	v_mul_lo_u32 v40, v38, s46
	v_cndmask_b32_e32 v33, v33, v39, vcc_lo
	v_cndmask_b32_e32 v19, v19, v44, vcc_lo
	v_cmp_le_u32_e32 vcc_lo, s42, v20
	v_add_nc_u32_e32 v39, 1, v37
	v_sub_nc_u32_e32 v12, v12, v40
	v_add_nc_u32_e32 v44, 1, v33
	v_cmp_le_u32_e64 s0, s42, v19
	v_cndmask_b32_e32 v34, v34, v35, vcc_lo
	v_subrev_nc_u32_e32 v35, s42, v20
	v_cndmask_b32_e64 v19, v33, v44, s0
	v_add_nc_u32_e32 v33, 1, v34
	v_cndmask_b32_e32 v20, v20, v35, vcc_lo
	v_cmp_le_u32_e32 vcc_lo, s42, v16
	v_xor_b32_e32 v19, v19, v30
	v_cmp_le_u32_e64 s0, s42, v20
	v_cndmask_b32_e32 v35, v36, v42, vcc_lo
	v_sub_nc_u32_e32 v19, v19, v30
	v_cndmask_b32_e64 v20, v34, v33, s0
	v_subrev_nc_u32_e32 v33, s42, v16
	v_cmp_le_u32_e64 s0, s42, v18
	v_subrev_nc_u32_e32 v34, s42, v18
	v_add_nc_u32_e32 v36, 1, v35
	v_xor_b32_e32 v20, v20, v29
	v_cndmask_b32_e32 v16, v16, v33, vcc_lo
	v_mul_lo_u32 v33, v19, s34
	v_cndmask_b32_e64 v30, v37, v39, s0
	v_cndmask_b32_e64 v18, v18, v34, s0
	v_sub_nc_u32_e32 v20, v20, v29
	v_cmp_le_u32_e32 vcc_lo, s42, v16
	v_add_nc_u32_e32 v29, 1, v30
	v_mul_lo_u32 v34, v20, s34
	v_cndmask_b32_e32 v16, v35, v36, vcc_lo
	v_sub_nc_u32_e32 v15, v15, v33
	v_cmp_le_u32_e32 vcc_lo, s42, v18
	v_xor_b32_e32 v16, v16, v27
	v_add_nc_u32_e32 v15, v0, v15
	v_cndmask_b32_e32 v18, v30, v29, vcc_lo
	v_add_nc_u32_e32 v29, 1, v38
	v_cmp_le_u32_e32 vcc_lo, s46, v12
	v_sub_nc_u32_e32 v27, v16, v27
	v_sub_nc_u32_e32 v16, v1, v34
	v_subrev_nc_u32_e32 v34, s46, v12
	v_mul_lo_u32 v1, v15, s19
	v_xor_b32_e32 v18, v18, v26
	v_mul_lo_u32 v30, v27, s34
	v_add_nc_u32_e32 v33, v0, v16
	v_cndmask_b32_e32 v29, v38, v29, vcc_lo
	v_cndmask_b32_e32 v12, v12, v34, vcc_lo
	v_sub_nc_u32_e32 v26, v18, v26
	v_mad_u64_u32 v[15:16], null, v19, s18, v[1:2]
	v_mul_lo_u32 v1, v33, s19
	v_add_nc_u32_e32 v16, 1, v29
	v_cmp_le_u32_e32 vcc_lo, s46, v12
	v_sub_nc_u32_e32 v14, v14, v30
	v_mul_lo_u32 v18, v26, s34
	v_xor_b32_e32 v19, s52, v13
	v_bfi_b32 v30, 0x7fffffff, v32, v31
	v_cndmask_b32_e32 v16, v29, v16, vcc_lo
	v_mad_u64_u32 v[12:13], null, v20, s18, v[1:2]
	v_add_nc_u32_e32 v1, v0, v14
	v_lshlrev_b32_e32 v31, 16, v22
	v_xor_b32_e32 v13, v16, v19
	v_ashrrev_i32_e32 v16, 31, v15
	v_sub_nc_u32_e32 v2, v2, v18
	v_mul_lo_u32 v1, v1, s19
	v_sub_f32_e32 v32, 1.0, v31
	v_sub_nc_u32_e32 v29, v13, v19
	v_lshlrev_b64 v[14:15], 1, v[15:16]
	v_add_nc_u32_e32 v16, v0, v2
	v_ashrrev_i32_e32 v13, 31, v12
	v_mad_u64_u32 v[18:19], null, s58, v29, v[0:1]
	v_mul_lo_u32 v16, v16, s19
	v_mad_u64_u32 v[1:2], null, v27, s18, v[1:2]
	v_lshlrev_b64 v[12:13], 1, v[12:13]
	v_add_co_u32 v14, vcc_lo, s16, v14
	v_mul_lo_u32 v18, v18, s5
	v_add_co_ci_u32_e64 v15, null, s17, v15, vcc_lo
	v_mad_u64_u32 v[19:20], null, v26, s18, v[16:17]
	v_mul_f32_e32 v16, v25, v24
	v_ashrrev_i32_e32 v2, 31, v1
	v_add_co_u32 v12, vcc_lo, s16, v12
	v_add_co_ci_u32_e64 v13, null, s17, v13, vcc_lo
	v_mad_u64_u32 v[26:27], null, v29, s4, v[18:19]
	v_fma_f32 v18, -v30, v30, 1.0
	v_lshlrev_b32_e32 v29, 16, v23
	v_ashrrev_i32_e32 v20, 31, v19
	v_lshlrev_b64 v[1:2], 1, v[1:2]
	v_add_nc_u32_e32 v0, s40, v0
	v_fmac_f32_e32 v28, v16, v18
	v_ashrrev_i32_e32 v27, 31, v26
	v_lshlrev_b64 v[18:19], 1, v[19:20]
	v_lshlrev_b32_e32 v20, 16, v21
	v_lshlrev_b32_e32 v21, 16, v17
	v_mul_f32_e32 v16, v28, v29
	v_lshlrev_b64 v[22:23], 1, v[26:27]
	v_add_co_u32 v1, vcc_lo, s16, v1
	v_mul_f32_e32 v20, v28, v20
	v_mul_f32_e32 v26, v32, v16
	v_sub_f32_e32 v27, 1.0, v21
	v_add_co_ci_u32_e64 v2, null, s17, v2, vcc_lo
	v_add_co_u32 v16, vcc_lo, s16, v18
	v_mul_f32_e32 v26, v26, v31
	v_add_co_ci_u32_e64 v17, null, s17, v19, vcc_lo
	v_add_co_u32 v18, vcc_lo, s24, v22
	v_mul_f32_e32 v22, v25, v30
	v_mul_f32_e32 v20, v27, v20
	v_bfe_u32 v25, v26, 16, 1
	v_add_co_ci_u32_e64 v19, null, s25, v23, vcc_lo
	v_mul_f32_e32 v23, v28, v31
	v_mul_f32_e32 v27, v28, v21
	v_sub_f32_e32 v28, 1.0, v24
	v_cmp_o_f32_e32 vcc_lo, v26, v26
	v_mul_f32_e32 v20, v20, v21
	v_add3_u32 v21, v26, v25, 0x7fff
	v_fma_f32 v25, -v29, v29, 1.0
	v_mul_f32_e32 v22, v28, v22
	v_cmp_le_i32_e64 s1, s3, v0
	v_bfe_u32 v26, v20, 16, 1
	v_cndmask_b32_sdwa v21, v11, v21, vcc_lo dst_sel:DWORD dst_unused:UNUSED_PAD src0_sel:DWORD src1_sel:WORD_1
	v_mul_f32_e32 v23, v25, v23
	v_mul_f32_e32 v22, v22, v24
	v_cmp_o_f32_e32 vcc_lo, v20, v20
	s_or_b32 s39, s1, s39
	global_store_short v[14:15], v21, off
	v_bfe_u32 v15, v23, 16, 1
	v_add3_u32 v14, v20, v26, 0x7fff
	v_cmp_o_f32_e64 s0, v23, v23
	v_bfe_u32 v20, v22, 16, 1
	v_bfe_u32 v21, v27, 16, 1
	v_add3_u32 v15, v23, v15, 0x7fff
	v_cndmask_b32_sdwa v14, v11, v14, vcc_lo dst_sel:DWORD dst_unused:UNUSED_PAD src0_sel:DWORD src1_sel:WORD_1
	s_mov_b32 vcc_lo, s0
	v_add3_u32 v20, v22, v20, 0x7fff
	v_cmp_o_f32_e64 s0, v27, v27
	v_cndmask_b32_sdwa v15, v11, v15, vcc_lo dst_sel:DWORD dst_unused:UNUSED_PAD src0_sel:DWORD src1_sel:WORD_1
	v_cmp_o_f32_e32 vcc_lo, v22, v22
	v_add3_u32 v21, v27, v21, 0x7fff
	global_store_short v[12:13], v14, off
	global_store_short v[1:2], v15, off
	v_cndmask_b32_sdwa v20, v11, v20, vcc_lo dst_sel:DWORD dst_unused:UNUSED_PAD src0_sel:DWORD src1_sel:WORD_1
	s_mov_b32 vcc_lo, s0
	v_cndmask_b32_sdwa v21, v11, v21, vcc_lo dst_sel:DWORD dst_unused:UNUSED_PAD src0_sel:DWORD src1_sel:WORD_1
	global_store_short v[16:17], v20, off
	global_store_short v[18:19], v21, off
	s_andn2_b32 exec_lo, exec_lo, s39
	s_cbranch_execz .LBB29_12
.LBB29_3:                               ; =>This Inner Loop Header: Depth=1
	v_sub_nc_u32_e32 v1, 0, v0
	v_max_i32_e32 v12, v0, v1
	v_mul_hi_u32 v1, v12, v3
	v_mul_hi_u32 v14, v12, v6
	;; [unrolled: 1-line block ×3, first 2 shown]
	v_mul_lo_u32 v2, v1, s37
	v_add_nc_u32_e32 v13, 1, v1
	v_mul_lo_u32 v18, v14, s44
	v_add_nc_u32_e32 v20, 1, v16
	v_sub_nc_u32_e32 v2, v12, v2
	v_sub_nc_u32_e32 v18, v12, v18
	v_subrev_nc_u32_e32 v15, s37, v2
	v_cmp_le_u32_e32 vcc_lo, s37, v2
	v_cndmask_b32_e32 v1, v1, v13, vcc_lo
	v_cndmask_b32_e32 v2, v2, v15, vcc_lo
	v_ashrrev_i32_e32 v13, 31, v0
	v_add_nc_u32_e32 v15, 1, v1
	v_cmp_le_u32_e32 vcc_lo, s37, v2
	v_xor_b32_e32 v17, s41, v13
	v_mul_lo_u32 v2, v16, s45
	v_xor_b32_e32 v21, s50, v13
	v_xor_b32_e32 v22, s51, v13
	v_cndmask_b32_e32 v1, v1, v15, vcc_lo
	v_add_nc_u32_e32 v15, 1, v14
	v_cmp_le_u32_e32 vcc_lo, s44, v18
	v_mul_i32_i24_e32 v19, 3, v17
	v_xor_b32_e32 v1, v1, v17
	v_sub_nc_u32_e32 v23, v12, v2
	v_sub_nc_u32_e32 v2, v1, v17
	v_lshl_add_u32 v1, v1, 1, v1
	v_cndmask_b32_e32 v17, v14, v15, vcc_lo
	v_subrev_nc_u32_e32 v14, s44, v18
	v_cmp_le_u32_e64 s0, s45, v23
	v_mul_lo_u32 v15, s55, v2
	v_sub_nc_u32_e32 v19, v1, v19
	v_add_nc_u32_e32 v25, 1, v17
	v_cndmask_b32_e32 v18, v18, v14, vcc_lo
	v_cndmask_b32_e64 v16, v16, v20, s0
	v_subrev_nc_u32_e32 v20, s45, v23
	v_mad_u64_u32 v[1:2], null, s2, v19, s[2:3]
	v_add_nc_u32_e32 v24, v0, v15
	v_add_nc_u32_e32 v2, 2, v19
	;; [unrolled: 1-line block ×3, first 2 shown]
	v_cmp_le_u32_e32 vcc_lo, s44, v18
	v_cndmask_b32_e64 v20, v23, v20, s0
	v_ashrrev_i32_e32 v30, 31, v24
	v_mul_lo_u32 v14, s2, v2
	v_add_nc_u32_e32 v24, v0, v1
	v_mul_lo_u32 v2, s2, v19
	v_cndmask_b32_e32 v17, v17, v25, vcc_lo
	v_add3_u32 v19, v30, v15, v0
	v_add_nc_u32_e32 v23, 1, v16
	v_ashrrev_i32_e32 v29, 31, v24
	v_cmp_le_u32_e32 vcc_lo, s45, v20
	v_add_nc_u32_e32 v24, v0, v14
	v_xor_b32_e32 v19, v19, v30
	v_add_nc_u32_e32 v18, v0, v2
	v_add3_u32 v25, v29, v1, v0
	v_cndmask_b32_e32 v23, v16, v23, vcc_lo
	v_ashrrev_i32_e32 v27, 31, v24
	v_mul_hi_u32 v24, v19, v4
	v_ashrrev_i32_e32 v26, 31, v18
	v_xor_b32_e32 v20, v25, v29
	v_xor_b32_e32 v25, s43, v30
	v_add3_u32 v16, v27, v14, v0
	v_xor_b32_e32 v32, s43, v29
	v_add3_u32 v18, v26, v2, v0
	v_mul_hi_u32 v28, v20, v4
	v_mul_lo_u32 v31, v24, s38
	v_xor_b32_e32 v16, v16, v27
	v_add_nc_u32_e32 v36, 1, v24
	v_xor_b32_e32 v18, v18, v26
	v_xor_b32_e32 v33, s43, v27
	v_xor_b32_e32 v17, v17, v21
	v_mul_hi_u32 v34, v16, v4
	v_mul_lo_u32 v37, v28, s38
	v_sub_nc_u32_e32 v31, v19, v31
	v_mul_hi_u32 v38, v18, v4
	v_add_nc_u32_e32 v39, 1, v28
	v_xor_b32_e32 v35, s43, v26
	v_xor_b32_e32 v23, v23, v22
	v_cmp_le_u32_e32 vcc_lo, s38, v31
	v_subrev_nc_u32_e32 v42, s38, v31
	v_mul_lo_u32 v40, v34, s38
	v_add_nc_u32_e32 v41, 1, v34
	v_add_nc_u32_e32 v43, 1, v38
	v_cndmask_b32_e32 v24, v24, v36, vcc_lo
	v_sub_nc_u32_e32 v36, v20, v37
	v_cndmask_b32_e32 v31, v31, v42, vcc_lo
	v_mul_lo_u32 v37, v38, s38
	v_sub_nc_u32_e32 v40, v16, v40
	v_cmp_le_u32_e32 vcc_lo, s38, v36
	v_add_nc_u32_e32 v42, 1, v24
	v_cmp_le_u32_e64 s0, s38, v31
	v_cndmask_b32_e32 v28, v28, v39, vcc_lo
	v_subrev_nc_u32_e32 v39, s38, v36
	v_sub_nc_u32_e32 v37, v18, v37
	v_cndmask_b32_e64 v24, v24, v42, s0
	v_cndmask_b32_e32 v31, v36, v39, vcc_lo
	v_cmp_le_u32_e32 vcc_lo, s38, v40
	v_subrev_nc_u32_e32 v39, s38, v40
	v_add_nc_u32_e32 v36, 1, v28
	v_cmp_le_u32_e64 s0, s38, v37
	v_cmp_le_u32_e64 s1, s38, v31
	v_cndmask_b32_e32 v34, v34, v41, vcc_lo
	v_subrev_nc_u32_e32 v41, s38, v37
	v_cndmask_b32_e32 v31, v40, v39, vcc_lo
	v_cndmask_b32_e64 v38, v38, v43, s0
	v_xor_b32_e32 v24, v24, v25
	v_cndmask_b32_e64 v28, v28, v36, s1
	v_add_nc_u32_e32 v36, 1, v34
	v_cndmask_b32_e64 v37, v37, v41, s0
	v_cmp_le_u32_e32 vcc_lo, s38, v31
	v_add_nc_u32_e32 v39, 1, v38
	v_sub_nc_u32_e32 v40, v24, v25
	v_xor_b32_e32 v24, v28, v32
	v_cndmask_b32_e32 v25, v34, v36, vcc_lo
	v_cmp_le_u32_e32 vcc_lo, s38, v37
	v_mul_lo_u32 v31, v40, s33
	v_sub_nc_u32_e32 v34, v24, v32
	v_sub_nc_u32_e32 v36, v23, v22
	v_xor_b32_e32 v24, v25, v33
	v_cndmask_b32_e32 v28, v38, v39, vcc_lo
	v_sub_nc_u32_e32 v37, v24, v33
	v_xor_b32_e32 v25, v28, v35
	v_sub_nc_u32_e32 v28, v17, v21
	v_mul_lo_u32 v17, v34, s33
	v_sub_nc_u32_e32 v24, v15, v31
	v_sub_nc_u32_e32 v38, v25, v35
	v_mad_u64_u32 v[21:22], null, s56, v28, v[0:1]
	v_mul_lo_u32 v25, v37, s33
	v_mad_u64_u32 v[22:23], null, s57, v36, v[0:1]
	v_mul_lo_u32 v31, v38, s33
	v_sub_nc_u32_e32 v32, v1, v17
	v_add_nc_u32_e32 v23, v0, v24
	v_mul_lo_u32 v17, v21, s27
	v_sub_nc_u32_e32 v25, v14, v25
	v_add_nc_u32_e32 v24, v0, v32
	v_mul_lo_u32 v21, v23, s15
	v_sub_nc_u32_e32 v31, v2, v31
	v_mul_lo_u32 v22, v22, s31
	v_add_nc_u32_e32 v33, v0, v25
	v_mul_lo_u32 v23, v24, s15
	v_mad_u64_u32 v[24:25], null, v28, s26, v[17:18]
	v_add_nc_u32_e32 v35, v0, v31
	v_mul_lo_u32 v17, v33, s15
	v_mad_u64_u32 v[31:32], null, v40, s14, v[21:22]
	v_mul_lo_u32 v21, v35, s15
	v_mad_u64_u32 v[33:34], null, v34, s14, v[23:24]
	v_mad_u64_u32 v[22:23], null, v36, s30, v[22:23]
	;; [unrolled: 1-line block ×3, first 2 shown]
	v_ashrrev_i32_e32 v32, 31, v31
	v_ashrrev_i32_e32 v25, 31, v24
	;; [unrolled: 1-line block ×3, first 2 shown]
	v_mad_u64_u32 v[37:38], null, v38, s14, v[21:22]
	v_ashrrev_i32_e32 v36, 31, v35
	v_lshlrev_b64 v[31:32], 1, v[31:32]
	v_lshlrev_b64 v[33:34], 1, v[33:34]
	v_ashrrev_i32_e32 v23, 31, v22
	v_lshlrev_b64 v[24:25], 1, v[24:25]
	v_lshlrev_b64 v[35:36], 1, v[35:36]
	v_ashrrev_i32_e32 v38, 31, v37
	v_add_co_u32 v31, vcc_lo, s12, v31
	v_add_co_ci_u32_e64 v32, null, s13, v32, vcc_lo
	v_lshlrev_b64 v[37:38], 1, v[37:38]
	v_add_co_u32 v33, vcc_lo, s12, v33
	v_add_co_ci_u32_e64 v34, null, s13, v34, vcc_lo
	v_add_co_u32 v35, vcc_lo, s12, v35
	v_lshlrev_b64 v[21:22], 1, v[22:23]
	v_add_co_ci_u32_e64 v36, null, s13, v36, vcc_lo
	v_add_co_u32 v37, vcc_lo, s12, v37
	v_add_co_ci_u32_e64 v38, null, s13, v38, vcc_lo
	v_add_co_u32 v39, vcc_lo, s20, v24
	;; [unrolled: 2-line block ×3, first 2 shown]
	v_add_co_ci_u32_e64 v42, null, s29, v22, vcc_lo
	s_clause 0x3
	global_load_ushort v22, v[31:32], off
	global_load_ushort v17, v[33:34], off
	global_load_ushort v23, v[35:36], off
	global_load_ushort v24, v[37:38], off
	global_load_ushort v21, v[39:40], off
	global_load_ushort v31, v[41:42], off
	v_mov_b32_e32 v25, 0
	s_andn2_b32 vcc_lo, exec_lo, s35
	s_cbranch_vccnz .LBB29_5
; %bb.4:                                ;   in Loop: Header=BB29_3 Depth=1
	v_mul_hi_u32 v25, v12, v9
	v_mul_lo_u32 v28, v25, s47
	v_add_nc_u32_e32 v32, 1, v25
	v_sub_nc_u32_e32 v28, v12, v28
	v_subrev_nc_u32_e32 v33, s47, v28
	v_cmp_le_u32_e32 vcc_lo, s47, v28
	v_cndmask_b32_e32 v25, v25, v32, vcc_lo
	v_cndmask_b32_e32 v28, v28, v33, vcc_lo
	v_xor_b32_e32 v33, s53, v13
	v_add_nc_u32_e32 v32, 1, v25
	v_cmp_le_u32_e32 vcc_lo, s47, v28
	v_cndmask_b32_e32 v25, v25, v32, vcc_lo
	v_xor_b32_e32 v25, v25, v33
	v_sub_nc_u32_e32 v28, v25, v33
	v_mad_u64_u32 v[32:33], null, s59, v28, v[0:1]
	v_mul_lo_u32 v25, v32, s11
	v_mad_u64_u32 v[32:33], null, v28, s10, v[25:26]
	v_ashrrev_i32_e32 v33, 31, v32
	v_lshlrev_b64 v[32:33], 1, v[32:33]
	v_add_co_u32 v32, vcc_lo, s6, v32
	v_add_co_ci_u32_e64 v33, null, s7, v33, vcc_lo
	global_load_ushort v25, v[32:33], off
	s_waitcnt vmcnt(0)
	v_lshlrev_b32_e32 v25, 16, v25
.LBB29_5:                               ;   in Loop: Header=BB29_3 Depth=1
	s_andn2_b32 vcc_lo, exec_lo, s36
	s_cbranch_vccnz .LBB29_7
; %bb.6:                                ;   in Loop: Header=BB29_3 Depth=1
	v_mul_hi_u32 v28, v12, v10
	v_mul_lo_u32 v32, v28, s48
	v_add_nc_u32_e32 v33, 1, v28
	v_sub_nc_u32_e32 v32, v12, v32
	v_subrev_nc_u32_e32 v34, s48, v32
	v_cmp_le_u32_e32 vcc_lo, s48, v32
	v_cndmask_b32_e32 v28, v28, v33, vcc_lo
	v_cndmask_b32_e32 v32, v32, v34, vcc_lo
	v_xor_b32_e32 v34, s54, v13
	v_add_nc_u32_e32 v33, 1, v28
	v_cmp_le_u32_e32 vcc_lo, s48, v32
	v_cndmask_b32_e32 v28, v28, v33, vcc_lo
	v_xor_b32_e32 v28, v28, v34
	v_sub_nc_u32_e32 v34, v28, v34
	v_mad_u64_u32 v[32:33], null, s60, v34, v[0:1]
	v_mul_lo_u32 v28, v32, s23
	v_mad_u64_u32 v[32:33], null, v34, s22, v[28:29]
	v_ashrrev_i32_e32 v33, 31, v32
	v_lshlrev_b64 v[32:33], 1, v[32:33]
	v_add_co_u32 v32, vcc_lo, s8, v32
	v_add_co_ci_u32_e64 v33, null, s9, v33, vcc_lo
	global_load_ushort v28, v[32:33], off
	s_waitcnt vmcnt(0)
	v_lshlrev_b32_e32 v28, 16, v28
	s_branch .LBB29_8
.LBB29_7:                               ;   in Loop: Header=BB29_3 Depth=1
	v_mov_b32_e32 v28, 0
.LBB29_8:                               ;   in Loop: Header=BB29_3 Depth=1
	s_waitcnt vmcnt(0)
	v_lshlrev_b32_e32 v31, 16, v31
                                        ; implicit-def: $vgpr32
	v_cmp_ngt_f32_e64 s0, 0x3f200000, |v31|
	s_and_saveexec_b32 s1, s0
	s_xor_b32 s0, exec_lo, s1
	s_cbranch_execz .LBB29_10
; %bb.9:                                ;   in Loop: Header=BB29_3 Depth=1
	v_add_f32_e64 v32, |v31|, |v31|
	v_mul_f32_e32 v33, 0x3fb8aa3b, v32
	v_cmp_ngt_f32_e32 vcc_lo, 0xc2ce8ed0, v32
	v_rndne_f32_e32 v34, v33
	v_fma_f32 v35, 0x3fb8aa3b, v32, -v33
	v_sub_f32_e32 v33, v33, v34
	v_fmac_f32_e32 v35, 0x32a5705f, v32
	v_cvt_i32_f32_e32 v34, v34
	v_add_f32_e32 v33, v33, v35
	v_exp_f32_e32 v33, v33
	v_ldexp_f32 v33, v33, v34
	v_cndmask_b32_e32 v33, 0, v33, vcc_lo
	v_cmp_nlt_f32_e32 vcc_lo, 0x42b17218, v32
	v_cndmask_b32_e32 v32, 0x7f800000, v33, vcc_lo
	v_add_f32_e32 v32, 1.0, v32
	v_rcp_f32_e32 v32, v32
	v_fma_f32 v32, v32, -2.0, 1.0
.LBB29_10:                              ;   in Loop: Header=BB29_3 Depth=1
	s_andn2_saveexec_b32 s0, s0
	s_cbranch_execz .LBB29_2
; %bb.11:                               ;   in Loop: Header=BB29_3 Depth=1
	v_mul_f32_e32 v32, v31, v31
	v_fmaak_f32 v33, s61, v32, 0x3ca908c9
	v_fmaak_f32 v33, v32, v33, 0xbd5c1c4e
	;; [unrolled: 1-line block ×4, first 2 shown]
	v_mul_f32_e64 v33, |v31|, v33
	v_fma_f32 v32, v32, v33, |v31|
	s_branch .LBB29_2
.LBB29_12:
	s_endpgm
	.section	.rodata,"a",@progbits
	.p2align	6, 0x0
	.amdhsa_kernel _ZN2at6native12_GLOBAL__N_16kernel18lstm_cell_backwardIN3c108BFloat16EfiLi2EEEvNS_4cuda6detail10TensorInfoIT_T1_EESB_SB_SB_SB_SB_SB_SA_SA_
		.amdhsa_group_segment_fixed_size 0
		.amdhsa_private_segment_fixed_size 0
		.amdhsa_kernarg_size 1776
		.amdhsa_user_sgpr_count 6
		.amdhsa_user_sgpr_private_segment_buffer 1
		.amdhsa_user_sgpr_dispatch_ptr 0
		.amdhsa_user_sgpr_queue_ptr 0
		.amdhsa_user_sgpr_kernarg_segment_ptr 1
		.amdhsa_user_sgpr_dispatch_id 0
		.amdhsa_user_sgpr_flat_scratch_init 0
		.amdhsa_user_sgpr_private_segment_size 0
		.amdhsa_wavefront_size32 1
		.amdhsa_uses_dynamic_stack 0
		.amdhsa_system_sgpr_private_segment_wavefront_offset 0
		.amdhsa_system_sgpr_workgroup_id_x 1
		.amdhsa_system_sgpr_workgroup_id_y 0
		.amdhsa_system_sgpr_workgroup_id_z 0
		.amdhsa_system_sgpr_workgroup_info 0
		.amdhsa_system_vgpr_workitem_id 0
		.amdhsa_next_free_vgpr 45
		.amdhsa_next_free_sgpr 62
		.amdhsa_reserve_vcc 1
		.amdhsa_reserve_flat_scratch 0
		.amdhsa_float_round_mode_32 0
		.amdhsa_float_round_mode_16_64 0
		.amdhsa_float_denorm_mode_32 3
		.amdhsa_float_denorm_mode_16_64 3
		.amdhsa_dx10_clamp 1
		.amdhsa_ieee_mode 1
		.amdhsa_fp16_overflow 0
		.amdhsa_workgroup_processor_mode 1
		.amdhsa_memory_ordered 1
		.amdhsa_forward_progress 1
		.amdhsa_shared_vgpr_count 0
		.amdhsa_exception_fp_ieee_invalid_op 0
		.amdhsa_exception_fp_denorm_src 0
		.amdhsa_exception_fp_ieee_div_zero 0
		.amdhsa_exception_fp_ieee_overflow 0
		.amdhsa_exception_fp_ieee_underflow 0
		.amdhsa_exception_fp_ieee_inexact 0
		.amdhsa_exception_int_div_zero 0
	.end_amdhsa_kernel
	.section	.text._ZN2at6native12_GLOBAL__N_16kernel18lstm_cell_backwardIN3c108BFloat16EfiLi2EEEvNS_4cuda6detail10TensorInfoIT_T1_EESB_SB_SB_SB_SB_SB_SA_SA_,"axG",@progbits,_ZN2at6native12_GLOBAL__N_16kernel18lstm_cell_backwardIN3c108BFloat16EfiLi2EEEvNS_4cuda6detail10TensorInfoIT_T1_EESB_SB_SB_SB_SB_SB_SA_SA_,comdat
.Lfunc_end29:
	.size	_ZN2at6native12_GLOBAL__N_16kernel18lstm_cell_backwardIN3c108BFloat16EfiLi2EEEvNS_4cuda6detail10TensorInfoIT_T1_EESB_SB_SB_SB_SB_SB_SA_SA_, .Lfunc_end29-_ZN2at6native12_GLOBAL__N_16kernel18lstm_cell_backwardIN3c108BFloat16EfiLi2EEEvNS_4cuda6detail10TensorInfoIT_T1_EESB_SB_SB_SB_SB_SB_SA_SA_
                                        ; -- End function
	.set _ZN2at6native12_GLOBAL__N_16kernel18lstm_cell_backwardIN3c108BFloat16EfiLi2EEEvNS_4cuda6detail10TensorInfoIT_T1_EESB_SB_SB_SB_SB_SB_SA_SA_.num_vgpr, 45
	.set _ZN2at6native12_GLOBAL__N_16kernel18lstm_cell_backwardIN3c108BFloat16EfiLi2EEEvNS_4cuda6detail10TensorInfoIT_T1_EESB_SB_SB_SB_SB_SB_SA_SA_.num_agpr, 0
	.set _ZN2at6native12_GLOBAL__N_16kernel18lstm_cell_backwardIN3c108BFloat16EfiLi2EEEvNS_4cuda6detail10TensorInfoIT_T1_EESB_SB_SB_SB_SB_SB_SA_SA_.numbered_sgpr, 62
	.set _ZN2at6native12_GLOBAL__N_16kernel18lstm_cell_backwardIN3c108BFloat16EfiLi2EEEvNS_4cuda6detail10TensorInfoIT_T1_EESB_SB_SB_SB_SB_SB_SA_SA_.num_named_barrier, 0
	.set _ZN2at6native12_GLOBAL__N_16kernel18lstm_cell_backwardIN3c108BFloat16EfiLi2EEEvNS_4cuda6detail10TensorInfoIT_T1_EESB_SB_SB_SB_SB_SB_SA_SA_.private_seg_size, 0
	.set _ZN2at6native12_GLOBAL__N_16kernel18lstm_cell_backwardIN3c108BFloat16EfiLi2EEEvNS_4cuda6detail10TensorInfoIT_T1_EESB_SB_SB_SB_SB_SB_SA_SA_.uses_vcc, 1
	.set _ZN2at6native12_GLOBAL__N_16kernel18lstm_cell_backwardIN3c108BFloat16EfiLi2EEEvNS_4cuda6detail10TensorInfoIT_T1_EESB_SB_SB_SB_SB_SB_SA_SA_.uses_flat_scratch, 0
	.set _ZN2at6native12_GLOBAL__N_16kernel18lstm_cell_backwardIN3c108BFloat16EfiLi2EEEvNS_4cuda6detail10TensorInfoIT_T1_EESB_SB_SB_SB_SB_SB_SA_SA_.has_dyn_sized_stack, 0
	.set _ZN2at6native12_GLOBAL__N_16kernel18lstm_cell_backwardIN3c108BFloat16EfiLi2EEEvNS_4cuda6detail10TensorInfoIT_T1_EESB_SB_SB_SB_SB_SB_SA_SA_.has_recursion, 0
	.set _ZN2at6native12_GLOBAL__N_16kernel18lstm_cell_backwardIN3c108BFloat16EfiLi2EEEvNS_4cuda6detail10TensorInfoIT_T1_EESB_SB_SB_SB_SB_SB_SA_SA_.has_indirect_call, 0
	.section	.AMDGPU.csdata,"",@progbits
; Kernel info:
; codeLenInByte = 3272
; TotalNumSgprs: 64
; NumVgprs: 45
; ScratchSize: 0
; MemoryBound: 0
; FloatMode: 240
; IeeeMode: 1
; LDSByteSize: 0 bytes/workgroup (compile time only)
; SGPRBlocks: 0
; VGPRBlocks: 5
; NumSGPRsForWavesPerEU: 64
; NumVGPRsForWavesPerEU: 45
; Occupancy: 16
; WaveLimiterHint : 1
; COMPUTE_PGM_RSRC2:SCRATCH_EN: 0
; COMPUTE_PGM_RSRC2:USER_SGPR: 6
; COMPUTE_PGM_RSRC2:TRAP_HANDLER: 0
; COMPUTE_PGM_RSRC2:TGID_X_EN: 1
; COMPUTE_PGM_RSRC2:TGID_Y_EN: 0
; COMPUTE_PGM_RSRC2:TGID_Z_EN: 0
; COMPUTE_PGM_RSRC2:TIDIG_COMP_CNT: 0
	.section	.text._ZN2at6native12_GLOBAL__N_16kernel18lstm_cell_backwardIN3c108BFloat16EflLi1EEEvNS_4cuda6detail10TensorInfoIT_T1_EESB_SB_SB_SB_SB_SB_SA_SA_,"axG",@progbits,_ZN2at6native12_GLOBAL__N_16kernel18lstm_cell_backwardIN3c108BFloat16EflLi1EEEvNS_4cuda6detail10TensorInfoIT_T1_EESB_SB_SB_SB_SB_SB_SA_SA_,comdat
	.globl	_ZN2at6native12_GLOBAL__N_16kernel18lstm_cell_backwardIN3c108BFloat16EflLi1EEEvNS_4cuda6detail10TensorInfoIT_T1_EESB_SB_SB_SB_SB_SB_SA_SA_ ; -- Begin function _ZN2at6native12_GLOBAL__N_16kernel18lstm_cell_backwardIN3c108BFloat16EflLi1EEEvNS_4cuda6detail10TensorInfoIT_T1_EESB_SB_SB_SB_SB_SB_SA_SA_
	.p2align	8
	.type	_ZN2at6native12_GLOBAL__N_16kernel18lstm_cell_backwardIN3c108BFloat16EflLi1EEEvNS_4cuda6detail10TensorInfoIT_T1_EESB_SB_SB_SB_SB_SB_SA_SA_,@function
_ZN2at6native12_GLOBAL__N_16kernel18lstm_cell_backwardIN3c108BFloat16EflLi1EEEvNS_4cuda6detail10TensorInfoIT_T1_EESB_SB_SB_SB_SB_SB_SA_SA_: ; @_ZN2at6native12_GLOBAL__N_16kernel18lstm_cell_backwardIN3c108BFloat16EflLi1EEEvNS_4cuda6detail10TensorInfoIT_T1_EESB_SB_SB_SB_SB_SB_SA_SA_
; %bb.0:
	s_clause 0x1
	s_load_dword s0, s[4:5], 0xb7c
	s_load_dwordx4 s[8:11], s[4:5], 0xb60
	v_mov_b32_e32 v1, 0
	s_add_u32 s2, s4, 0xb70
	s_addc_u32 s3, s5, 0
	s_waitcnt lgkmcnt(0)
	s_and_b32 s16, s0, 0xffff
	s_mov_b32 s0, exec_lo
	v_mad_u64_u32 v[3:4], null, s6, s16, v[0:1]
	v_mov_b32_e32 v4, v1
	v_cmpx_gt_i64_e64 s[10:11], v[3:4]
	s_cbranch_execz .LBB30_15
; %bb.1:
	s_clause 0x2
	s_load_dwordx2 s[36:37], s[4:5], 0x410
	s_load_dwordx2 s[20:21], s[4:5], 0x680
	;; [unrolled: 1-line block ×3, first 2 shown]
	s_load_dword s17, s[2:3], 0x0
	s_clause 0xa
	s_load_dwordx2 s[38:39], s[4:5], 0x340
	s_load_dwordx2 s[40:41], s[4:5], 0x4e0
	;; [unrolled: 1-line block ×11, first 2 shown]
	s_mul_i32 s4, s9, 3
	s_mul_hi_u32 s5, s8, 3
	s_mov_b32 s28, 0
	s_mul_i32 s34, s8, 3
	s_waitcnt lgkmcnt(0)
	v_mul_lo_u32 v0, 0, s36
	v_mul_lo_u32 v2, v3, s37
	v_mad_u64_u32 v[5:6], null, v3, s36, 0
	s_cmp_lg_u64 s[20:21], 0
	s_mul_i32 s29, s17, s16
	v_mul_lo_u32 v9, 0, s42
	v_mad_u64_u32 v[7:8], null, v3, s42, 0
	s_cselect_b32 s30, -1, 0
	v_add3_u32 v6, v6, v2, v0
	v_mul_lo_u32 v0, v3, s43
	v_mad_u64_u32 v[11:12], null, v3, s24, 0
	v_mul_lo_u32 v2, v3, s19
	v_mad_u64_u32 v[13:14], null, v3, s22, 0
	v_lshlrev_b64 v[5:6], 1, v[5:6]
	s_cmp_lg_u64 s[0:1], 0
	v_add3_u32 v8, v8, v0, v9
	v_mul_lo_u32 v0, 0, s18
	v_mad_u64_u32 v[9:10], null, v3, s18, 0
	v_add_co_u32 v5, vcc_lo, s38, v5
	v_lshlrev_b64 v[7:8], 1, v[7:8]
	v_add_co_ci_u32_e64 v6, null, s39, v6, vcc_lo
	s_cselect_b32 s31, -1, 0
	v_add3_u32 v10, v10, v2, v0
	v_mul_lo_u32 v0, 0, s24
	v_mul_lo_u32 v2, v3, s25
	v_add_co_u32 v7, vcc_lo, s40, v7
	v_lshlrev_b64 v[9:10], 1, v[9:10]
	v_add_co_ci_u32_e64 v8, null, s41, v8, vcc_lo
	s_add_i32 s33, s5, s4
	s_mul_i32 s4, s29, s37
	v_add3_u32 v12, v12, v2, v0
	v_mul_lo_u32 v0, 0, s22
	v_mul_lo_u32 v2, v3, s23
	v_add_co_u32 v9, vcc_lo, s26, v9
	v_lshlrev_b64 v[11:12], 1, v[11:12]
	v_add_co_ci_u32_e64 v10, null, s27, v10, vcc_lo
	s_mul_hi_u32 s5, s29, s36
	s_mul_i32 s16, s29, s43
	v_add3_u32 v14, v14, v2, v0
	v_add_co_u32 v11, vcc_lo, s20, v11
	v_add_co_ci_u32_e64 v12, null, s21, v12, vcc_lo
	v_lshlrev_b64 v[13:14], 1, v[13:14]
	s_mul_hi_u32 s17, s29, s42
	s_mul_i32 s19, s29, s19
	s_mul_hi_u32 s35, s29, s18
	s_mul_i32 s25, s29, s25
	s_mul_hi_u32 s26, s29, s24
	v_add_co_u32 v13, vcc_lo, s0, v13
	s_mul_i32 s20, s29, s24
	s_mul_i32 s23, s29, s23
	s_mul_hi_u32 s24, s29, s22
	v_add_co_ci_u32_e64 v14, null, s1, v14, vcc_lo
	s_add_i32 s5, s5, s4
	s_mul_i32 s4, s29, s36
	s_add_i32 s17, s17, s16
	s_mul_i32 s16, s29, s42
	;; [unrolled: 2-line block ×3, first 2 shown]
	s_add_i32 s21, s26, s25
	s_add_i32 s23, s24, s23
	s_mul_i32 s22, s29, s22
	s_lshl_b64 s[4:5], s[4:5], 1
	s_lshl_b64 s[16:17], s[16:17], 1
	;; [unrolled: 1-line block ×5, first 2 shown]
	s_ashr_i32 s24, s9, 31
	s_mov_b32 s1, 0xbbbac73d
	s_branch .LBB30_3
.LBB30_2:                               ;   in Loop: Header=BB30_3 Depth=1
	s_or_b32 exec_lo, exec_lo, s0
	v_mul_lo_u32 v2, v2, s14
	v_mul_lo_u32 v32, v17, s15
	v_mad_u64_u32 v[30:31], null, v17, s14, 0
	v_mul_lo_u32 v27, v27, s14
	v_mul_lo_u32 v33, v18, s15
	v_mad_u64_u32 v[17:18], null, v18, s14, 0
	v_lshlrev_b32_e32 v23, 16, v23
	v_lshlrev_b32_e32 v21, 16, v21
	v_add3_u32 v31, v31, v32, v2
	v_mul_lo_u32 v2, v25, s14
	v_mul_lo_u32 v25, v20, s15
	v_lshlrev_b32_e32 v24, 16, v24
	v_add3_u32 v18, v18, v33, v27
	v_mad_u64_u32 v[32:33], null, v20, s14, 0
	v_lshlrev_b32_e32 v27, 16, v26
	v_lshlrev_b64 v[30:31], 1, v[30:31]
	v_lshlrev_b64 v[17:18], 1, v[17:18]
	v_add_co_u32 v13, s0, v13, s22
	v_mul_f32_e32 v20, v22, v27
	v_add3_u32 v33, v33, v25, v2
	v_bfi_b32 v2, 0x7fffffff, v29, v28
	v_add_co_u32 v30, vcc_lo, s12, v30
	v_add_co_ci_u32_e64 v31, null, s13, v31, vcc_lo
	v_fma_f32 v28, -v2, v2, 1.0
	v_lshlrev_b64 v[25:26], 1, v[32:33]
	v_add_co_u32 v17, vcc_lo, s12, v17
	v_add_co_ci_u32_e64 v18, null, s13, v18, vcc_lo
	v_fmac_f32_e32 v0, v20, v28
	v_lshlrev_b32_e32 v28, 16, v19
	v_add_co_u32 v19, vcc_lo, s12, v25
	v_add_co_ci_u32_e64 v20, null, s13, v26, vcc_lo
	v_mul_f32_e32 v25, v0, v23
	v_sub_f32_e32 v26, 1.0, v21
	v_mul_lo_u32 v29, v16, s14
	v_mul_lo_u32 v32, v15, s15
	v_mad_u64_u32 v[15:16], null, v15, s14, 0
	v_mul_f32_e32 v24, v0, v24
	v_sub_f32_e32 v33, 1.0, v28
	v_mul_f32_e32 v2, v22, v2
	v_mul_f32_e32 v22, v26, v25
	;; [unrolled: 1-line block ×3, first 2 shown]
	v_fma_f32 v23, -v23, v23, 1.0
	v_mul_f32_e32 v24, v33, v24
	v_add3_u32 v16, v16, v32, v29
	v_mul_f32_e32 v21, v22, v21
	v_sub_f32_e32 v26, 1.0, v27
	v_mul_f32_e32 v23, v23, v25
	v_mul_f32_e32 v22, v24, v28
	v_lshlrev_b64 v[15:16], 1, v[15:16]
	v_bfe_u32 v24, v21, 16, 1
	v_mul_f32_e32 v2, v26, v2
	v_bfe_u32 v26, v23, 16, 1
	v_bfe_u32 v25, v22, 16, 1
	v_mul_f32_e32 v0, v0, v28
	v_add3_u32 v24, v21, v24, 0x7fff
	v_add_co_u32 v15, vcc_lo, s12, v15
	v_add_co_ci_u32_e64 v16, null, s13, v16, vcc_lo
	v_mul_f32_e32 v2, v2, v27
	v_lshrrev_b32_e32 v24, 16, v24
	v_add3_u32 v25, v22, v25, 0x7fff
	v_cmp_o_f32_e32 vcc_lo, v21, v21
	v_add3_u32 v26, v23, v26, 0x7fff
	v_bfe_u32 v27, v2, 16, 1
	v_bfe_u32 v28, v0, 16, 1
	v_add_co_ci_u32_e64 v14, null, s23, v14, s0
	v_cndmask_b32_e32 v21, 0x7fc0, v24, vcc_lo
	v_lshrrev_b32_e32 v24, 16, v25
	v_cmp_o_f32_e32 vcc_lo, v22, v22
	v_add3_u32 v25, v2, v27, 0x7fff
	v_lshrrev_b32_e32 v26, 16, v26
	v_add3_u32 v27, v0, v28, 0x7fff
	v_cndmask_b32_e32 v22, 0x7fc0, v24, vcc_lo
	v_cmp_o_f32_e32 vcc_lo, v23, v23
	v_lshrrev_b32_e32 v24, 16, v25
	v_lshrrev_b32_e32 v25, 16, v27
	v_cndmask_b32_e32 v23, 0x7fc0, v26, vcc_lo
	v_cmp_o_f32_e32 vcc_lo, v2, v2
	v_cndmask_b32_e32 v2, 0x7fc0, v24, vcc_lo
	v_cmp_o_f32_e32 vcc_lo, v0, v0
	v_cndmask_b32_e32 v0, 0x7fc0, v25, vcc_lo
	v_add_co_u32 v3, vcc_lo, v3, s29
	v_add_co_ci_u32_e64 v4, null, 0, v4, vcc_lo
	v_add_co_u32 v5, vcc_lo, v5, s4
	v_add_co_ci_u32_e64 v6, null, s5, v6, vcc_lo
	v_add_co_u32 v7, vcc_lo, v7, s16
	global_store_short v[30:31], v21, off
	global_store_short v[17:18], v22, off
	;; [unrolled: 1-line block ×5, first 2 shown]
	v_add_co_ci_u32_e64 v8, null, s17, v8, vcc_lo
	v_add_co_u32 v9, vcc_lo, v9, s18
	v_add_co_ci_u32_e64 v10, null, s19, v10, vcc_lo
	v_add_co_u32 v11, vcc_lo, v11, s20
	v_add_co_ci_u32_e64 v12, null, s21, v12, vcc_lo
	v_cmp_le_i64_e32 vcc_lo, s[10:11], v[3:4]
	s_or_b32 s28, vcc_lo, s28
	s_andn2_b32 exec_lo, exec_lo, s28
	s_cbranch_execz .LBB30_15
.LBB30_3:                               ; =>This Inner Loop Header: Depth=1
	v_or_b32_e32 v2, s9, v4
                                        ; implicit-def: $vgpr15_vgpr16
	s_mov_b32 s0, exec_lo
	v_cmpx_ne_u64_e32 0, v[1:2]
	s_xor_b32 s35, exec_lo, s0
	s_cbranch_execz .LBB30_5
; %bb.4:                                ;   in Loop: Header=BB30_3 Depth=1
	s_add_u32 s26, s8, s24
	s_mov_b32 s25, s24
	s_addc_u32 s27, s9, s24
	v_ashrrev_i32_e32 v21, 31, v4
	s_xor_b64 s[26:27], s[26:27], s[24:25]
	v_cvt_f32_u32_e32 v0, s26
	v_cvt_f32_u32_e32 v2, s27
	s_sub_u32 s0, 0, s26
	s_subb_u32 s37, 0, s27
	v_add_co_u32 v15, vcc_lo, v3, v21
	v_fmac_f32_e32 v0, 0x4f800000, v2
	v_rcp_f32_e32 v0, v0
	v_mul_f32_e32 v0, 0x5f7ffffc, v0
	v_mul_f32_e32 v2, 0x2f800000, v0
	v_trunc_f32_e32 v2, v2
	v_fmac_f32_e32 v0, 0xcf800000, v2
	v_cvt_u32_f32_e32 v2, v2
	v_cvt_u32_f32_e32 v0, v0
	v_readfirstlane_b32 s25, v2
	v_xor_b32_e32 v2, v15, v21
	v_readfirstlane_b32 s36, v0
	s_mul_i32 s38, s0, s25
	v_add_co_ci_u32_e64 v0, null, v4, v21, vcc_lo
	s_mul_hi_u32 s40, s0, s36
	s_mul_i32 s39, s37, s36
	s_add_i32 s38, s40, s38
	s_mul_i32 s41, s0, s36
	s_add_i32 s38, s38, s39
	s_mul_hi_u32 s40, s36, s41
	s_mul_i32 s43, s36, s38
	s_mul_hi_u32 s42, s25, s41
	s_mul_i32 s39, s25, s41
	s_mul_hi_u32 s41, s36, s38
	s_add_u32 s40, s40, s43
	s_addc_u32 s41, 0, s41
	s_mul_hi_u32 s44, s25, s38
	s_add_u32 s39, s40, s39
	s_mul_i32 s38, s25, s38
	s_addc_u32 s39, s41, s42
	s_addc_u32 s40, s44, 0
	s_add_u32 s38, s39, s38
	s_addc_u32 s39, 0, s40
	s_add_u32 s36, s36, s38
	s_cselect_b32 s38, -1, 0
	s_mul_hi_u32 s40, s0, s36
	s_cmp_lg_u32 s38, 0
	s_mul_i32 s38, s0, s36
	s_addc_u32 s25, s25, s39
	s_mul_i32 s37, s37, s36
	s_mul_i32 s0, s0, s25
	s_mul_hi_u32 s39, s36, s38
	s_add_i32 s0, s40, s0
	s_mul_hi_u32 s40, s25, s38
	s_add_i32 s0, s0, s37
	s_mul_i32 s37, s25, s38
	s_mul_i32 s42, s36, s0
	s_mul_hi_u32 s41, s36, s0
	s_add_u32 s39, s39, s42
	s_addc_u32 s41, 0, s41
	s_mul_hi_u32 s38, s25, s0
	s_add_u32 s37, s39, s37
	s_mul_i32 s0, s25, s0
	s_addc_u32 s37, s41, s40
	s_addc_u32 s38, s38, 0
	s_add_u32 s0, s37, s0
	s_addc_u32 s37, 0, s38
	s_add_u32 s0, s36, s0
	s_cselect_b32 s36, -1, 0
	v_xor_b32_e32 v0, v0, v21
	s_cmp_lg_u32 s36, 0
	v_mul_hi_u32 v22, v2, s0
	s_addc_u32 s25, s25, s37
	v_mad_u64_u32 v[15:16], null, v2, s25, 0
	v_mad_u64_u32 v[17:18], null, v0, s0, 0
	;; [unrolled: 1-line block ×3, first 2 shown]
	v_add_co_u32 v15, vcc_lo, v22, v15
	v_add_co_ci_u32_e64 v16, null, 0, v16, vcc_lo
	v_add_co_u32 v15, vcc_lo, v15, v17
	v_add_co_ci_u32_e32 v15, vcc_lo, v16, v18, vcc_lo
	v_add_co_ci_u32_e32 v16, vcc_lo, 0, v20, vcc_lo
	v_add_co_u32 v17, vcc_lo, v15, v19
	v_add_co_ci_u32_e64 v18, null, 0, v16, vcc_lo
	v_mul_lo_u32 v19, s27, v17
	v_mad_u64_u32 v[15:16], null, s26, v17, 0
	v_mul_lo_u32 v20, s26, v18
	v_sub_co_u32 v2, vcc_lo, v2, v15
	v_add3_u32 v16, v16, v20, v19
	v_sub_nc_u32_e32 v19, v0, v16
	v_sub_co_ci_u32_e64 v0, null, v0, v16, vcc_lo
	v_subrev_co_ci_u32_e64 v15, null, s27, v19, vcc_lo
	v_add_co_u32 v19, s0, v17, 2
	v_add_co_ci_u32_e64 v20, null, 0, v18, s0
	v_sub_co_u32 v22, s0, v2, s26
	v_subrev_co_ci_u32_e64 v15, null, 0, v15, s0
	v_cmp_le_u32_e32 vcc_lo, s26, v22
	v_cndmask_b32_e64 v16, 0, -1, vcc_lo
	v_cmp_le_u32_e32 vcc_lo, s27, v15
	v_cndmask_b32_e64 v22, 0, -1, vcc_lo
	;; [unrolled: 2-line block ×4, first 2 shown]
	v_cmp_eq_u32_e32 vcc_lo, s27, v15
	v_cndmask_b32_e32 v15, v22, v16, vcc_lo
	v_add_co_u32 v16, vcc_lo, v17, 1
	v_add_co_ci_u32_e64 v22, null, 0, v18, vcc_lo
	v_cmp_eq_u32_e32 vcc_lo, s27, v0
	v_cndmask_b32_e32 v0, v23, v2, vcc_lo
	v_cmp_ne_u32_e32 vcc_lo, 0, v15
	v_cmp_ne_u32_e64 s0, 0, v0
	v_cndmask_b32_e32 v0, v16, v19, vcc_lo
	v_cndmask_b32_e32 v2, v22, v20, vcc_lo
	v_xor_b32_e32 v16, s24, v21
	v_cndmask_b32_e64 v0, v17, v0, s0
	v_cndmask_b32_e64 v2, v18, v2, s0
	v_xor_b32_e32 v0, v0, v16
	v_xor_b32_e32 v2, v2, v16
	v_sub_co_u32 v15, vcc_lo, v0, v16
	v_sub_co_ci_u32_e64 v16, null, v2, v16, vcc_lo
.LBB30_5:                               ;   in Loop: Header=BB30_3 Depth=1
	s_andn2_saveexec_b32 s0, s35
	s_cbranch_execz .LBB30_7
; %bb.6:                                ;   in Loop: Header=BB30_3 Depth=1
	v_cvt_f32_u32_e32 v0, s8
	s_sub_i32 s25, 0, s8
	v_rcp_iflag_f32_e32 v0, v0
	v_mul_f32_e32 v0, 0x4f7ffffe, v0
	v_cvt_u32_f32_e32 v0, v0
	v_mul_lo_u32 v2, s25, v0
	v_mul_hi_u32 v2, v0, v2
	v_add_nc_u32_e32 v0, v0, v2
	v_mul_hi_u32 v0, v3, v0
	v_mul_lo_u32 v2, v0, s8
	v_add_nc_u32_e32 v15, 1, v0
	v_sub_nc_u32_e32 v2, v3, v2
	v_subrev_nc_u32_e32 v16, s8, v2
	v_cmp_le_u32_e32 vcc_lo, s8, v2
	v_cndmask_b32_e32 v2, v2, v16, vcc_lo
	v_cndmask_b32_e32 v0, v0, v15, vcc_lo
	v_mov_b32_e32 v16, v1
	v_cmp_le_u32_e32 vcc_lo, s8, v2
	v_add_nc_u32_e32 v15, 1, v0
	v_cndmask_b32_e32 v15, v0, v15, vcc_lo
.LBB30_7:                               ;   in Loop: Header=BB30_3 Depth=1
	s_or_b32 exec_lo, exec_lo, s0
	v_mad_u64_u32 v[20:21], null, v15, 3, 0
	v_mad_u64_u32 v[17:18], null, s34, v15, v[3:4]
	v_mul_lo_u32 v2, s34, v16
	v_mul_lo_u32 v15, s33, v15
	v_mov_b32_e32 v0, v21
	v_mad_u64_u32 v[22:23], null, v17, s6, 0
	v_add3_u32 v2, v15, v18, v2
	v_mad_u64_u32 v[15:16], null, v16, 3, v[0:1]
	v_add_co_u32 v16, vcc_lo, v20, 1
	v_mul_lo_u32 v0, v17, s7
	v_mul_lo_u32 v24, v2, s6
	v_mul_lo_u32 v25, s9, v16
	v_add_co_ci_u32_e64 v21, null, 0, v15, vcc_lo
	v_mad_u64_u32 v[18:19], null, s8, v16, v[3:4]
	v_add_co_u32 v16, vcc_lo, v20, 2
	v_add_co_ci_u32_e64 v26, null, 0, v15, vcc_lo
	v_mul_lo_u32 v27, s8, v21
	v_add_co_u32 v28, vcc_lo, v20, 3
	v_add_co_ci_u32_e64 v30, null, 0, v15, vcc_lo
	v_mul_lo_u32 v29, s9, v16
	v_mad_u64_u32 v[20:21], null, s8, v16, v[3:4]
	v_mul_lo_u32 v26, s8, v26
	v_add3_u32 v27, v25, v19, v27
	v_mul_lo_u32 v19, s9, v28
	v_mad_u64_u32 v[15:16], null, s8, v28, v[3:4]
	v_mul_lo_u32 v30, s8, v30
	v_mul_lo_u32 v32, v27, s6
	v_add3_u32 v23, v23, v0, v24
	v_add3_u32 v25, v29, v21, v26
	v_mul_lo_u32 v26, v18, s7
	v_mad_u64_u32 v[28:29], null, v18, s6, 0
	v_mul_lo_u32 v33, v20, s7
	v_add3_u32 v16, v19, v16, v30
	v_mul_lo_u32 v0, v25, s6
	v_mad_u64_u32 v[30:31], null, v20, s6, 0
	v_lshlrev_b64 v[21:22], 1, v[22:23]
	v_add3_u32 v29, v29, v26, v32
	v_mul_lo_u32 v19, v16, s6
	v_mul_lo_u32 v26, v15, s7
	v_mad_u64_u32 v[23:24], null, v15, s6, 0
	v_add3_u32 v31, v31, v33, v0
	v_lshlrev_b64 v[28:29], 1, v[28:29]
	v_add_co_u32 v21, vcc_lo, s2, v21
	v_add_co_ci_u32_e64 v22, null, s3, v22, vcc_lo
	v_add3_u32 v24, v24, v26, v19
	v_lshlrev_b64 v[30:31], 1, v[30:31]
	v_add_co_u32 v28, vcc_lo, s2, v28
	v_add_co_ci_u32_e64 v29, null, s3, v29, vcc_lo
	v_lshlrev_b64 v[23:24], 1, v[23:24]
	v_add_co_u32 v30, vcc_lo, s2, v30
	v_add_co_ci_u32_e64 v31, null, s3, v31, vcc_lo
	v_mov_b32_e32 v0, 0
	v_add_co_u32 v32, vcc_lo, s2, v23
	v_add_co_ci_u32_e64 v33, null, s3, v24, vcc_lo
	s_clause 0x3
	global_load_ushort v21, v[21:22], off
	global_load_ushort v19, v[28:29], off
	;; [unrolled: 1-line block ×6, first 2 shown]
	v_mov_b32_e32 v22, 0
	s_andn2_b32 vcc_lo, exec_lo, s30
	s_cbranch_vccnz .LBB30_9
; %bb.8:                                ;   in Loop: Header=BB30_3 Depth=1
	global_load_ushort v22, v[11:12], off
	s_waitcnt vmcnt(0)
	v_lshlrev_b32_e32 v22, 16, v22
.LBB30_9:                               ;   in Loop: Header=BB30_3 Depth=1
	s_andn2_b32 vcc_lo, exec_lo, s31
	s_cbranch_vccnz .LBB30_11
; %bb.10:                               ;   in Loop: Header=BB30_3 Depth=1
	global_load_ushort v0, v[13:14], off
	s_waitcnt vmcnt(0)
	v_lshlrev_b32_e32 v0, 16, v0
.LBB30_11:                              ;   in Loop: Header=BB30_3 Depth=1
	s_waitcnt vmcnt(0)
	v_lshlrev_b32_e32 v28, 16, v28
                                        ; implicit-def: $vgpr29
	v_cmp_ngt_f32_e64 s0, 0x3f200000, |v28|
	s_and_saveexec_b32 s25, s0
	s_xor_b32 s0, exec_lo, s25
	s_cbranch_execz .LBB30_13
; %bb.12:                               ;   in Loop: Header=BB30_3 Depth=1
	v_add_f32_e64 v29, |v28|, |v28|
	v_mul_f32_e32 v30, 0x3fb8aa3b, v29
	v_cmp_ngt_f32_e32 vcc_lo, 0xc2ce8ed0, v29
	v_rndne_f32_e32 v31, v30
	v_fma_f32 v32, 0x3fb8aa3b, v29, -v30
	v_sub_f32_e32 v30, v30, v31
	v_fmac_f32_e32 v32, 0x32a5705f, v29
	v_cvt_i32_f32_e32 v31, v31
	v_add_f32_e32 v30, v30, v32
	v_exp_f32_e32 v30, v30
	v_ldexp_f32 v30, v30, v31
	v_cndmask_b32_e32 v30, 0, v30, vcc_lo
	v_cmp_nlt_f32_e32 vcc_lo, 0x42b17218, v29
	v_cndmask_b32_e32 v29, 0x7f800000, v30, vcc_lo
	v_add_f32_e32 v29, 1.0, v29
	v_rcp_f32_e32 v29, v29
	v_fma_f32 v29, v29, -2.0, 1.0
.LBB30_13:                              ;   in Loop: Header=BB30_3 Depth=1
	s_andn2_saveexec_b32 s0, s0
	s_cbranch_execz .LBB30_2
; %bb.14:                               ;   in Loop: Header=BB30_3 Depth=1
	v_mul_f32_e32 v29, v28, v28
	v_fmaak_f32 v30, s1, v29, 0x3ca908c9
	v_fmaak_f32 v30, v29, v30, 0xbd5c1c4e
	;; [unrolled: 1-line block ×4, first 2 shown]
	v_mul_f32_e64 v30, |v28|, v30
	v_fma_f32 v29, v29, v30, |v28|
	s_branch .LBB30_2
.LBB30_15:
	s_endpgm
	.section	.rodata,"a",@progbits
	.p2align	6, 0x0
	.amdhsa_kernel _ZN2at6native12_GLOBAL__N_16kernel18lstm_cell_backwardIN3c108BFloat16EflLi1EEEvNS_4cuda6detail10TensorInfoIT_T1_EESB_SB_SB_SB_SB_SB_SA_SA_
		.amdhsa_group_segment_fixed_size 0
		.amdhsa_private_segment_fixed_size 0
		.amdhsa_kernarg_size 3184
		.amdhsa_user_sgpr_count 6
		.amdhsa_user_sgpr_private_segment_buffer 1
		.amdhsa_user_sgpr_dispatch_ptr 0
		.amdhsa_user_sgpr_queue_ptr 0
		.amdhsa_user_sgpr_kernarg_segment_ptr 1
		.amdhsa_user_sgpr_dispatch_id 0
		.amdhsa_user_sgpr_flat_scratch_init 0
		.amdhsa_user_sgpr_private_segment_size 0
		.amdhsa_wavefront_size32 1
		.amdhsa_uses_dynamic_stack 0
		.amdhsa_system_sgpr_private_segment_wavefront_offset 0
		.amdhsa_system_sgpr_workgroup_id_x 1
		.amdhsa_system_sgpr_workgroup_id_y 0
		.amdhsa_system_sgpr_workgroup_id_z 0
		.amdhsa_system_sgpr_workgroup_info 0
		.amdhsa_system_vgpr_workitem_id 0
		.amdhsa_next_free_vgpr 34
		.amdhsa_next_free_sgpr 45
		.amdhsa_reserve_vcc 1
		.amdhsa_reserve_flat_scratch 0
		.amdhsa_float_round_mode_32 0
		.amdhsa_float_round_mode_16_64 0
		.amdhsa_float_denorm_mode_32 3
		.amdhsa_float_denorm_mode_16_64 3
		.amdhsa_dx10_clamp 1
		.amdhsa_ieee_mode 1
		.amdhsa_fp16_overflow 0
		.amdhsa_workgroup_processor_mode 1
		.amdhsa_memory_ordered 1
		.amdhsa_forward_progress 1
		.amdhsa_shared_vgpr_count 0
		.amdhsa_exception_fp_ieee_invalid_op 0
		.amdhsa_exception_fp_denorm_src 0
		.amdhsa_exception_fp_ieee_div_zero 0
		.amdhsa_exception_fp_ieee_overflow 0
		.amdhsa_exception_fp_ieee_underflow 0
		.amdhsa_exception_fp_ieee_inexact 0
		.amdhsa_exception_int_div_zero 0
	.end_amdhsa_kernel
	.section	.text._ZN2at6native12_GLOBAL__N_16kernel18lstm_cell_backwardIN3c108BFloat16EflLi1EEEvNS_4cuda6detail10TensorInfoIT_T1_EESB_SB_SB_SB_SB_SB_SA_SA_,"axG",@progbits,_ZN2at6native12_GLOBAL__N_16kernel18lstm_cell_backwardIN3c108BFloat16EflLi1EEEvNS_4cuda6detail10TensorInfoIT_T1_EESB_SB_SB_SB_SB_SB_SA_SA_,comdat
.Lfunc_end30:
	.size	_ZN2at6native12_GLOBAL__N_16kernel18lstm_cell_backwardIN3c108BFloat16EflLi1EEEvNS_4cuda6detail10TensorInfoIT_T1_EESB_SB_SB_SB_SB_SB_SA_SA_, .Lfunc_end30-_ZN2at6native12_GLOBAL__N_16kernel18lstm_cell_backwardIN3c108BFloat16EflLi1EEEvNS_4cuda6detail10TensorInfoIT_T1_EESB_SB_SB_SB_SB_SB_SA_SA_
                                        ; -- End function
	.set _ZN2at6native12_GLOBAL__N_16kernel18lstm_cell_backwardIN3c108BFloat16EflLi1EEEvNS_4cuda6detail10TensorInfoIT_T1_EESB_SB_SB_SB_SB_SB_SA_SA_.num_vgpr, 34
	.set _ZN2at6native12_GLOBAL__N_16kernel18lstm_cell_backwardIN3c108BFloat16EflLi1EEEvNS_4cuda6detail10TensorInfoIT_T1_EESB_SB_SB_SB_SB_SB_SA_SA_.num_agpr, 0
	.set _ZN2at6native12_GLOBAL__N_16kernel18lstm_cell_backwardIN3c108BFloat16EflLi1EEEvNS_4cuda6detail10TensorInfoIT_T1_EESB_SB_SB_SB_SB_SB_SA_SA_.numbered_sgpr, 45
	.set _ZN2at6native12_GLOBAL__N_16kernel18lstm_cell_backwardIN3c108BFloat16EflLi1EEEvNS_4cuda6detail10TensorInfoIT_T1_EESB_SB_SB_SB_SB_SB_SA_SA_.num_named_barrier, 0
	.set _ZN2at6native12_GLOBAL__N_16kernel18lstm_cell_backwardIN3c108BFloat16EflLi1EEEvNS_4cuda6detail10TensorInfoIT_T1_EESB_SB_SB_SB_SB_SB_SA_SA_.private_seg_size, 0
	.set _ZN2at6native12_GLOBAL__N_16kernel18lstm_cell_backwardIN3c108BFloat16EflLi1EEEvNS_4cuda6detail10TensorInfoIT_T1_EESB_SB_SB_SB_SB_SB_SA_SA_.uses_vcc, 1
	.set _ZN2at6native12_GLOBAL__N_16kernel18lstm_cell_backwardIN3c108BFloat16EflLi1EEEvNS_4cuda6detail10TensorInfoIT_T1_EESB_SB_SB_SB_SB_SB_SA_SA_.uses_flat_scratch, 0
	.set _ZN2at6native12_GLOBAL__N_16kernel18lstm_cell_backwardIN3c108BFloat16EflLi1EEEvNS_4cuda6detail10TensorInfoIT_T1_EESB_SB_SB_SB_SB_SB_SA_SA_.has_dyn_sized_stack, 0
	.set _ZN2at6native12_GLOBAL__N_16kernel18lstm_cell_backwardIN3c108BFloat16EflLi1EEEvNS_4cuda6detail10TensorInfoIT_T1_EESB_SB_SB_SB_SB_SB_SA_SA_.has_recursion, 0
	.set _ZN2at6native12_GLOBAL__N_16kernel18lstm_cell_backwardIN3c108BFloat16EflLi1EEEvNS_4cuda6detail10TensorInfoIT_T1_EESB_SB_SB_SB_SB_SB_SA_SA_.has_indirect_call, 0
	.section	.AMDGPU.csdata,"",@progbits
; Kernel info:
; codeLenInByte = 2812
; TotalNumSgprs: 47
; NumVgprs: 34
; ScratchSize: 0
; MemoryBound: 0
; FloatMode: 240
; IeeeMode: 1
; LDSByteSize: 0 bytes/workgroup (compile time only)
; SGPRBlocks: 0
; VGPRBlocks: 4
; NumSGPRsForWavesPerEU: 47
; NumVGPRsForWavesPerEU: 34
; Occupancy: 16
; WaveLimiterHint : 1
; COMPUTE_PGM_RSRC2:SCRATCH_EN: 0
; COMPUTE_PGM_RSRC2:USER_SGPR: 6
; COMPUTE_PGM_RSRC2:TRAP_HANDLER: 0
; COMPUTE_PGM_RSRC2:TGID_X_EN: 1
; COMPUTE_PGM_RSRC2:TGID_Y_EN: 0
; COMPUTE_PGM_RSRC2:TGID_Z_EN: 0
; COMPUTE_PGM_RSRC2:TIDIG_COMP_CNT: 0
	.section	.text._ZN2at6native12_GLOBAL__N_16kernel18lstm_cell_backwardIN3c108BFloat16EflLi2EEEvNS_4cuda6detail10TensorInfoIT_T1_EESB_SB_SB_SB_SB_SB_SA_SA_,"axG",@progbits,_ZN2at6native12_GLOBAL__N_16kernel18lstm_cell_backwardIN3c108BFloat16EflLi2EEEvNS_4cuda6detail10TensorInfoIT_T1_EESB_SB_SB_SB_SB_SB_SA_SA_,comdat
	.globl	_ZN2at6native12_GLOBAL__N_16kernel18lstm_cell_backwardIN3c108BFloat16EflLi2EEEvNS_4cuda6detail10TensorInfoIT_T1_EESB_SB_SB_SB_SB_SB_SA_SA_ ; -- Begin function _ZN2at6native12_GLOBAL__N_16kernel18lstm_cell_backwardIN3c108BFloat16EflLi2EEEvNS_4cuda6detail10TensorInfoIT_T1_EESB_SB_SB_SB_SB_SB_SA_SA_
	.p2align	8
	.type	_ZN2at6native12_GLOBAL__N_16kernel18lstm_cell_backwardIN3c108BFloat16EflLi2EEEvNS_4cuda6detail10TensorInfoIT_T1_EESB_SB_SB_SB_SB_SB_SA_SA_,@function
_ZN2at6native12_GLOBAL__N_16kernel18lstm_cell_backwardIN3c108BFloat16EflLi2EEEvNS_4cuda6detail10TensorInfoIT_T1_EESB_SB_SB_SB_SB_SB_SA_SA_: ; @_ZN2at6native12_GLOBAL__N_16kernel18lstm_cell_backwardIN3c108BFloat16EflLi2EEEvNS_4cuda6detail10TensorInfoIT_T1_EESB_SB_SB_SB_SB_SB_SA_SA_
; %bb.0:
	s_clause 0x1
	s_load_dword s2, s[4:5], 0xb7c
	s_load_dwordx4 s[8:11], s[4:5], 0xb60
	v_mov_b32_e32 v1, 0
	s_add_u32 s0, s4, 0xb70
	s_addc_u32 s1, s5, 0
	s_waitcnt lgkmcnt(0)
	s_and_b32 s64, s2, 0xffff
	s_mov_b32 s2, exec_lo
	v_mad_u64_u32 v[3:4], null, s6, s64, v[0:1]
	v_mov_b32_e32 v4, v1
	v_cmpx_gt_i64_e64 s[10:11], v[3:4]
	s_cbranch_execz .LBB31_68
; %bb.1:
	s_clause 0x6
	s_load_dwordx2 s[2:3], s[4:5], 0x680
	s_load_dwordx2 s[34:35], s[4:5], 0x0
	;; [unrolled: 1-line block ×3, first 2 shown]
	s_load_dwordx4 s[12:15], s[4:5], 0x750
	s_load_dwordx2 s[42:43], s[4:5], 0x820
	s_load_dwordx4 s[16:19], s[4:5], 0xd0
	s_load_dwordx2 s[44:45], s[4:5], 0x1a0
	s_load_dword s0, s[0:1], 0x0
	s_clause 0xa
	s_load_dwordx2 s[46:47], s[4:5], 0x1b0
	s_load_dwordx4 s[20:23], s[4:5], 0x270
	s_load_dwordx2 s[48:49], s[4:5], 0x340
	s_load_dwordx2 s[50:51], s[4:5], 0x350
	s_load_dwordx4 s[24:27], s[4:5], 0x410
	s_load_dwordx2 s[52:53], s[4:5], 0x4e0
	;; [unrolled: 3-line block ×3, first 2 shown]
	s_load_dwordx2 s[58:59], s[4:5], 0x9c0
	s_load_dwordx2 s[60:61], s[4:5], 0x9d0
	v_cvt_f32_u32_e32 v0, s8
	s_clause 0x2
	s_load_dwordx2 s[62:63], s[4:5], 0x830
	s_load_dwordx4 s[36:39], s[4:5], 0x8f0
	s_load_dwordx4 s[4:7], s[4:5], 0xa90
	s_waitcnt lgkmcnt(0)
	s_cmp_lg_u64 s[2:3], 0
	s_mul_hi_u32 s1, s8, 3
	v_rcp_iflag_f32_e32 v0, v0
	s_cselect_b32 s33, -1, 0
	s_cmp_lg_u64 s[42:43], 0
	s_mul_i32 s69, s0, s64
	s_mul_i32 s0, s9, 3
	s_cselect_b32 s68, -1, 0
	s_add_i32 s71, s1, s0
	s_sub_u32 s73, 0, s50
	s_subb_u32 s74, 0, s51
	v_mov_b32_e32 v25, 0x7fc0
	v_mul_f32_e32 v0, 0x4f7ffffe, v0
	s_sub_u32 s75, 0, s54
	s_subb_u32 s76, 0, s55
	s_mov_b32 s70, 0
	s_sub_u32 s77, 0, s60
	s_subb_u32 s78, 0, s61
	s_sub_u32 s79, 0, s56
	v_cvt_u32_f32_e32 v0, v0
	s_subb_u32 s80, 0, s57
	s_sub_u32 s81, 0, s62
	s_mul_i32 s72, s8, 3
	s_subb_u32 s82, 0, s63
	s_mov_b32 s83, 0xbbbac73d
	s_branch .LBB31_3
.LBB31_2:                               ;   in Loop: Header=BB31_3 Depth=1
	s_or_b32 exec_lo, exec_lo, s0
	v_mul_lo_u32 v38, v20, s46
	v_mul_lo_u32 v39, v19, s47
	v_mad_u64_u32 v[35:36], null, v19, s46, 0
	v_mad_u64_u32 v[33:34], null, s77, v21, v[3:4]
	v_mul_lo_u32 v31, s77, v22
	v_mul_lo_u32 v37, s78, v21
	;; [unrolled: 1-line block ×4, first 2 shown]
	v_add3_u32 v36, v36, v39, v38
	v_sub_co_u32 v11, vcc_lo, v11, v35
	v_mul_lo_u32 v41, v33, s7
	v_mul_lo_u32 v38, v18, s46
	v_add3_u32 v31, v37, v34, v31
	v_mul_lo_u32 v37, v22, s4
	v_mad_u64_u32 v[21:22], null, v21, s4, 0
	v_sub_co_ci_u32_e64 v12, null, v12, v36, vcc_lo
	v_mul_lo_u32 v31, v31, s6
	v_mad_u64_u32 v[33:34], null, v33, s6, 0
	v_add_co_u32 v35, vcc_lo, v3, v11
	v_add3_u32 v22, v22, v40, v37
	v_add_co_ci_u32_e64 v36, null, v4, v12, vcc_lo
	v_mul_lo_u32 v37, v35, s23
	v_add3_u32 v34, v34, v41, v31
	v_lshlrev_b64 v[11:12], 1, v[21:22]
	v_mul_lo_u32 v31, v36, s22
	v_mad_u64_u32 v[21:22], null, v35, s22, 0
	v_mul_lo_u32 v39, v17, s47
	v_mad_u64_u32 v[35:36], null, v17, s46, 0
	v_add_co_u32 v40, vcc_lo, s58, v11
	v_add_co_ci_u32_e64 v41, null, s59, v12, vcc_lo
	v_mul_lo_u32 v43, v19, s21
	v_mad_u64_u32 v[11:12], null, v19, s20, 0
	v_lshlrev_b64 v[19:20], 1, v[33:34]
	v_add3_u32 v33, v36, v39, v38
	v_sub_co_u32 v9, vcc_lo, v9, v35
	v_add3_u32 v22, v22, v37, v31
	v_mul_lo_u32 v37, v17, s21
	v_sub_co_ci_u32_e64 v10, null, v10, v33, vcc_lo
	v_add_co_u32 v31, vcc_lo, v3, v9
	v_add3_u32 v12, v12, v43, v42
	v_add_co_ci_u32_e64 v33, null, v4, v10, vcc_lo
	v_add_co_u32 v9, vcc_lo, v40, v19
	v_add_co_ci_u32_e64 v10, null, v41, v20, vcc_lo
	v_lshlrev_b64 v[19:20], 1, v[21:22]
	v_mul_lo_u32 v36, v31, s23
	v_mad_u64_u32 v[21:22], null, v31, s22, 0
	v_mul_lo_u32 v31, v18, s20
	v_mad_u64_u32 v[17:18], null, v17, s20, 0
	v_lshlrev_b64 v[11:12], 1, v[11:12]
	v_mul_lo_u32 v35, v33, s22
	v_mul_lo_u32 v38, v16, s46
	;; [unrolled: 1-line block ×3, first 2 shown]
	v_mad_u64_u32 v[33:34], null, v15, s46, 0
	v_add_co_u32 v11, vcc_lo, s44, v11
	v_add3_u32 v18, v18, v37, v31
	v_add_co_ci_u32_e64 v12, null, s45, v12, vcc_lo
	v_add_co_u32 v11, vcc_lo, v11, v19
	v_add3_u32 v19, v34, v39, v38
	v_lshlrev_b64 v[17:18], 1, v[17:18]
	v_add_co_ci_u32_e64 v12, null, v12, v20, vcc_lo
	v_sub_co_u32 v7, vcc_lo, v7, v33
	v_sub_co_ci_u32_e64 v8, null, v8, v19, vcc_lo
	v_add_co_u32 v31, vcc_lo, s44, v17
	v_add_co_ci_u32_e64 v33, null, s45, v18, vcc_lo
	v_add_co_u32 v19, vcc_lo, v3, v7
	v_add3_u32 v22, v22, v36, v35
	v_add_co_ci_u32_e64 v20, null, v4, v8, vcc_lo
	v_mul_lo_u32 v34, v14, s46
	v_mul_lo_u32 v35, v13, s47
	v_mad_u64_u32 v[7:8], null, v13, s46, 0
	v_mul_lo_u32 v36, v16, s20
	v_mul_lo_u32 v37, v15, s21
	v_mad_u64_u32 v[15:16], null, v15, s20, 0
	v_lshlrev_b64 v[17:18], 1, v[21:22]
	v_mul_lo_u32 v21, v20, s22
	v_add3_u32 v8, v8, v35, v34
	v_sub_co_u32 v5, vcc_lo, v5, v7
	v_mul_lo_u32 v22, v19, s23
	v_mad_u64_u32 v[19:20], null, v19, s22, 0
	v_sub_co_ci_u32_e64 v6, null, v6, v8, vcc_lo
	v_add_co_u32 v34, vcc_lo, v3, v5
	v_add3_u32 v16, v16, v37, v36
	v_add_co_ci_u32_e64 v35, null, v4, v6, vcc_lo
	v_add_co_u32 v5, vcc_lo, v31, v17
	v_add3_u32 v20, v20, v22, v21
	v_lshlrev_b32_e32 v22, 16, v29
	v_bfi_b32 v23, 0x7fffffff, v24, v23
	v_add_co_ci_u32_e64 v6, null, v33, v18, vcc_lo
	v_lshlrev_b64 v[7:8], 1, v[15:16]
	v_mul_lo_u32 v17, v35, s22
	v_mul_lo_u32 v18, v34, s23
	v_mad_u64_u32 v[15:16], null, v34, s22, 0
	v_mul_lo_u32 v21, v14, s20
	v_mul_lo_u32 v24, v13, s21
	v_mad_u64_u32 v[13:14], null, v13, s20, 0
	v_mul_f32_e32 v29, v32, v22
	v_fma_f32 v31, -v23, v23, 1.0
	v_add3_u32 v16, v16, v18, v17
	v_lshlrev_b32_e32 v17, 16, v28
	v_lshlrev_b32_e32 v18, 16, v26
	v_add_co_u32 v33, vcc_lo, s44, v7
	v_fmac_f32_e32 v2, v29, v31
	v_add3_u32 v14, v14, v24, v21
	v_add_co_ci_u32_e64 v34, null, s45, v8, vcc_lo
	v_lshlrev_b64 v[7:8], 1, v[19:20]
	v_mul_f32_e32 v19, v2, v17
	v_sub_f32_e32 v20, 1.0, v18
	v_lshlrev_b64 v[13:14], 1, v[13:14]
	v_lshlrev_b32_e32 v21, 16, v30
	v_lshlrev_b32_e32 v24, 16, v27
	v_add_co_u32 v7, vcc_lo, v33, v7
	v_mul_f32_e32 v19, v20, v19
	v_lshlrev_b64 v[15:16], 1, v[15:16]
	v_add_co_ci_u32_e64 v8, null, v34, v8, vcc_lo
	v_add_co_u32 v13, vcc_lo, s44, v13
	v_add_co_ci_u32_e64 v14, null, s45, v14, vcc_lo
	v_mul_f32_e32 v20, v2, v21
	v_mul_f32_e32 v19, v19, v18
	v_sub_f32_e32 v21, 1.0, v24
	v_add_co_u32 v13, vcc_lo, v13, v15
	v_add_co_ci_u32_e64 v14, null, v14, v16, vcc_lo
	v_mul_f32_e32 v16, v2, v18
	v_mul_f32_e32 v18, v21, v20
	v_bfe_u32 v20, v19, 16, 1
	v_mul_f32_e32 v15, v32, v23
	v_sub_f32_e32 v21, 1.0, v22
	v_cmp_o_f32_e32 vcc_lo, v19, v19
	v_fma_f32 v17, -v17, v17, 1.0
	v_add3_u32 v19, v19, v20, 0x7fff
	v_mul_f32_e32 v18, v18, v24
	v_mul_f32_e32 v15, v21, v15
	;; [unrolled: 1-line block ×4, first 2 shown]
	v_cndmask_b32_sdwa v19, v25, v19, vcc_lo dst_sel:DWORD dst_unused:UNUSED_PAD src0_sel:DWORD src1_sel:WORD_1
	v_bfe_u32 v20, v18, 16, 1
	v_mul_f32_e32 v15, v15, v22
	v_cmp_o_f32_e32 vcc_lo, v18, v18
	v_cmp_o_f32_e64 s0, v16, v16
	global_store_short v[13:14], v19, off
	v_bfe_u32 v14, v16, 16, 1
	v_add3_u32 v13, v18, v20, 0x7fff
	v_bfe_u32 v17, v2, 16, 1
	v_add3_u32 v14, v16, v14, 0x7fff
	v_bfe_u32 v16, v15, 16, 1
	v_cndmask_b32_sdwa v13, v25, v13, vcc_lo dst_sel:DWORD dst_unused:UNUSED_PAD src0_sel:DWORD src1_sel:WORD_1
	s_mov_b32 vcc_lo, s0
	v_add_co_u32 v3, s0, v3, s69
	v_add_co_ci_u32_e64 v4, null, 0, v4, s0
	v_cndmask_b32_sdwa v14, v25, v14, vcc_lo dst_sel:DWORD dst_unused:UNUSED_PAD src0_sel:DWORD src1_sel:WORD_1
	v_add3_u32 v16, v15, v16, 0x7fff
	v_cmp_o_f32_e32 vcc_lo, v15, v15
	v_cmp_o_f32_e64 s0, v2, v2
	v_add3_u32 v15, v2, v17, 0x7fff
	v_cmp_le_i64_e64 s1, s[10:11], v[3:4]
	global_store_short v[7:8], v13, off
	global_store_short v[5:6], v14, off
	v_cndmask_b32_sdwa v2, v25, v16, vcc_lo dst_sel:DWORD dst_unused:UNUSED_PAD src0_sel:DWORD src1_sel:WORD_1
	s_mov_b32 vcc_lo, s0
	v_cndmask_b32_sdwa v15, v25, v15, vcc_lo dst_sel:DWORD dst_unused:UNUSED_PAD src0_sel:DWORD src1_sel:WORD_1
	s_or_b32 s70, s1, s70
	global_store_short v[11:12], v2, off
	global_store_short v[9:10], v15, off
	s_andn2_b32 exec_lo, exec_lo, s70
	s_cbranch_execz .LBB31_68
.LBB31_3:                               ; =>This Inner Loop Header: Depth=1
	v_or_b32_e32 v2, s9, v4
                                        ; implicit-def: $vgpr7_vgpr8
	s_mov_b32 s0, exec_lo
	v_cmpx_ne_u64_e32 0, v[1:2]
	s_xor_b32 s1, exec_lo, s0
	s_cbranch_execz .LBB31_5
; %bb.4:                                ;   in Loop: Header=BB31_3 Depth=1
	s_ashr_i32 s64, s9, 31
	v_ashrrev_i32_e32 v11, 31, v4
	s_add_u32 s66, s8, s64
	s_mov_b32 s65, s64
	s_addc_u32 s67, s9, s64
	s_xor_b64 s[66:67], s[66:67], s[64:65]
	v_add_co_u32 v6, vcc_lo, v3, v11
	v_cvt_f32_u32_e32 v2, s66
	v_cvt_f32_u32_e32 v5, s67
	s_sub_u32 s84, 0, s66
	s_subb_u32 s85, 0, s67
	v_add_co_ci_u32_e64 v7, null, v4, v11, vcc_lo
	v_fmac_f32_e32 v2, 0x4f800000, v5
	v_xor_b32_e32 v12, v7, v11
	v_rcp_f32_e32 v2, v2
	v_mul_f32_e32 v2, 0x5f7ffffc, v2
	v_mul_f32_e32 v5, 0x2f800000, v2
	v_trunc_f32_e32 v5, v5
	v_fmac_f32_e32 v2, 0xcf800000, v5
	v_cvt_u32_f32_e32 v5, v5
	v_cvt_u32_f32_e32 v2, v2
	v_readfirstlane_b32 s0, v5
	v_readfirstlane_b32 s65, v2
	s_mul_i32 s86, s84, s0
	v_xor_b32_e32 v2, v6, v11
	s_mul_hi_u32 s88, s84, s65
	s_mul_i32 s87, s85, s65
	s_add_i32 s86, s88, s86
	s_mul_i32 s89, s84, s65
	s_add_i32 s86, s86, s87
	s_mul_hi_u32 s88, s65, s89
	s_mul_i32 s91, s65, s86
	s_mul_hi_u32 s90, s0, s89
	s_mul_i32 s87, s0, s89
	s_mul_hi_u32 s89, s65, s86
	s_add_u32 s88, s88, s91
	s_addc_u32 s89, 0, s89
	s_mul_hi_u32 s92, s0, s86
	s_add_u32 s87, s88, s87
	s_mul_i32 s86, s0, s86
	s_addc_u32 s87, s89, s90
	s_addc_u32 s88, s92, 0
	s_add_u32 s86, s87, s86
	s_addc_u32 s87, 0, s88
	s_add_u32 s65, s65, s86
	s_cselect_b32 s86, -1, 0
	s_mul_hi_u32 s88, s84, s65
	s_cmp_lg_u32 s86, 0
	s_mul_i32 s86, s84, s65
	s_addc_u32 s0, s0, s87
	s_mul_i32 s85, s85, s65
	s_mul_i32 s84, s84, s0
	s_mul_hi_u32 s87, s65, s86
	s_add_i32 s84, s88, s84
	s_mul_hi_u32 s88, s0, s86
	s_add_i32 s84, s84, s85
	s_mul_i32 s85, s0, s86
	s_mul_i32 s90, s65, s84
	s_mul_hi_u32 s89, s65, s84
	s_add_u32 s87, s87, s90
	s_addc_u32 s89, 0, s89
	s_mul_hi_u32 s86, s0, s84
	s_add_u32 s85, s87, s85
	s_mul_i32 s84, s0, s84
	s_addc_u32 s85, s89, s88
	s_addc_u32 s86, s86, 0
	s_add_u32 s84, s85, s84
	s_addc_u32 s85, 0, s86
	s_add_u32 s65, s65, s84
	s_cselect_b32 s84, -1, 0
	v_mul_hi_u32 v13, v2, s65
	s_cmp_lg_u32 s84, 0
	v_mad_u64_u32 v[7:8], null, v12, s65, 0
	s_addc_u32 s0, s0, s85
	v_mad_u64_u32 v[5:6], null, v2, s0, 0
	v_mad_u64_u32 v[9:10], null, v12, s0, 0
	v_add_co_u32 v5, vcc_lo, v13, v5
	v_add_co_ci_u32_e64 v6, null, 0, v6, vcc_lo
	v_add_co_u32 v5, vcc_lo, v5, v7
	v_add_co_ci_u32_e32 v5, vcc_lo, v6, v8, vcc_lo
	v_add_co_ci_u32_e32 v6, vcc_lo, 0, v10, vcc_lo
	v_add_co_u32 v7, vcc_lo, v5, v9
	v_add_co_ci_u32_e64 v8, null, 0, v6, vcc_lo
	v_mul_lo_u32 v9, s67, v7
	v_mad_u64_u32 v[5:6], null, s66, v7, 0
	v_mul_lo_u32 v10, s66, v8
	v_sub_co_u32 v2, vcc_lo, v2, v5
	v_add3_u32 v6, v6, v10, v9
	v_sub_nc_u32_e32 v9, v12, v6
	v_sub_co_ci_u32_e64 v6, null, v12, v6, vcc_lo
	v_subrev_co_ci_u32_e64 v5, null, s67, v9, vcc_lo
	v_add_co_u32 v9, s0, v7, 2
	v_add_co_ci_u32_e64 v10, null, 0, v8, s0
	v_sub_co_u32 v13, s0, v2, s66
	v_subrev_co_ci_u32_e64 v5, null, 0, v5, s0
	v_cmp_le_u32_e32 vcc_lo, s66, v13
	v_cndmask_b32_e64 v12, 0, -1, vcc_lo
	v_cmp_le_u32_e32 vcc_lo, s67, v5
	v_cndmask_b32_e64 v13, 0, -1, vcc_lo
	;; [unrolled: 2-line block ×4, first 2 shown]
	v_cmp_eq_u32_e32 vcc_lo, s67, v5
	v_cndmask_b32_e32 v5, v13, v12, vcc_lo
	v_add_co_u32 v12, vcc_lo, v7, 1
	v_add_co_ci_u32_e64 v13, null, 0, v8, vcc_lo
	v_cmp_eq_u32_e32 vcc_lo, s67, v6
	v_xor_b32_e32 v6, s64, v11
	v_cndmask_b32_e32 v2, v14, v2, vcc_lo
	v_cmp_ne_u32_e32 vcc_lo, 0, v5
	v_cmp_ne_u32_e64 s0, 0, v2
	v_cndmask_b32_e32 v2, v12, v9, vcc_lo
	v_cndmask_b32_e32 v5, v13, v10, vcc_lo
	v_cndmask_b32_e64 v2, v7, v2, s0
	v_cndmask_b32_e64 v5, v8, v5, s0
	v_xor_b32_e32 v2, v2, v6
	v_xor_b32_e32 v5, v5, v6
	v_sub_co_u32 v7, vcc_lo, v2, v6
	v_sub_co_ci_u32_e64 v8, null, v5, v6, vcc_lo
.LBB31_5:                               ;   in Loop: Header=BB31_3 Depth=1
	s_andn2_saveexec_b32 s0, s1
	s_cbranch_execz .LBB31_7
; %bb.6:                                ;   in Loop: Header=BB31_3 Depth=1
	s_sub_i32 s1, 0, s8
	v_mov_b32_e32 v8, v1
	v_mul_lo_u32 v2, s1, v0
	v_mul_hi_u32 v2, v0, v2
	v_add_nc_u32_e32 v2, v0, v2
	v_mul_hi_u32 v2, v3, v2
	v_mul_lo_u32 v5, v2, s8
	v_add_nc_u32_e32 v6, 1, v2
	v_sub_nc_u32_e32 v5, v3, v5
	v_subrev_nc_u32_e32 v7, s8, v5
	v_cmp_le_u32_e32 vcc_lo, s8, v5
	v_cndmask_b32_e32 v5, v5, v7, vcc_lo
	v_cndmask_b32_e32 v2, v2, v6, vcc_lo
	v_cmp_le_u32_e32 vcc_lo, s8, v5
	v_add_nc_u32_e32 v6, 1, v2
	v_cndmask_b32_e32 v7, v2, v6, vcc_lo
.LBB31_7:                               ;   in Loop: Header=BB31_3 Depth=1
	s_or_b32 exec_lo, exec_lo, s0
	v_mul_lo_u32 v2, s71, v7
	v_mul_lo_u32 v9, s72, v8
	v_mad_u64_u32 v[5:6], null, s72, v7, 0
	s_mov_b32 s0, exec_lo
	v_add3_u32 v6, v6, v9, v2
	v_add_co_u32 v16, vcc_lo, v3, v5
                                        ; implicit-def: $vgpr9_vgpr10
	v_add_co_ci_u32_e64 v18, null, v4, v6, vcc_lo
	v_or_b32_e32 v2, s41, v18
	v_ashrrev_i32_e32 v15, 31, v18
	v_cmpx_ne_u64_e32 0, v[1:2]
	s_xor_b32 s1, exec_lo, s0
	s_cbranch_execz .LBB31_9
; %bb.8:                                ;   in Loop: Header=BB31_3 Depth=1
	s_ashr_i32 s64, s41, 31
	v_add_co_u32 v10, vcc_lo, v16, v15
	s_add_u32 s66, s40, s64
	s_mov_b32 s65, s64
	s_addc_u32 s67, s41, s64
	v_add_co_ci_u32_e64 v11, null, v18, v15, vcc_lo
	s_xor_b64 s[66:67], s[66:67], s[64:65]
	v_cvt_f32_u32_e32 v2, s66
	v_cvt_f32_u32_e32 v9, s67
	s_sub_u32 s84, 0, s66
	s_subb_u32 s85, 0, s67
	v_xor_b32_e32 v17, v11, v15
	v_fmac_f32_e32 v2, 0x4f800000, v9
	v_rcp_f32_e32 v2, v2
	v_mul_f32_e32 v2, 0x5f7ffffc, v2
	v_mul_f32_e32 v9, 0x2f800000, v2
	v_trunc_f32_e32 v9, v9
	v_fmac_f32_e32 v2, 0xcf800000, v9
	v_cvt_u32_f32_e32 v9, v9
	v_cvt_u32_f32_e32 v2, v2
	v_readfirstlane_b32 s0, v9
	v_readfirstlane_b32 s65, v2
	s_mul_i32 s86, s84, s0
	v_xor_b32_e32 v2, v10, v15
	s_mul_hi_u32 s88, s84, s65
	s_mul_i32 s87, s85, s65
	s_add_i32 s86, s88, s86
	s_mul_i32 s89, s84, s65
	s_add_i32 s86, s86, s87
	s_mul_hi_u32 s88, s65, s89
	s_mul_i32 s91, s65, s86
	s_mul_hi_u32 s90, s0, s89
	s_mul_i32 s87, s0, s89
	s_mul_hi_u32 s89, s65, s86
	s_add_u32 s88, s88, s91
	s_addc_u32 s89, 0, s89
	s_mul_hi_u32 s92, s0, s86
	s_add_u32 s87, s88, s87
	s_mul_i32 s86, s0, s86
	s_addc_u32 s87, s89, s90
	s_addc_u32 s88, s92, 0
	s_add_u32 s86, s87, s86
	s_addc_u32 s87, 0, s88
	s_add_u32 s65, s65, s86
	s_cselect_b32 s86, -1, 0
	s_mul_hi_u32 s88, s84, s65
	s_cmp_lg_u32 s86, 0
	s_mul_i32 s86, s84, s65
	s_addc_u32 s0, s0, s87
	s_mul_i32 s85, s85, s65
	s_mul_i32 s84, s84, s0
	s_mul_hi_u32 s87, s65, s86
	s_add_i32 s84, s88, s84
	s_mul_hi_u32 s88, s0, s86
	s_add_i32 s84, s84, s85
	s_mul_i32 s85, s0, s86
	s_mul_i32 s90, s65, s84
	s_mul_hi_u32 s89, s65, s84
	s_add_u32 s87, s87, s90
	s_addc_u32 s89, 0, s89
	s_mul_hi_u32 s86, s0, s84
	s_add_u32 s85, s87, s85
	s_mul_i32 s84, s0, s84
	s_addc_u32 s85, s89, s88
	s_addc_u32 s86, s86, 0
	s_add_u32 s84, s85, s84
	s_addc_u32 s85, 0, s86
	s_add_u32 s65, s65, s84
	s_cselect_b32 s84, -1, 0
	v_mul_hi_u32 v19, v2, s65
	s_cmp_lg_u32 s84, 0
	v_mad_u64_u32 v[11:12], null, v17, s65, 0
	s_addc_u32 s0, s0, s85
	v_mad_u64_u32 v[9:10], null, v2, s0, 0
	v_mad_u64_u32 v[13:14], null, v17, s0, 0
	v_add_co_u32 v9, vcc_lo, v19, v9
	v_add_co_ci_u32_e64 v10, null, 0, v10, vcc_lo
	v_add_co_u32 v9, vcc_lo, v9, v11
	v_add_co_ci_u32_e32 v9, vcc_lo, v10, v12, vcc_lo
	v_add_co_ci_u32_e32 v10, vcc_lo, 0, v14, vcc_lo
	v_add_co_u32 v11, vcc_lo, v9, v13
	v_add_co_ci_u32_e64 v12, null, 0, v10, vcc_lo
	v_mul_lo_u32 v13, s67, v11
	v_mad_u64_u32 v[9:10], null, s66, v11, 0
	v_mul_lo_u32 v14, s66, v12
	v_sub_co_u32 v2, vcc_lo, v2, v9
	v_add3_u32 v10, v10, v14, v13
	v_sub_nc_u32_e32 v13, v17, v10
	v_sub_co_ci_u32_e64 v10, null, v17, v10, vcc_lo
	v_subrev_co_ci_u32_e64 v9, null, s67, v13, vcc_lo
	v_add_co_u32 v13, s0, v11, 2
	v_add_co_ci_u32_e64 v14, null, 0, v12, s0
	v_sub_co_u32 v19, s0, v2, s66
	v_subrev_co_ci_u32_e64 v9, null, 0, v9, s0
	v_cmp_le_u32_e32 vcc_lo, s66, v19
	v_cndmask_b32_e64 v17, 0, -1, vcc_lo
	v_cmp_le_u32_e32 vcc_lo, s67, v9
	v_cndmask_b32_e64 v19, 0, -1, vcc_lo
	;; [unrolled: 2-line block ×4, first 2 shown]
	v_cmp_eq_u32_e32 vcc_lo, s67, v9
	v_cndmask_b32_e32 v9, v19, v17, vcc_lo
	v_add_co_u32 v17, vcc_lo, v11, 1
	v_add_co_ci_u32_e64 v19, null, 0, v12, vcc_lo
	v_cmp_eq_u32_e32 vcc_lo, s67, v10
	v_xor_b32_e32 v10, s64, v15
	v_cndmask_b32_e32 v2, v20, v2, vcc_lo
	v_cmp_ne_u32_e32 vcc_lo, 0, v9
	v_cmp_ne_u32_e64 s0, 0, v2
	v_cndmask_b32_e32 v2, v17, v13, vcc_lo
	v_cndmask_b32_e32 v9, v19, v14, vcc_lo
	v_cndmask_b32_e64 v2, v11, v2, s0
	v_cndmask_b32_e64 v9, v12, v9, s0
	v_xor_b32_e32 v2, v2, v10
	v_xor_b32_e32 v11, v9, v10
	v_sub_co_u32 v9, vcc_lo, v2, v10
	v_sub_co_ci_u32_e64 v10, null, v11, v10, vcc_lo
.LBB31_9:                               ;   in Loop: Header=BB31_3 Depth=1
	s_or_saveexec_b32 s0, s1
	v_cvt_f32_u32_e32 v29, s40
	s_xor_b32 exec_lo, exec_lo, s0
	s_cbranch_execz .LBB31_11
; %bb.10:                               ;   in Loop: Header=BB31_3 Depth=1
	v_rcp_iflag_f32_e32 v2, v29
	s_sub_i32 s1, 0, s40
	v_mul_f32_e32 v2, 0x4f7ffffe, v2
	v_cvt_u32_f32_e32 v2, v2
	v_mul_lo_u32 v9, s1, v2
	v_mul_hi_u32 v9, v2, v9
	v_add_nc_u32_e32 v2, v2, v9
	v_mul_hi_u32 v2, v16, v2
	v_mul_lo_u32 v9, v2, s40
	v_add_nc_u32_e32 v10, 1, v2
	v_sub_nc_u32_e32 v9, v16, v9
	v_subrev_nc_u32_e32 v11, s40, v9
	v_cmp_le_u32_e32 vcc_lo, s40, v9
	v_cndmask_b32_e32 v9, v9, v11, vcc_lo
	v_cndmask_b32_e32 v2, v2, v10, vcc_lo
	v_cmp_le_u32_e32 vcc_lo, s40, v9
	v_add_nc_u32_e32 v10, 1, v2
	v_cndmask_b32_e32 v9, v2, v10, vcc_lo
	v_mov_b32_e32 v10, v1
.LBB31_11:                              ;   in Loop: Header=BB31_3 Depth=1
	s_or_b32 exec_lo, exec_lo, s0
	v_mul_lo_u32 v2, v10, s40
	v_mul_lo_u32 v13, v9, s41
	v_mad_u64_u32 v[11:12], null, v9, s40, 0
	v_mul_lo_u32 v14, v9, s17
	s_mov_b32 s0, exec_lo
	v_add3_u32 v2, v12, v13, v2
	v_mul_lo_u32 v13, v10, s16
	v_sub_co_u32 v10, vcc_lo, v5, v11
	v_sub_co_ci_u32_e64 v2, null, v6, v2, vcc_lo
	v_add_co_u32 v11, vcc_lo, v3, v10
	v_mad_u64_u32 v[9:10], null, v9, s16, 0
	v_add_co_ci_u32_e64 v2, null, v4, v2, vcc_lo
	v_mul_lo_u32 v17, v11, s19
	v_mad_u64_u32 v[11:12], null, v11, s18, 0
	v_mul_lo_u32 v2, v2, s18
	v_add3_u32 v10, v10, v14, v13
	v_lshlrev_b64 v[9:10], 1, v[9:10]
	v_add3_u32 v12, v12, v17, v2
	v_add_co_u32 v2, vcc_lo, s34, v9
	v_lshlrev_b64 v[11:12], 1, v[11:12]
	v_add_co_ci_u32_e64 v10, null, s35, v10, vcc_lo
	v_add_co_u32 v9, vcc_lo, v2, v11
	v_add_co_ci_u32_e64 v10, null, v10, v12, vcc_lo
	v_mad_u64_u32 v[11:12], null, v7, 3, 0
	global_load_ushort v26, v[9:10], off
	v_mov_b32_e32 v2, v12
	v_mad_u64_u32 v[12:13], null, v8, 3, v[2:3]
	v_mul_lo_u32 v2, s9, v11
	v_mad_u64_u32 v[7:8], null, s8, v11, s[8:9]
	v_mul_lo_u32 v9, s8, v12
	v_add_co_u32 v20, vcc_lo, v3, v7
	v_add3_u32 v8, v2, v8, v9
                                        ; implicit-def: $vgpr9_vgpr10
	v_add_co_ci_u32_e64 v22, null, v4, v8, vcc_lo
	v_or_b32_e32 v2, s41, v22
	v_ashrrev_i32_e32 v17, 31, v22
	v_cmpx_ne_u64_e32 0, v[1:2]
	s_xor_b32 s1, exec_lo, s0
	s_cbranch_execz .LBB31_13
; %bb.12:                               ;   in Loop: Header=BB31_3 Depth=1
	s_ashr_i32 s64, s41, 31
	v_add_co_u32 v10, vcc_lo, v20, v17
	s_add_u32 s66, s40, s64
	s_mov_b32 s65, s64
	s_addc_u32 s67, s41, s64
	v_add_co_ci_u32_e64 v13, null, v22, v17, vcc_lo
	s_xor_b64 s[66:67], s[66:67], s[64:65]
	v_cvt_f32_u32_e32 v2, s66
	v_cvt_f32_u32_e32 v9, s67
	s_sub_u32 s84, 0, s66
	s_subb_u32 s85, 0, s67
	v_xor_b32_e32 v19, v13, v17
	v_fmac_f32_e32 v2, 0x4f800000, v9
	v_rcp_f32_e32 v2, v2
	v_mul_f32_e32 v2, 0x5f7ffffc, v2
	v_mul_f32_e32 v9, 0x2f800000, v2
	v_trunc_f32_e32 v9, v9
	v_fmac_f32_e32 v2, 0xcf800000, v9
	v_cvt_u32_f32_e32 v9, v9
	v_cvt_u32_f32_e32 v2, v2
	v_readfirstlane_b32 s0, v9
	v_readfirstlane_b32 s65, v2
	s_mul_i32 s86, s84, s0
	v_xor_b32_e32 v2, v10, v17
	s_mul_hi_u32 s88, s84, s65
	s_mul_i32 s87, s85, s65
	s_add_i32 s86, s88, s86
	s_mul_i32 s89, s84, s65
	s_add_i32 s86, s86, s87
	s_mul_hi_u32 s88, s65, s89
	s_mul_i32 s91, s65, s86
	s_mul_hi_u32 s90, s0, s89
	s_mul_i32 s87, s0, s89
	s_mul_hi_u32 s89, s65, s86
	s_add_u32 s88, s88, s91
	s_addc_u32 s89, 0, s89
	s_mul_hi_u32 s92, s0, s86
	s_add_u32 s87, s88, s87
	s_mul_i32 s86, s0, s86
	s_addc_u32 s87, s89, s90
	s_addc_u32 s88, s92, 0
	s_add_u32 s86, s87, s86
	s_addc_u32 s87, 0, s88
	s_add_u32 s65, s65, s86
	s_cselect_b32 s86, -1, 0
	s_mul_hi_u32 s88, s84, s65
	s_cmp_lg_u32 s86, 0
	s_mul_i32 s86, s84, s65
	s_addc_u32 s0, s0, s87
	s_mul_i32 s85, s85, s65
	s_mul_i32 s84, s84, s0
	s_mul_hi_u32 s87, s65, s86
	s_add_i32 s84, s88, s84
	s_mul_hi_u32 s88, s0, s86
	s_add_i32 s84, s84, s85
	s_mul_i32 s85, s0, s86
	s_mul_i32 s90, s65, s84
	s_mul_hi_u32 s89, s65, s84
	s_add_u32 s87, s87, s90
	s_addc_u32 s89, 0, s89
	s_mul_hi_u32 s86, s0, s84
	s_add_u32 s85, s87, s85
	s_mul_i32 s84, s0, s84
	s_addc_u32 s85, s89, s88
	s_addc_u32 s86, s86, 0
	s_add_u32 s84, s85, s84
	s_addc_u32 s85, 0, s86
	s_add_u32 s65, s65, s84
	s_cselect_b32 s84, -1, 0
	v_mul_hi_u32 v21, v2, s65
	s_cmp_lg_u32 s84, 0
	v_mad_u64_u32 v[13:14], null, v19, s65, 0
	s_addc_u32 s0, s0, s85
	v_mad_u64_u32 v[9:10], null, v2, s0, 0
	v_mad_u64_u32 v[23:24], null, v19, s0, 0
	v_add_co_u32 v9, vcc_lo, v21, v9
	v_add_co_ci_u32_e64 v10, null, 0, v10, vcc_lo
	v_add_co_u32 v9, vcc_lo, v9, v13
	v_add_co_ci_u32_e32 v9, vcc_lo, v10, v14, vcc_lo
	v_add_co_ci_u32_e32 v10, vcc_lo, 0, v24, vcc_lo
	v_add_co_u32 v13, vcc_lo, v9, v23
	v_add_co_ci_u32_e64 v14, null, 0, v10, vcc_lo
	v_mul_lo_u32 v21, s67, v13
	v_mad_u64_u32 v[9:10], null, s66, v13, 0
	v_mul_lo_u32 v23, s66, v14
	v_sub_co_u32 v2, vcc_lo, v2, v9
	v_add3_u32 v10, v10, v23, v21
	v_sub_nc_u32_e32 v21, v19, v10
	v_sub_co_ci_u32_e64 v10, null, v19, v10, vcc_lo
	v_subrev_co_ci_u32_e64 v9, null, s67, v21, vcc_lo
	v_add_co_u32 v21, s0, v13, 2
	v_add_co_ci_u32_e64 v23, null, 0, v14, s0
	v_sub_co_u32 v24, s0, v2, s66
	v_subrev_co_ci_u32_e64 v9, null, 0, v9, s0
	v_cmp_le_u32_e32 vcc_lo, s66, v24
	v_cndmask_b32_e64 v19, 0, -1, vcc_lo
	v_cmp_le_u32_e32 vcc_lo, s67, v9
	v_cndmask_b32_e64 v24, 0, -1, vcc_lo
	;; [unrolled: 2-line block ×4, first 2 shown]
	v_cmp_eq_u32_e32 vcc_lo, s67, v9
	v_cndmask_b32_e32 v9, v24, v19, vcc_lo
	v_add_co_u32 v19, vcc_lo, v13, 1
	v_add_co_ci_u32_e64 v24, null, 0, v14, vcc_lo
	v_cmp_eq_u32_e32 vcc_lo, s67, v10
	v_xor_b32_e32 v10, s64, v17
	v_cndmask_b32_e32 v2, v27, v2, vcc_lo
	v_cmp_ne_u32_e32 vcc_lo, 0, v9
	v_cmp_ne_u32_e64 s0, 0, v2
	v_cndmask_b32_e32 v2, v19, v21, vcc_lo
	v_cndmask_b32_e32 v9, v24, v23, vcc_lo
	v_cndmask_b32_e64 v2, v13, v2, s0
	v_cndmask_b32_e64 v9, v14, v9, s0
	v_xor_b32_e32 v2, v2, v10
	v_xor_b32_e32 v13, v9, v10
	v_sub_co_u32 v9, vcc_lo, v2, v10
	v_sub_co_ci_u32_e64 v10, null, v13, v10, vcc_lo
.LBB31_13:                              ;   in Loop: Header=BB31_3 Depth=1
	s_andn2_saveexec_b32 s0, s1
	s_cbranch_execz .LBB31_15
; %bb.14:                               ;   in Loop: Header=BB31_3 Depth=1
	v_rcp_iflag_f32_e32 v2, v29
	s_sub_i32 s1, 0, s40
	v_mul_f32_e32 v2, 0x4f7ffffe, v2
	v_cvt_u32_f32_e32 v2, v2
	v_mul_lo_u32 v9, s1, v2
	v_mul_hi_u32 v9, v2, v9
	v_add_nc_u32_e32 v2, v2, v9
	v_mul_hi_u32 v2, v20, v2
	v_mul_lo_u32 v9, v2, s40
	v_add_nc_u32_e32 v10, 1, v2
	v_sub_nc_u32_e32 v9, v20, v9
	v_subrev_nc_u32_e32 v13, s40, v9
	v_cmp_le_u32_e32 vcc_lo, s40, v9
	v_cndmask_b32_e32 v9, v9, v13, vcc_lo
	v_cndmask_b32_e32 v2, v2, v10, vcc_lo
	v_cmp_le_u32_e32 vcc_lo, s40, v9
	v_add_nc_u32_e32 v10, 1, v2
	v_cndmask_b32_e32 v9, v2, v10, vcc_lo
	v_mov_b32_e32 v10, v1
.LBB31_15:                              ;   in Loop: Header=BB31_3 Depth=1
	s_or_b32 exec_lo, exec_lo, s0
	v_mul_lo_u32 v2, v10, s40
	v_mul_lo_u32 v19, v9, s41
	v_mad_u64_u32 v[13:14], null, v9, s40, 0
	v_mul_lo_u32 v21, v9, s17
	s_mov_b32 s0, exec_lo
	v_add3_u32 v2, v14, v19, v2
	v_mul_lo_u32 v19, v10, s16
	v_sub_co_u32 v10, vcc_lo, v7, v13
	v_sub_co_ci_u32_e64 v2, null, v8, v2, vcc_lo
	v_add_co_u32 v13, vcc_lo, v3, v10
	v_mad_u64_u32 v[9:10], null, v9, s16, 0
	v_add_co_ci_u32_e64 v2, null, v4, v2, vcc_lo
	v_mul_lo_u32 v23, v13, s19
	v_mad_u64_u32 v[13:14], null, v13, s18, 0
	v_mul_lo_u32 v2, v2, s18
	v_add3_u32 v10, v10, v21, v19
	v_lshlrev_b64 v[9:10], 1, v[9:10]
	v_add3_u32 v14, v14, v23, v2
	v_add_co_u32 v2, vcc_lo, s34, v9
	v_lshlrev_b64 v[13:14], 1, v[13:14]
	v_add_co_ci_u32_e64 v10, null, s35, v10, vcc_lo
	v_add_co_u32 v9, vcc_lo, v2, v13
	v_add_co_ci_u32_e64 v10, null, v10, v14, vcc_lo
	v_add_co_u32 v2, vcc_lo, v11, 2
	global_load_ushort v27, v[9:10], off
	v_add_co_ci_u32_e64 v9, null, 0, v12, vcc_lo
	v_mul_lo_u32 v13, s9, v2
	v_mul_lo_u32 v14, s8, v9
	v_mad_u64_u32 v[9:10], null, s8, v2, 0
	v_add3_u32 v10, v10, v14, v13
	v_add_co_u32 v23, vcc_lo, v3, v9
                                        ; implicit-def: $vgpr13_vgpr14
	v_add_co_ci_u32_e64 v24, null, v4, v10, vcc_lo
	v_or_b32_e32 v2, s41, v24
	v_ashrrev_i32_e32 v19, 31, v24
	v_cmpx_ne_u64_e32 0, v[1:2]
	s_xor_b32 s1, exec_lo, s0
	s_cbranch_execz .LBB31_17
; %bb.16:                               ;   in Loop: Header=BB31_3 Depth=1
	s_ashr_i32 s64, s41, 31
	v_add_co_u32 v14, vcc_lo, v23, v19
	s_add_u32 s66, s40, s64
	s_mov_b32 s65, s64
	s_addc_u32 s67, s41, s64
	v_add_co_ci_u32_e64 v21, null, v24, v19, vcc_lo
	s_xor_b64 s[66:67], s[66:67], s[64:65]
	v_cvt_f32_u32_e32 v2, s66
	v_cvt_f32_u32_e32 v13, s67
	s_sub_u32 s84, 0, s66
	s_subb_u32 s85, 0, s67
	v_xor_b32_e32 v21, v21, v19
	v_fmac_f32_e32 v2, 0x4f800000, v13
	v_rcp_f32_e32 v2, v2
	v_mul_f32_e32 v2, 0x5f7ffffc, v2
	v_mul_f32_e32 v13, 0x2f800000, v2
	v_trunc_f32_e32 v13, v13
	v_fmac_f32_e32 v2, 0xcf800000, v13
	v_cvt_u32_f32_e32 v13, v13
	v_cvt_u32_f32_e32 v2, v2
	v_readfirstlane_b32 s0, v13
	v_readfirstlane_b32 s65, v2
	s_mul_i32 s86, s84, s0
	v_xor_b32_e32 v2, v14, v19
	s_mul_hi_u32 s88, s84, s65
	s_mul_i32 s87, s85, s65
	s_add_i32 s86, s88, s86
	s_mul_i32 s89, s84, s65
	s_add_i32 s86, s86, s87
	s_mul_hi_u32 s88, s65, s89
	s_mul_i32 s91, s65, s86
	s_mul_hi_u32 s90, s0, s89
	s_mul_i32 s87, s0, s89
	s_mul_hi_u32 s89, s65, s86
	s_add_u32 s88, s88, s91
	s_addc_u32 s89, 0, s89
	s_mul_hi_u32 s92, s0, s86
	s_add_u32 s87, s88, s87
	s_mul_i32 s86, s0, s86
	s_addc_u32 s87, s89, s90
	s_addc_u32 s88, s92, 0
	s_add_u32 s86, s87, s86
	s_addc_u32 s87, 0, s88
	s_add_u32 s65, s65, s86
	s_cselect_b32 s86, -1, 0
	s_mul_hi_u32 s88, s84, s65
	s_cmp_lg_u32 s86, 0
	s_mul_i32 s86, s84, s65
	s_addc_u32 s0, s0, s87
	s_mul_i32 s85, s85, s65
	s_mul_i32 s84, s84, s0
	s_mul_hi_u32 s87, s65, s86
	s_add_i32 s84, s88, s84
	s_mul_hi_u32 s88, s0, s86
	s_add_i32 s84, s84, s85
	s_mul_i32 s85, s0, s86
	s_mul_i32 s90, s65, s84
	s_mul_hi_u32 s89, s65, s84
	s_add_u32 s87, s87, s90
	s_addc_u32 s89, 0, s89
	s_mul_hi_u32 s86, s0, s84
	s_add_u32 s85, s87, s85
	s_mul_i32 s84, s0, s84
	s_addc_u32 s85, s89, s88
	s_addc_u32 s86, s86, 0
	s_add_u32 s84, s85, s84
	s_addc_u32 s85, 0, s86
	s_add_u32 s65, s65, s84
	s_cselect_b32 s84, -1, 0
	v_mul_hi_u32 v28, v2, s65
	s_cmp_lg_u32 s84, 0
	v_mad_u64_u32 v[30:31], null, v21, s65, 0
	s_addc_u32 s0, s0, s85
	v_mad_u64_u32 v[13:14], null, v2, s0, 0
	v_mad_u64_u32 v[32:33], null, v21, s0, 0
	v_add_co_u32 v13, vcc_lo, v28, v13
	v_add_co_ci_u32_e64 v14, null, 0, v14, vcc_lo
	v_add_co_u32 v13, vcc_lo, v13, v30
	v_add_co_ci_u32_e32 v13, vcc_lo, v14, v31, vcc_lo
	v_add_co_ci_u32_e32 v14, vcc_lo, 0, v33, vcc_lo
	v_add_co_u32 v28, vcc_lo, v13, v32
	v_add_co_ci_u32_e64 v30, null, 0, v14, vcc_lo
	v_mul_lo_u32 v31, s67, v28
	v_mad_u64_u32 v[13:14], null, s66, v28, 0
	v_mul_lo_u32 v32, s66, v30
	v_sub_co_u32 v2, vcc_lo, v2, v13
	v_add3_u32 v14, v14, v32, v31
	v_sub_nc_u32_e32 v31, v21, v14
	v_sub_co_ci_u32_e64 v14, null, v21, v14, vcc_lo
	v_subrev_co_ci_u32_e64 v13, null, s67, v31, vcc_lo
	v_add_co_u32 v31, s0, v28, 2
	v_add_co_ci_u32_e64 v32, null, 0, v30, s0
	v_sub_co_u32 v33, s0, v2, s66
	v_subrev_co_ci_u32_e64 v13, null, 0, v13, s0
	v_cmp_le_u32_e32 vcc_lo, s66, v33
	v_cndmask_b32_e64 v21, 0, -1, vcc_lo
	v_cmp_le_u32_e32 vcc_lo, s67, v13
	v_cndmask_b32_e64 v33, 0, -1, vcc_lo
	;; [unrolled: 2-line block ×4, first 2 shown]
	v_cmp_eq_u32_e32 vcc_lo, s67, v13
	v_cndmask_b32_e32 v13, v33, v21, vcc_lo
	v_add_co_u32 v21, vcc_lo, v28, 1
	v_add_co_ci_u32_e64 v33, null, 0, v30, vcc_lo
	v_cmp_eq_u32_e32 vcc_lo, s67, v14
	v_xor_b32_e32 v14, s64, v19
	v_cndmask_b32_e32 v2, v34, v2, vcc_lo
	v_cmp_ne_u32_e32 vcc_lo, 0, v13
	v_cmp_ne_u32_e64 s0, 0, v2
	v_cndmask_b32_e32 v2, v21, v31, vcc_lo
	v_cndmask_b32_e32 v13, v33, v32, vcc_lo
	v_cndmask_b32_e64 v2, v28, v2, s0
	v_cndmask_b32_e64 v13, v30, v13, s0
	v_xor_b32_e32 v2, v2, v14
	v_xor_b32_e32 v21, v13, v14
	v_sub_co_u32 v13, vcc_lo, v2, v14
	v_sub_co_ci_u32_e64 v14, null, v21, v14, vcc_lo
.LBB31_17:                              ;   in Loop: Header=BB31_3 Depth=1
	s_andn2_saveexec_b32 s0, s1
	s_cbranch_execz .LBB31_19
; %bb.18:                               ;   in Loop: Header=BB31_3 Depth=1
	v_rcp_iflag_f32_e32 v2, v29
	s_sub_i32 s1, 0, s40
	v_mul_f32_e32 v2, 0x4f7ffffe, v2
	v_cvt_u32_f32_e32 v2, v2
	v_mul_lo_u32 v13, s1, v2
	v_mul_hi_u32 v13, v2, v13
	v_add_nc_u32_e32 v2, v2, v13
	v_mul_hi_u32 v2, v23, v2
	v_mul_lo_u32 v13, v2, s40
	v_add_nc_u32_e32 v14, 1, v2
	v_sub_nc_u32_e32 v13, v23, v13
	v_subrev_nc_u32_e32 v21, s40, v13
	v_cmp_le_u32_e32 vcc_lo, s40, v13
	v_cndmask_b32_e32 v13, v13, v21, vcc_lo
	v_cndmask_b32_e32 v2, v2, v14, vcc_lo
	v_cmp_le_u32_e32 vcc_lo, s40, v13
	v_add_nc_u32_e32 v14, 1, v2
	v_cndmask_b32_e32 v13, v2, v14, vcc_lo
	v_mov_b32_e32 v14, v1
.LBB31_19:                              ;   in Loop: Header=BB31_3 Depth=1
	s_or_b32 exec_lo, exec_lo, s0
	v_mul_lo_u32 v2, v14, s40
	v_mul_lo_u32 v21, v13, s41
	v_mad_u64_u32 v[30:31], null, v13, s40, 0
	v_mul_lo_u32 v28, v13, s17
	s_mov_b32 s0, exec_lo
	v_add3_u32 v2, v31, v21, v2
	v_mul_lo_u32 v21, v14, s16
	v_sub_co_u32 v14, vcc_lo, v9, v30
	v_sub_co_ci_u32_e64 v2, null, v10, v2, vcc_lo
	v_add_co_u32 v30, vcc_lo, v3, v14
	v_mad_u64_u32 v[13:14], null, v13, s16, 0
	v_add_co_ci_u32_e64 v2, null, v4, v2, vcc_lo
	v_mul_lo_u32 v32, v30, s19
	v_mad_u64_u32 v[30:31], null, v30, s18, 0
	v_mul_lo_u32 v2, v2, s18
	v_add3_u32 v14, v14, v28, v21
	v_lshlrev_b64 v[13:14], 1, v[13:14]
	v_add3_u32 v31, v31, v32, v2
	v_add_co_u32 v2, vcc_lo, s34, v13
	v_lshlrev_b64 v[30:31], 1, v[30:31]
	v_add_co_ci_u32_e64 v14, null, s35, v14, vcc_lo
	v_add_co_u32 v13, vcc_lo, v2, v30
	v_add_co_ci_u32_e64 v14, null, v14, v31, vcc_lo
	v_add_co_u32 v2, vcc_lo, v11, 3
	v_add_co_ci_u32_e64 v11, null, 0, v12, vcc_lo
	global_load_ushort v28, v[13:14], off
	v_mul_lo_u32 v13, s9, v2
	v_mul_lo_u32 v14, s8, v11
	v_mad_u64_u32 v[11:12], null, s8, v2, 0
	v_add3_u32 v12, v12, v14, v13
	v_add_co_u32 v30, vcc_lo, v3, v11
                                        ; implicit-def: $vgpr13_vgpr14
	v_add_co_ci_u32_e64 v31, null, v4, v12, vcc_lo
	v_or_b32_e32 v2, s41, v31
	v_ashrrev_i32_e32 v21, 31, v31
	v_cmpx_ne_u64_e32 0, v[1:2]
	s_xor_b32 s1, exec_lo, s0
	s_cbranch_execz .LBB31_21
; %bb.20:                               ;   in Loop: Header=BB31_3 Depth=1
	s_ashr_i32 s64, s41, 31
	v_add_co_u32 v14, vcc_lo, v30, v21
	s_add_u32 s66, s40, s64
	s_mov_b32 s65, s64
	s_addc_u32 s67, s41, s64
	v_add_co_ci_u32_e64 v29, null, v31, v21, vcc_lo
	s_xor_b64 s[66:67], s[66:67], s[64:65]
	v_cvt_f32_u32_e32 v2, s66
	v_cvt_f32_u32_e32 v13, s67
	s_sub_u32 s84, 0, s66
	s_subb_u32 s85, 0, s67
	v_xor_b32_e32 v29, v29, v21
	v_fmac_f32_e32 v2, 0x4f800000, v13
	v_rcp_f32_e32 v2, v2
	v_mul_f32_e32 v2, 0x5f7ffffc, v2
	v_mul_f32_e32 v13, 0x2f800000, v2
	v_trunc_f32_e32 v13, v13
	v_fmac_f32_e32 v2, 0xcf800000, v13
	v_cvt_u32_f32_e32 v13, v13
	v_cvt_u32_f32_e32 v2, v2
	v_readfirstlane_b32 s0, v13
	v_readfirstlane_b32 s65, v2
	s_mul_i32 s86, s84, s0
	v_xor_b32_e32 v2, v14, v21
	s_mul_hi_u32 s88, s84, s65
	s_mul_i32 s87, s85, s65
	s_add_i32 s86, s88, s86
	s_mul_i32 s89, s84, s65
	s_add_i32 s86, s86, s87
	s_mul_hi_u32 s88, s65, s89
	s_mul_i32 s91, s65, s86
	s_mul_hi_u32 s90, s0, s89
	s_mul_i32 s87, s0, s89
	s_mul_hi_u32 s89, s65, s86
	s_add_u32 s88, s88, s91
	s_addc_u32 s89, 0, s89
	s_mul_hi_u32 s92, s0, s86
	s_add_u32 s87, s88, s87
	s_mul_i32 s86, s0, s86
	s_addc_u32 s87, s89, s90
	s_addc_u32 s88, s92, 0
	s_add_u32 s86, s87, s86
	s_addc_u32 s87, 0, s88
	s_add_u32 s65, s65, s86
	s_cselect_b32 s86, -1, 0
	s_mul_hi_u32 s88, s84, s65
	s_cmp_lg_u32 s86, 0
	s_mul_i32 s86, s84, s65
	s_addc_u32 s0, s0, s87
	s_mul_i32 s85, s85, s65
	s_mul_i32 s84, s84, s0
	s_mul_hi_u32 s87, s65, s86
	s_add_i32 s84, s88, s84
	s_mul_hi_u32 s88, s0, s86
	s_add_i32 s84, s84, s85
	s_mul_i32 s85, s0, s86
	s_mul_i32 s90, s65, s84
	s_mul_hi_u32 s89, s65, s84
	s_add_u32 s87, s87, s90
	s_addc_u32 s89, 0, s89
	s_mul_hi_u32 s86, s0, s84
	s_add_u32 s85, s87, s85
	s_mul_i32 s84, s0, s84
	s_addc_u32 s85, s89, s88
	s_addc_u32 s86, s86, 0
	s_add_u32 s84, s85, s84
	s_addc_u32 s85, 0, s86
	s_add_u32 s65, s65, s84
	s_cselect_b32 s84, -1, 0
	v_mul_hi_u32 v36, v2, s65
	s_cmp_lg_u32 s84, 0
	v_mad_u64_u32 v[32:33], null, v29, s65, 0
	s_addc_u32 s0, s0, s85
	v_mad_u64_u32 v[13:14], null, v2, s0, 0
	v_mad_u64_u32 v[34:35], null, v29, s0, 0
	v_add_co_u32 v13, vcc_lo, v36, v13
	v_add_co_ci_u32_e64 v14, null, 0, v14, vcc_lo
	v_add_co_u32 v13, vcc_lo, v13, v32
	v_add_co_ci_u32_e32 v13, vcc_lo, v14, v33, vcc_lo
	v_add_co_ci_u32_e32 v14, vcc_lo, 0, v35, vcc_lo
	v_add_co_u32 v32, vcc_lo, v13, v34
	v_add_co_ci_u32_e64 v33, null, 0, v14, vcc_lo
	v_mul_lo_u32 v34, s67, v32
	v_mad_u64_u32 v[13:14], null, s66, v32, 0
	v_mul_lo_u32 v35, s66, v33
	v_sub_co_u32 v2, vcc_lo, v2, v13
	v_add3_u32 v14, v14, v35, v34
	v_sub_nc_u32_e32 v34, v29, v14
	v_sub_co_ci_u32_e64 v14, null, v29, v14, vcc_lo
	v_subrev_co_ci_u32_e64 v13, null, s67, v34, vcc_lo
	v_add_co_u32 v34, s0, v32, 2
	v_add_co_ci_u32_e64 v35, null, 0, v33, s0
	v_sub_co_u32 v36, s0, v2, s66
	v_subrev_co_ci_u32_e64 v13, null, 0, v13, s0
	v_cmp_le_u32_e32 vcc_lo, s66, v36
	v_cndmask_b32_e64 v29, 0, -1, vcc_lo
	v_cmp_le_u32_e32 vcc_lo, s67, v13
	v_cndmask_b32_e64 v36, 0, -1, vcc_lo
	;; [unrolled: 2-line block ×4, first 2 shown]
	v_cmp_eq_u32_e32 vcc_lo, s67, v13
	v_cndmask_b32_e32 v13, v36, v29, vcc_lo
	v_add_co_u32 v29, vcc_lo, v32, 1
	v_add_co_ci_u32_e64 v36, null, 0, v33, vcc_lo
	v_cmp_eq_u32_e32 vcc_lo, s67, v14
	v_xor_b32_e32 v14, s64, v21
	v_cndmask_b32_e32 v2, v37, v2, vcc_lo
	v_cmp_ne_u32_e32 vcc_lo, 0, v13
	v_cmp_ne_u32_e64 s0, 0, v2
	v_cndmask_b32_e32 v2, v29, v34, vcc_lo
	v_cndmask_b32_e32 v13, v36, v35, vcc_lo
	v_cndmask_b32_e64 v2, v32, v2, s0
	v_cndmask_b32_e64 v13, v33, v13, s0
	v_xor_b32_e32 v2, v2, v14
	v_xor_b32_e32 v29, v13, v14
	v_sub_co_u32 v13, vcc_lo, v2, v14
	v_sub_co_ci_u32_e64 v14, null, v29, v14, vcc_lo
                                        ; implicit-def: $vgpr29
.LBB31_21:                              ;   in Loop: Header=BB31_3 Depth=1
	s_andn2_saveexec_b32 s0, s1
	s_cbranch_execz .LBB31_23
; %bb.22:                               ;   in Loop: Header=BB31_3 Depth=1
	v_rcp_iflag_f32_e32 v2, v29
	s_sub_i32 s1, 0, s40
	v_mul_f32_e32 v2, 0x4f7ffffe, v2
	v_cvt_u32_f32_e32 v2, v2
	v_mul_lo_u32 v13, s1, v2
	v_mul_hi_u32 v13, v2, v13
	v_add_nc_u32_e32 v2, v2, v13
	v_mul_hi_u32 v2, v30, v2
	v_mul_lo_u32 v13, v2, s40
	v_add_nc_u32_e32 v14, 1, v2
	v_sub_nc_u32_e32 v13, v30, v13
	v_subrev_nc_u32_e32 v29, s40, v13
	v_cmp_le_u32_e32 vcc_lo, s40, v13
	v_cndmask_b32_e32 v13, v13, v29, vcc_lo
	v_cndmask_b32_e32 v2, v2, v14, vcc_lo
	v_cmp_le_u32_e32 vcc_lo, s40, v13
	v_add_nc_u32_e32 v14, 1, v2
	v_cndmask_b32_e32 v13, v2, v14, vcc_lo
	v_mov_b32_e32 v14, v1
.LBB31_23:                              ;   in Loop: Header=BB31_3 Depth=1
	s_or_b32 exec_lo, exec_lo, s0
	v_mul_lo_u32 v2, v14, s40
	v_mul_lo_u32 v29, v13, s41
	v_mad_u64_u32 v[32:33], null, v13, s40, 0
	v_mul_lo_u32 v34, v13, s17
	s_mov_b32 s0, exec_lo
	v_add3_u32 v2, v33, v29, v2
	v_mul_lo_u32 v29, v14, s16
	v_sub_co_u32 v14, vcc_lo, v11, v32
	v_sub_co_ci_u32_e64 v2, null, v12, v2, vcc_lo
	v_add_co_u32 v32, vcc_lo, v3, v14
	v_mad_u64_u32 v[13:14], null, v13, s16, 0
	v_add_co_ci_u32_e64 v2, null, v4, v2, vcc_lo
	v_mul_lo_u32 v35, v32, s19
	v_mad_u64_u32 v[32:33], null, v32, s18, 0
	v_mul_lo_u32 v2, v2, s18
	v_add3_u32 v14, v14, v34, v29
	v_lshlrev_b64 v[13:14], 1, v[13:14]
	v_add3_u32 v33, v33, v35, v2
	v_add_co_u32 v2, vcc_lo, s34, v13
	v_lshlrev_b64 v[32:33], 1, v[32:33]
	v_add_co_ci_u32_e64 v14, null, s35, v14, vcc_lo
	v_add_co_u32 v13, vcc_lo, v2, v32
	v_add_co_ci_u32_e64 v14, null, v14, v33, vcc_lo
	v_or_b32_e32 v2, s47, v18
	global_load_ushort v29, v[13:14], off
                                        ; implicit-def: $vgpr13_vgpr14
	v_cmpx_ne_u64_e32 0, v[1:2]
	s_xor_b32 s1, exec_lo, s0
	s_cbranch_execz .LBB31_25
; %bb.24:                               ;   in Loop: Header=BB31_3 Depth=1
	s_ashr_i32 s64, s47, 31
	v_add_co_u32 v14, vcc_lo, v16, v15
	s_add_u32 s66, s46, s64
	s_mov_b32 s65, s64
	s_addc_u32 s67, s47, s64
	v_add_co_ci_u32_e64 v16, null, v18, v15, vcc_lo
	s_xor_b64 s[66:67], s[66:67], s[64:65]
	v_cvt_f32_u32_e32 v2, s66
	v_cvt_f32_u32_e32 v13, s67
	s_sub_u32 s84, 0, s66
	s_subb_u32 s85, 0, s67
	v_xor_b32_e32 v16, v16, v15
	v_fmac_f32_e32 v2, 0x4f800000, v13
	v_rcp_f32_e32 v2, v2
	v_mul_f32_e32 v2, 0x5f7ffffc, v2
	v_mul_f32_e32 v13, 0x2f800000, v2
	v_trunc_f32_e32 v13, v13
	v_fmac_f32_e32 v2, 0xcf800000, v13
	v_cvt_u32_f32_e32 v13, v13
	v_cvt_u32_f32_e32 v2, v2
	v_readfirstlane_b32 s0, v13
	v_readfirstlane_b32 s65, v2
	s_mul_i32 s86, s84, s0
	v_xor_b32_e32 v2, v14, v15
	s_mul_hi_u32 s88, s84, s65
	s_mul_i32 s87, s85, s65
	s_add_i32 s86, s88, s86
	s_mul_i32 s89, s84, s65
	s_add_i32 s86, s86, s87
	s_mul_hi_u32 s88, s65, s89
	s_mul_i32 s91, s65, s86
	s_mul_hi_u32 s90, s0, s89
	s_mul_i32 s87, s0, s89
	s_mul_hi_u32 s89, s65, s86
	s_add_u32 s88, s88, s91
	s_addc_u32 s89, 0, s89
	s_mul_hi_u32 s92, s0, s86
	s_add_u32 s87, s88, s87
	s_mul_i32 s86, s0, s86
	s_addc_u32 s87, s89, s90
	s_addc_u32 s88, s92, 0
	s_add_u32 s86, s87, s86
	s_addc_u32 s87, 0, s88
	s_add_u32 s65, s65, s86
	s_cselect_b32 s86, -1, 0
	s_mul_hi_u32 s88, s84, s65
	s_cmp_lg_u32 s86, 0
	s_mul_i32 s86, s84, s65
	s_addc_u32 s0, s0, s87
	s_mul_i32 s85, s85, s65
	s_mul_i32 s84, s84, s0
	s_mul_hi_u32 s87, s65, s86
	s_add_i32 s84, s88, s84
	s_mul_hi_u32 s88, s0, s86
	s_add_i32 s84, s84, s85
	s_mul_i32 s85, s0, s86
	s_mul_i32 s90, s65, s84
	s_mul_hi_u32 s89, s65, s84
	s_add_u32 s87, s87, s90
	s_addc_u32 s89, 0, s89
	s_mul_hi_u32 s86, s0, s84
	s_add_u32 s85, s87, s85
	s_mul_i32 s84, s0, s84
	s_addc_u32 s85, s89, s88
	s_addc_u32 s86, s86, 0
	s_add_u32 s84, s85, s84
	s_addc_u32 s85, 0, s86
	s_add_u32 s65, s65, s84
	s_cselect_b32 s84, -1, 0
	v_mul_hi_u32 v18, v2, s65
	s_cmp_lg_u32 s84, 0
	v_mad_u64_u32 v[32:33], null, v16, s65, 0
	s_addc_u32 s0, s0, s85
	v_mad_u64_u32 v[13:14], null, v2, s0, 0
	v_mad_u64_u32 v[34:35], null, v16, s0, 0
	v_add_co_u32 v13, vcc_lo, v18, v13
	v_add_co_ci_u32_e64 v14, null, 0, v14, vcc_lo
	v_add_co_u32 v13, vcc_lo, v13, v32
	v_add_co_ci_u32_e32 v13, vcc_lo, v14, v33, vcc_lo
	v_add_co_ci_u32_e32 v14, vcc_lo, 0, v35, vcc_lo
	v_add_co_u32 v18, vcc_lo, v13, v34
	v_add_co_ci_u32_e64 v32, null, 0, v14, vcc_lo
	v_mul_lo_u32 v33, s67, v18
	v_mad_u64_u32 v[13:14], null, s66, v18, 0
	v_mul_lo_u32 v34, s66, v32
	v_sub_co_u32 v2, vcc_lo, v2, v13
	v_add3_u32 v14, v14, v34, v33
	v_sub_nc_u32_e32 v33, v16, v14
	v_sub_co_ci_u32_e64 v14, null, v16, v14, vcc_lo
	v_subrev_co_ci_u32_e64 v13, null, s67, v33, vcc_lo
	v_add_co_u32 v33, s0, v18, 2
	v_add_co_ci_u32_e64 v34, null, 0, v32, s0
	v_sub_co_u32 v35, s0, v2, s66
	v_subrev_co_ci_u32_e64 v13, null, 0, v13, s0
	v_cmp_le_u32_e32 vcc_lo, s66, v35
	v_cndmask_b32_e64 v16, 0, -1, vcc_lo
	v_cmp_le_u32_e32 vcc_lo, s67, v13
	v_cndmask_b32_e64 v35, 0, -1, vcc_lo
	;; [unrolled: 2-line block ×4, first 2 shown]
	v_cmp_eq_u32_e32 vcc_lo, s67, v13
	v_cndmask_b32_e32 v13, v35, v16, vcc_lo
	v_add_co_u32 v16, vcc_lo, v18, 1
	v_add_co_ci_u32_e64 v35, null, 0, v32, vcc_lo
	v_cmp_eq_u32_e32 vcc_lo, s67, v14
	v_xor_b32_e32 v14, s64, v15
	v_cndmask_b32_e32 v2, v36, v2, vcc_lo
	v_cmp_ne_u32_e32 vcc_lo, 0, v13
	v_cmp_ne_u32_e64 s0, 0, v2
	v_cndmask_b32_e32 v2, v16, v33, vcc_lo
	v_cndmask_b32_e32 v13, v35, v34, vcc_lo
                                        ; implicit-def: $vgpr16
	v_cndmask_b32_e64 v2, v18, v2, s0
	v_cndmask_b32_e64 v13, v32, v13, s0
	v_xor_b32_e32 v2, v2, v14
	v_xor_b32_e32 v15, v13, v14
	v_sub_co_u32 v13, vcc_lo, v2, v14
	v_sub_co_ci_u32_e64 v14, null, v15, v14, vcc_lo
.LBB31_25:                              ;   in Loop: Header=BB31_3 Depth=1
	s_or_saveexec_b32 s0, s1
	v_cvt_f32_u32_e32 v32, s46
	s_xor_b32 exec_lo, exec_lo, s0
	s_cbranch_execz .LBB31_27
; %bb.26:                               ;   in Loop: Header=BB31_3 Depth=1
	v_rcp_iflag_f32_e32 v2, v32
	s_sub_i32 s1, 0, s46
	v_mul_f32_e32 v2, 0x4f7ffffe, v2
	v_cvt_u32_f32_e32 v2, v2
	v_mul_lo_u32 v13, s1, v2
	v_mul_hi_u32 v13, v2, v13
	v_add_nc_u32_e32 v2, v2, v13
	v_mul_hi_u32 v2, v16, v2
	v_mul_lo_u32 v13, v2, s46
	v_add_nc_u32_e32 v14, 1, v2
	v_sub_nc_u32_e32 v13, v16, v13
	v_subrev_nc_u32_e32 v15, s46, v13
	v_cmp_le_u32_e32 vcc_lo, s46, v13
	v_cndmask_b32_e32 v13, v13, v15, vcc_lo
	v_cndmask_b32_e32 v2, v2, v14, vcc_lo
	v_cmp_le_u32_e32 vcc_lo, s46, v13
	v_add_nc_u32_e32 v14, 1, v2
	v_cndmask_b32_e32 v13, v2, v14, vcc_lo
	v_mov_b32_e32 v14, v1
.LBB31_27:                              ;   in Loop: Header=BB31_3 Depth=1
	s_or_b32 exec_lo, exec_lo, s0
	v_or_b32_e32 v2, s47, v22
                                        ; implicit-def: $vgpr15_vgpr16
	s_mov_b32 s0, exec_lo
	v_cmpx_ne_u64_e32 0, v[1:2]
	s_xor_b32 s1, exec_lo, s0
	s_cbranch_execz .LBB31_29
; %bb.28:                               ;   in Loop: Header=BB31_3 Depth=1
	s_ashr_i32 s64, s47, 31
	v_add_co_u32 v16, vcc_lo, v20, v17
	s_add_u32 s66, s46, s64
	s_mov_b32 s65, s64
	s_addc_u32 s67, s47, s64
	v_add_co_ci_u32_e64 v18, null, v22, v17, vcc_lo
	s_xor_b64 s[66:67], s[66:67], s[64:65]
	v_cvt_f32_u32_e32 v2, s66
	v_cvt_f32_u32_e32 v15, s67
	s_sub_u32 s84, 0, s66
	s_subb_u32 s85, 0, s67
	v_xor_b32_e32 v18, v18, v17
	v_fmac_f32_e32 v2, 0x4f800000, v15
	v_rcp_f32_e32 v2, v2
	v_mul_f32_e32 v2, 0x5f7ffffc, v2
	v_mul_f32_e32 v15, 0x2f800000, v2
	v_trunc_f32_e32 v15, v15
	v_fmac_f32_e32 v2, 0xcf800000, v15
	v_cvt_u32_f32_e32 v15, v15
	v_cvt_u32_f32_e32 v2, v2
	v_readfirstlane_b32 s0, v15
	v_readfirstlane_b32 s65, v2
	s_mul_i32 s86, s84, s0
	v_xor_b32_e32 v2, v16, v17
	s_mul_hi_u32 s88, s84, s65
	s_mul_i32 s87, s85, s65
	s_add_i32 s86, s88, s86
	s_mul_i32 s89, s84, s65
	s_add_i32 s86, s86, s87
	s_mul_hi_u32 s88, s65, s89
	s_mul_i32 s91, s65, s86
	s_mul_hi_u32 s90, s0, s89
	s_mul_i32 s87, s0, s89
	s_mul_hi_u32 s89, s65, s86
	s_add_u32 s88, s88, s91
	s_addc_u32 s89, 0, s89
	s_mul_hi_u32 s92, s0, s86
	s_add_u32 s87, s88, s87
	s_mul_i32 s86, s0, s86
	s_addc_u32 s87, s89, s90
	s_addc_u32 s88, s92, 0
	s_add_u32 s86, s87, s86
	s_addc_u32 s87, 0, s88
	s_add_u32 s65, s65, s86
	s_cselect_b32 s86, -1, 0
	s_mul_hi_u32 s88, s84, s65
	s_cmp_lg_u32 s86, 0
	s_mul_i32 s86, s84, s65
	s_addc_u32 s0, s0, s87
	s_mul_i32 s85, s85, s65
	s_mul_i32 s84, s84, s0
	s_mul_hi_u32 s87, s65, s86
	s_add_i32 s84, s88, s84
	s_mul_hi_u32 s88, s0, s86
	s_add_i32 s84, s84, s85
	s_mul_i32 s85, s0, s86
	s_mul_i32 s90, s65, s84
	s_mul_hi_u32 s89, s65, s84
	s_add_u32 s87, s87, s90
	s_addc_u32 s89, 0, s89
	s_mul_hi_u32 s86, s0, s84
	s_add_u32 s85, s87, s85
	s_mul_i32 s84, s0, s84
	s_addc_u32 s85, s89, s88
	s_addc_u32 s86, s86, 0
	s_add_u32 s84, s85, s84
	s_addc_u32 s85, 0, s86
	s_add_u32 s65, s65, s84
	s_cselect_b32 s84, -1, 0
	v_mul_hi_u32 v20, v2, s65
	s_cmp_lg_u32 s84, 0
	v_mad_u64_u32 v[33:34], null, v18, s65, 0
	s_addc_u32 s0, s0, s85
	v_mad_u64_u32 v[15:16], null, v2, s0, 0
	v_mad_u64_u32 v[35:36], null, v18, s0, 0
	v_add_co_u32 v15, vcc_lo, v20, v15
	v_add_co_ci_u32_e64 v16, null, 0, v16, vcc_lo
	v_add_co_u32 v15, vcc_lo, v15, v33
	v_add_co_ci_u32_e32 v15, vcc_lo, v16, v34, vcc_lo
	v_add_co_ci_u32_e32 v16, vcc_lo, 0, v36, vcc_lo
	v_add_co_u32 v20, vcc_lo, v15, v35
	v_add_co_ci_u32_e64 v22, null, 0, v16, vcc_lo
	v_mul_lo_u32 v33, s67, v20
	v_mad_u64_u32 v[15:16], null, s66, v20, 0
	v_mul_lo_u32 v34, s66, v22
	v_sub_co_u32 v2, vcc_lo, v2, v15
	v_add3_u32 v16, v16, v34, v33
	v_sub_nc_u32_e32 v33, v18, v16
	v_sub_co_ci_u32_e64 v16, null, v18, v16, vcc_lo
	v_subrev_co_ci_u32_e64 v15, null, s67, v33, vcc_lo
	v_add_co_u32 v33, s0, v20, 2
	v_add_co_ci_u32_e64 v34, null, 0, v22, s0
	v_sub_co_u32 v35, s0, v2, s66
	v_subrev_co_ci_u32_e64 v15, null, 0, v15, s0
	v_cmp_le_u32_e32 vcc_lo, s66, v35
	v_cndmask_b32_e64 v18, 0, -1, vcc_lo
	v_cmp_le_u32_e32 vcc_lo, s67, v15
	v_cndmask_b32_e64 v35, 0, -1, vcc_lo
	;; [unrolled: 2-line block ×4, first 2 shown]
	v_cmp_eq_u32_e32 vcc_lo, s67, v15
	v_cndmask_b32_e32 v15, v35, v18, vcc_lo
	v_add_co_u32 v18, vcc_lo, v20, 1
	v_add_co_ci_u32_e64 v35, null, 0, v22, vcc_lo
	v_cmp_eq_u32_e32 vcc_lo, s67, v16
	v_xor_b32_e32 v16, s64, v17
	v_cndmask_b32_e32 v2, v36, v2, vcc_lo
	v_cmp_ne_u32_e32 vcc_lo, 0, v15
	v_cmp_ne_u32_e64 s0, 0, v2
	v_cndmask_b32_e32 v2, v18, v33, vcc_lo
	v_cndmask_b32_e32 v15, v35, v34, vcc_lo
	v_cndmask_b32_e64 v2, v20, v2, s0
	v_cndmask_b32_e64 v15, v22, v15, s0
                                        ; implicit-def: $vgpr20
	v_xor_b32_e32 v2, v2, v16
	v_xor_b32_e32 v17, v15, v16
	v_sub_co_u32 v15, vcc_lo, v2, v16
	v_sub_co_ci_u32_e64 v16, null, v17, v16, vcc_lo
.LBB31_29:                              ;   in Loop: Header=BB31_3 Depth=1
	s_andn2_saveexec_b32 s0, s1
	s_cbranch_execz .LBB31_31
; %bb.30:                               ;   in Loop: Header=BB31_3 Depth=1
	v_rcp_iflag_f32_e32 v2, v32
	s_sub_i32 s1, 0, s46
	v_mul_f32_e32 v2, 0x4f7ffffe, v2
	v_cvt_u32_f32_e32 v2, v2
	v_mul_lo_u32 v15, s1, v2
	v_mul_hi_u32 v15, v2, v15
	v_add_nc_u32_e32 v2, v2, v15
	v_mul_hi_u32 v2, v20, v2
	v_mul_lo_u32 v15, v2, s46
	v_add_nc_u32_e32 v16, 1, v2
	v_sub_nc_u32_e32 v15, v20, v15
	v_subrev_nc_u32_e32 v17, s46, v15
	v_cmp_le_u32_e32 vcc_lo, s46, v15
	v_cndmask_b32_e32 v15, v15, v17, vcc_lo
	v_cndmask_b32_e32 v2, v2, v16, vcc_lo
	v_cmp_le_u32_e32 vcc_lo, s46, v15
	v_add_nc_u32_e32 v16, 1, v2
	v_cndmask_b32_e32 v15, v2, v16, vcc_lo
	v_mov_b32_e32 v16, v1
.LBB31_31:                              ;   in Loop: Header=BB31_3 Depth=1
	s_or_b32 exec_lo, exec_lo, s0
	v_or_b32_e32 v2, s47, v24
                                        ; implicit-def: $vgpr17_vgpr18
	s_mov_b32 s0, exec_lo
	v_cmpx_ne_u64_e32 0, v[1:2]
	s_xor_b32 s1, exec_lo, s0
	s_cbranch_execz .LBB31_33
; %bb.32:                               ;   in Loop: Header=BB31_3 Depth=1
	s_ashr_i32 s64, s47, 31
	v_add_co_u32 v18, vcc_lo, v23, v19
	s_add_u32 s66, s46, s64
	s_mov_b32 s65, s64
	s_addc_u32 s67, s47, s64
	v_add_co_ci_u32_e64 v20, null, v24, v19, vcc_lo
	s_xor_b64 s[66:67], s[66:67], s[64:65]
	v_cvt_f32_u32_e32 v2, s66
	v_cvt_f32_u32_e32 v17, s67
	s_sub_u32 s84, 0, s66
	s_subb_u32 s85, 0, s67
	v_xor_b32_e32 v20, v20, v19
	v_fmac_f32_e32 v2, 0x4f800000, v17
	v_rcp_f32_e32 v2, v2
	v_mul_f32_e32 v2, 0x5f7ffffc, v2
	v_mul_f32_e32 v17, 0x2f800000, v2
	v_trunc_f32_e32 v17, v17
	v_fmac_f32_e32 v2, 0xcf800000, v17
	v_cvt_u32_f32_e32 v17, v17
	v_cvt_u32_f32_e32 v2, v2
	v_readfirstlane_b32 s0, v17
	v_readfirstlane_b32 s65, v2
	s_mul_i32 s86, s84, s0
	v_xor_b32_e32 v2, v18, v19
	s_mul_hi_u32 s88, s84, s65
	s_mul_i32 s87, s85, s65
	s_add_i32 s86, s88, s86
	s_mul_i32 s89, s84, s65
	s_add_i32 s86, s86, s87
	s_mul_hi_u32 s88, s65, s89
	s_mul_i32 s91, s65, s86
	s_mul_hi_u32 s90, s0, s89
	s_mul_i32 s87, s0, s89
	s_mul_hi_u32 s89, s65, s86
	s_add_u32 s88, s88, s91
	s_addc_u32 s89, 0, s89
	s_mul_hi_u32 s92, s0, s86
	s_add_u32 s87, s88, s87
	s_mul_i32 s86, s0, s86
	s_addc_u32 s87, s89, s90
	s_addc_u32 s88, s92, 0
	s_add_u32 s86, s87, s86
	s_addc_u32 s87, 0, s88
	s_add_u32 s65, s65, s86
	s_cselect_b32 s86, -1, 0
	s_mul_hi_u32 s88, s84, s65
	s_cmp_lg_u32 s86, 0
	s_mul_i32 s86, s84, s65
	s_addc_u32 s0, s0, s87
	s_mul_i32 s85, s85, s65
	s_mul_i32 s84, s84, s0
	s_mul_hi_u32 s87, s65, s86
	s_add_i32 s84, s88, s84
	s_mul_hi_u32 s88, s0, s86
	s_add_i32 s84, s84, s85
	s_mul_i32 s85, s0, s86
	s_mul_i32 s90, s65, s84
	s_mul_hi_u32 s89, s65, s84
	s_add_u32 s87, s87, s90
	s_addc_u32 s89, 0, s89
	s_mul_hi_u32 s86, s0, s84
	s_add_u32 s85, s87, s85
	s_mul_i32 s84, s0, s84
	s_addc_u32 s85, s89, s88
	s_addc_u32 s86, s86, 0
	s_add_u32 s84, s85, s84
	s_addc_u32 s85, 0, s86
	s_add_u32 s65, s65, s84
	s_cselect_b32 s84, -1, 0
	v_mul_hi_u32 v24, v2, s65
	s_cmp_lg_u32 s84, 0
	v_mad_u64_u32 v[22:23], null, v20, s65, 0
	s_addc_u32 s0, s0, s85
	v_mad_u64_u32 v[17:18], null, v2, s0, 0
	v_mad_u64_u32 v[33:34], null, v20, s0, 0
	v_add_co_u32 v17, vcc_lo, v24, v17
	v_add_co_ci_u32_e64 v18, null, 0, v18, vcc_lo
	v_add_co_u32 v17, vcc_lo, v17, v22
	v_add_co_ci_u32_e32 v17, vcc_lo, v18, v23, vcc_lo
	v_add_co_ci_u32_e32 v18, vcc_lo, 0, v34, vcc_lo
	v_add_co_u32 v22, vcc_lo, v17, v33
	v_add_co_ci_u32_e64 v23, null, 0, v18, vcc_lo
	v_mul_lo_u32 v24, s67, v22
	v_mad_u64_u32 v[17:18], null, s66, v22, 0
	v_mul_lo_u32 v33, s66, v23
	v_sub_co_u32 v2, vcc_lo, v2, v17
	v_add3_u32 v18, v18, v33, v24
	v_sub_nc_u32_e32 v24, v20, v18
	v_sub_co_ci_u32_e64 v18, null, v20, v18, vcc_lo
	v_subrev_co_ci_u32_e64 v17, null, s67, v24, vcc_lo
	v_add_co_u32 v24, s0, v22, 2
	v_add_co_ci_u32_e64 v33, null, 0, v23, s0
	v_sub_co_u32 v34, s0, v2, s66
	v_subrev_co_ci_u32_e64 v17, null, 0, v17, s0
	v_cmp_le_u32_e32 vcc_lo, s66, v34
	v_cndmask_b32_e64 v20, 0, -1, vcc_lo
	v_cmp_le_u32_e32 vcc_lo, s67, v17
	v_cndmask_b32_e64 v34, 0, -1, vcc_lo
	;; [unrolled: 2-line block ×4, first 2 shown]
	v_cmp_eq_u32_e32 vcc_lo, s67, v17
	v_cndmask_b32_e32 v17, v34, v20, vcc_lo
	v_add_co_u32 v20, vcc_lo, v22, 1
	v_add_co_ci_u32_e64 v34, null, 0, v23, vcc_lo
	v_cmp_eq_u32_e32 vcc_lo, s67, v18
	v_xor_b32_e32 v18, s64, v19
	v_cndmask_b32_e32 v2, v35, v2, vcc_lo
	v_cmp_ne_u32_e32 vcc_lo, 0, v17
	v_cmp_ne_u32_e64 s0, 0, v2
	v_cndmask_b32_e32 v2, v20, v24, vcc_lo
	v_cndmask_b32_e32 v17, v34, v33, vcc_lo
	v_cndmask_b32_e64 v2, v22, v2, s0
	v_cndmask_b32_e64 v17, v23, v17, s0
                                        ; implicit-def: $vgpr23
	v_xor_b32_e32 v2, v2, v18
	v_xor_b32_e32 v19, v17, v18
	v_sub_co_u32 v17, vcc_lo, v2, v18
	v_sub_co_ci_u32_e64 v18, null, v19, v18, vcc_lo
.LBB31_33:                              ;   in Loop: Header=BB31_3 Depth=1
	s_andn2_saveexec_b32 s0, s1
	s_cbranch_execz .LBB31_35
; %bb.34:                               ;   in Loop: Header=BB31_3 Depth=1
	v_rcp_iflag_f32_e32 v2, v32
	s_sub_i32 s1, 0, s46
	v_mul_f32_e32 v2, 0x4f7ffffe, v2
	v_cvt_u32_f32_e32 v2, v2
	v_mul_lo_u32 v17, s1, v2
	v_mul_hi_u32 v17, v2, v17
	v_add_nc_u32_e32 v2, v2, v17
	v_mul_hi_u32 v2, v23, v2
	v_mul_lo_u32 v17, v2, s46
	v_add_nc_u32_e32 v18, 1, v2
	v_sub_nc_u32_e32 v17, v23, v17
	v_subrev_nc_u32_e32 v19, s46, v17
	v_cmp_le_u32_e32 vcc_lo, s46, v17
	v_cndmask_b32_e32 v17, v17, v19, vcc_lo
	v_cndmask_b32_e32 v2, v2, v18, vcc_lo
	v_cmp_le_u32_e32 vcc_lo, s46, v17
	v_add_nc_u32_e32 v18, 1, v2
	v_cndmask_b32_e32 v17, v2, v18, vcc_lo
	v_mov_b32_e32 v18, v1
.LBB31_35:                              ;   in Loop: Header=BB31_3 Depth=1
	s_or_b32 exec_lo, exec_lo, s0
	v_or_b32_e32 v2, s47, v31
                                        ; implicit-def: $vgpr19_vgpr20
	s_mov_b32 s0, exec_lo
	v_cmpx_ne_u64_e32 0, v[1:2]
	s_xor_b32 s1, exec_lo, s0
	s_cbranch_execz .LBB31_37
; %bb.36:                               ;   in Loop: Header=BB31_3 Depth=1
	s_ashr_i32 s64, s47, 31
	v_add_co_u32 v20, vcc_lo, v30, v21
	s_add_u32 s66, s46, s64
	s_mov_b32 s65, s64
	s_addc_u32 s67, s47, s64
	v_add_co_ci_u32_e64 v22, null, v31, v21, vcc_lo
	s_xor_b64 s[66:67], s[66:67], s[64:65]
	v_cvt_f32_u32_e32 v2, s66
	v_cvt_f32_u32_e32 v19, s67
	s_sub_u32 s84, 0, s66
	s_subb_u32 s85, 0, s67
	v_xor_b32_e32 v24, v22, v21
	v_fmac_f32_e32 v2, 0x4f800000, v19
	v_rcp_f32_e32 v2, v2
	v_mul_f32_e32 v2, 0x5f7ffffc, v2
	v_mul_f32_e32 v19, 0x2f800000, v2
	v_trunc_f32_e32 v19, v19
	v_fmac_f32_e32 v2, 0xcf800000, v19
	v_cvt_u32_f32_e32 v19, v19
	v_cvt_u32_f32_e32 v2, v2
	v_readfirstlane_b32 s0, v19
	v_readfirstlane_b32 s65, v2
	s_mul_i32 s86, s84, s0
	v_xor_b32_e32 v2, v20, v21
	s_mul_hi_u32 s88, s84, s65
	s_mul_i32 s87, s85, s65
	s_add_i32 s86, s88, s86
	s_mul_i32 s89, s84, s65
	s_add_i32 s86, s86, s87
	s_mul_hi_u32 s88, s65, s89
	s_mul_i32 s91, s65, s86
	s_mul_hi_u32 s90, s0, s89
	s_mul_i32 s87, s0, s89
	s_mul_hi_u32 s89, s65, s86
	s_add_u32 s88, s88, s91
	s_addc_u32 s89, 0, s89
	s_mul_hi_u32 s92, s0, s86
	s_add_u32 s87, s88, s87
	s_mul_i32 s86, s0, s86
	s_addc_u32 s87, s89, s90
	s_addc_u32 s88, s92, 0
	s_add_u32 s86, s87, s86
	s_addc_u32 s87, 0, s88
	s_add_u32 s65, s65, s86
	s_cselect_b32 s86, -1, 0
	s_mul_hi_u32 s88, s84, s65
	s_cmp_lg_u32 s86, 0
	s_mul_i32 s86, s84, s65
	s_addc_u32 s0, s0, s87
	s_mul_i32 s85, s85, s65
	s_mul_i32 s84, s84, s0
	s_mul_hi_u32 s87, s65, s86
	s_add_i32 s84, s88, s84
	s_mul_hi_u32 s88, s0, s86
	s_add_i32 s84, s84, s85
	s_mul_i32 s85, s0, s86
	s_mul_i32 s90, s65, s84
	s_mul_hi_u32 s89, s65, s84
	s_add_u32 s87, s87, s90
	s_addc_u32 s89, 0, s89
	s_mul_hi_u32 s86, s0, s84
	s_add_u32 s85, s87, s85
	s_mul_i32 s84, s0, s84
	s_addc_u32 s85, s89, s88
	s_addc_u32 s86, s86, 0
	s_add_u32 s84, s85, s84
	s_addc_u32 s85, 0, s86
	s_add_u32 s65, s65, s84
	s_cselect_b32 s84, -1, 0
	v_mul_hi_u32 v32, v2, s65
	s_cmp_lg_u32 s84, 0
	v_mad_u64_u32 v[22:23], null, v24, s65, 0
	s_addc_u32 s0, s0, s85
	v_mad_u64_u32 v[19:20], null, v2, s0, 0
	v_mad_u64_u32 v[30:31], null, v24, s0, 0
	v_add_co_u32 v19, vcc_lo, v32, v19
	v_add_co_ci_u32_e64 v20, null, 0, v20, vcc_lo
	v_add_co_u32 v19, vcc_lo, v19, v22
	v_add_co_ci_u32_e32 v19, vcc_lo, v20, v23, vcc_lo
	v_add_co_ci_u32_e32 v20, vcc_lo, 0, v31, vcc_lo
	v_add_co_u32 v22, vcc_lo, v19, v30
	v_add_co_ci_u32_e64 v23, null, 0, v20, vcc_lo
	v_mul_lo_u32 v30, s67, v22
	v_mad_u64_u32 v[19:20], null, s66, v22, 0
	v_mul_lo_u32 v31, s66, v23
	v_sub_co_u32 v2, vcc_lo, v2, v19
	v_add3_u32 v20, v20, v31, v30
	v_sub_nc_u32_e32 v30, v24, v20
	v_sub_co_ci_u32_e64 v20, null, v24, v20, vcc_lo
	v_subrev_co_ci_u32_e64 v19, null, s67, v30, vcc_lo
	v_add_co_u32 v30, s0, v22, 2
	v_add_co_ci_u32_e64 v31, null, 0, v23, s0
	v_sub_co_u32 v32, s0, v2, s66
	v_subrev_co_ci_u32_e64 v19, null, 0, v19, s0
	v_cmp_le_u32_e32 vcc_lo, s66, v32
	v_cndmask_b32_e64 v24, 0, -1, vcc_lo
	v_cmp_le_u32_e32 vcc_lo, s67, v19
	v_cndmask_b32_e64 v32, 0, -1, vcc_lo
	;; [unrolled: 2-line block ×4, first 2 shown]
	v_cmp_eq_u32_e32 vcc_lo, s67, v19
	v_cndmask_b32_e32 v19, v32, v24, vcc_lo
	v_add_co_u32 v24, vcc_lo, v22, 1
	v_add_co_ci_u32_e64 v32, null, 0, v23, vcc_lo
	v_cmp_eq_u32_e32 vcc_lo, s67, v20
	v_xor_b32_e32 v20, s64, v21
	v_cndmask_b32_e32 v2, v33, v2, vcc_lo
	v_cmp_ne_u32_e32 vcc_lo, 0, v19
	v_cmp_ne_u32_e64 s0, 0, v2
	v_cndmask_b32_e32 v2, v24, v30, vcc_lo
	v_cndmask_b32_e32 v19, v32, v31, vcc_lo
                                        ; implicit-def: $vgpr32
                                        ; implicit-def: $vgpr30
	v_cndmask_b32_e64 v2, v22, v2, s0
	v_cndmask_b32_e64 v19, v23, v19, s0
	v_xor_b32_e32 v2, v2, v20
	v_xor_b32_e32 v21, v19, v20
	v_sub_co_u32 v19, vcc_lo, v2, v20
	v_sub_co_ci_u32_e64 v20, null, v21, v20, vcc_lo
.LBB31_37:                              ;   in Loop: Header=BB31_3 Depth=1
	s_andn2_saveexec_b32 s0, s1
	s_cbranch_execz .LBB31_39
; %bb.38:                               ;   in Loop: Header=BB31_3 Depth=1
	v_rcp_iflag_f32_e32 v2, v32
	s_sub_i32 s1, 0, s46
	v_mul_f32_e32 v2, 0x4f7ffffe, v2
	v_cvt_u32_f32_e32 v2, v2
	v_mul_lo_u32 v19, s1, v2
	v_mul_hi_u32 v19, v2, v19
	v_add_nc_u32_e32 v2, v2, v19
	v_mul_hi_u32 v2, v30, v2
	v_mul_lo_u32 v19, v2, s46
	v_add_nc_u32_e32 v20, 1, v2
	v_sub_nc_u32_e32 v19, v30, v19
	v_subrev_nc_u32_e32 v21, s46, v19
	v_cmp_le_u32_e32 vcc_lo, s46, v19
	v_cndmask_b32_e32 v19, v19, v21, vcc_lo
	v_cndmask_b32_e32 v2, v2, v20, vcc_lo
	v_cmp_le_u32_e32 vcc_lo, s46, v19
	v_add_nc_u32_e32 v20, 1, v2
	v_cndmask_b32_e32 v19, v2, v20, vcc_lo
	v_mov_b32_e32 v20, v1
.LBB31_39:                              ;   in Loop: Header=BB31_3 Depth=1
	s_or_b32 exec_lo, exec_lo, s0
	v_or_b32_e32 v2, s51, v4
                                        ; implicit-def: $vgpr21_vgpr22
	s_mov_b32 s0, exec_lo
	v_cmpx_ne_u64_e32 0, v[1:2]
	s_xor_b32 s1, exec_lo, s0
	s_cbranch_execz .LBB31_41
; %bb.40:                               ;   in Loop: Header=BB31_3 Depth=1
	s_ashr_i32 s64, s51, 31
	v_ashrrev_i32_e32 v32, 31, v4
	s_add_u32 s66, s50, s64
	s_mov_b32 s65, s64
	s_addc_u32 s67, s51, s64
	s_xor_b64 s[66:67], s[66:67], s[64:65]
	v_add_co_u32 v22, vcc_lo, v3, v32
	v_cvt_f32_u32_e32 v2, s66
	v_cvt_f32_u32_e32 v21, s67
	s_sub_u32 s84, 0, s66
	s_subb_u32 s85, 0, s67
	v_add_co_ci_u32_e64 v23, null, v4, v32, vcc_lo
	v_fmac_f32_e32 v2, 0x4f800000, v21
	v_xor_b32_e32 v33, v23, v32
	v_rcp_f32_e32 v2, v2
	v_mul_f32_e32 v2, 0x5f7ffffc, v2
	v_mul_f32_e32 v21, 0x2f800000, v2
	v_trunc_f32_e32 v21, v21
	v_fmac_f32_e32 v2, 0xcf800000, v21
	v_cvt_u32_f32_e32 v21, v21
	v_cvt_u32_f32_e32 v2, v2
	v_readfirstlane_b32 s0, v21
	v_readfirstlane_b32 s65, v2
	s_mul_i32 s86, s84, s0
	v_xor_b32_e32 v2, v22, v32
	s_mul_hi_u32 s88, s84, s65
	s_mul_i32 s87, s85, s65
	s_add_i32 s86, s88, s86
	s_mul_i32 s89, s84, s65
	s_add_i32 s86, s86, s87
	s_mul_hi_u32 s88, s65, s89
	s_mul_i32 s91, s65, s86
	s_mul_hi_u32 s90, s0, s89
	s_mul_i32 s87, s0, s89
	s_mul_hi_u32 s89, s65, s86
	s_add_u32 s88, s88, s91
	s_addc_u32 s89, 0, s89
	s_mul_hi_u32 s92, s0, s86
	s_add_u32 s87, s88, s87
	s_mul_i32 s86, s0, s86
	s_addc_u32 s87, s89, s90
	s_addc_u32 s88, s92, 0
	s_add_u32 s86, s87, s86
	s_addc_u32 s87, 0, s88
	s_add_u32 s65, s65, s86
	s_cselect_b32 s86, -1, 0
	s_mul_hi_u32 s88, s84, s65
	s_cmp_lg_u32 s86, 0
	s_mul_i32 s86, s84, s65
	s_addc_u32 s0, s0, s87
	s_mul_i32 s85, s85, s65
	s_mul_i32 s84, s84, s0
	s_mul_hi_u32 s87, s65, s86
	s_add_i32 s84, s88, s84
	s_mul_hi_u32 s88, s0, s86
	s_add_i32 s84, s84, s85
	s_mul_i32 s85, s0, s86
	s_mul_i32 s90, s65, s84
	s_mul_hi_u32 s89, s65, s84
	s_add_u32 s87, s87, s90
	s_addc_u32 s89, 0, s89
	s_mul_hi_u32 s86, s0, s84
	s_add_u32 s85, s87, s85
	s_mul_i32 s84, s0, s84
	s_addc_u32 s85, s89, s88
	s_addc_u32 s86, s86, 0
	s_add_u32 s84, s85, s84
	s_addc_u32 s85, 0, s86
	s_add_u32 s65, s65, s84
	s_cselect_b32 s84, -1, 0
	v_mul_hi_u32 v34, v2, s65
	s_cmp_lg_u32 s84, 0
	v_mad_u64_u32 v[23:24], null, v33, s65, 0
	s_addc_u32 s0, s0, s85
	v_mad_u64_u32 v[21:22], null, v2, s0, 0
	v_mad_u64_u32 v[30:31], null, v33, s0, 0
	v_add_co_u32 v21, vcc_lo, v34, v21
	v_add_co_ci_u32_e64 v22, null, 0, v22, vcc_lo
	v_add_co_u32 v21, vcc_lo, v21, v23
	v_add_co_ci_u32_e32 v21, vcc_lo, v22, v24, vcc_lo
	v_add_co_ci_u32_e32 v22, vcc_lo, 0, v31, vcc_lo
	v_add_co_u32 v23, vcc_lo, v21, v30
	v_add_co_ci_u32_e64 v24, null, 0, v22, vcc_lo
	v_mul_lo_u32 v30, s67, v23
	v_mad_u64_u32 v[21:22], null, s66, v23, 0
	v_mul_lo_u32 v31, s66, v24
	v_sub_co_u32 v2, vcc_lo, v2, v21
	v_add3_u32 v22, v22, v31, v30
	v_sub_nc_u32_e32 v30, v33, v22
	v_sub_co_ci_u32_e64 v22, null, v33, v22, vcc_lo
	v_subrev_co_ci_u32_e64 v21, null, s67, v30, vcc_lo
	v_add_co_u32 v30, s0, v23, 2
	v_add_co_ci_u32_e64 v31, null, 0, v24, s0
	v_sub_co_u32 v34, s0, v2, s66
	v_subrev_co_ci_u32_e64 v21, null, 0, v21, s0
	v_cmp_le_u32_e32 vcc_lo, s66, v34
	v_cndmask_b32_e64 v33, 0, -1, vcc_lo
	v_cmp_le_u32_e32 vcc_lo, s67, v21
	v_cndmask_b32_e64 v34, 0, -1, vcc_lo
	;; [unrolled: 2-line block ×4, first 2 shown]
	v_cmp_eq_u32_e32 vcc_lo, s67, v21
	v_cndmask_b32_e32 v21, v34, v33, vcc_lo
	v_add_co_u32 v33, vcc_lo, v23, 1
	v_add_co_ci_u32_e64 v34, null, 0, v24, vcc_lo
	v_cmp_eq_u32_e32 vcc_lo, s67, v22
	v_xor_b32_e32 v22, s64, v32
	v_cndmask_b32_e32 v2, v35, v2, vcc_lo
	v_cmp_ne_u32_e32 vcc_lo, 0, v21
	v_cmp_ne_u32_e64 s0, 0, v2
	v_cndmask_b32_e32 v2, v33, v30, vcc_lo
	v_cndmask_b32_e32 v21, v34, v31, vcc_lo
	v_cndmask_b32_e64 v2, v23, v2, s0
	v_cndmask_b32_e64 v21, v24, v21, s0
	v_xor_b32_e32 v2, v2, v22
	v_xor_b32_e32 v23, v21, v22
	v_sub_co_u32 v21, vcc_lo, v2, v22
	v_sub_co_ci_u32_e64 v22, null, v23, v22, vcc_lo
.LBB31_41:                              ;   in Loop: Header=BB31_3 Depth=1
	s_andn2_saveexec_b32 s0, s1
	s_cbranch_execz .LBB31_43
; %bb.42:                               ;   in Loop: Header=BB31_3 Depth=1
	v_cvt_f32_u32_e32 v2, s50
	s_sub_i32 s1, 0, s50
	v_rcp_iflag_f32_e32 v2, v2
	v_mul_f32_e32 v2, 0x4f7ffffe, v2
	v_cvt_u32_f32_e32 v2, v2
	v_mul_lo_u32 v21, s1, v2
	v_mul_hi_u32 v21, v2, v21
	v_add_nc_u32_e32 v2, v2, v21
	v_mul_hi_u32 v2, v3, v2
	v_mul_lo_u32 v21, v2, s50
	v_add_nc_u32_e32 v22, 1, v2
	v_sub_nc_u32_e32 v21, v3, v21
	v_subrev_nc_u32_e32 v23, s50, v21
	v_cmp_le_u32_e32 vcc_lo, s50, v21
	v_cndmask_b32_e32 v21, v21, v23, vcc_lo
	v_cndmask_b32_e32 v2, v2, v22, vcc_lo
	v_cmp_le_u32_e32 vcc_lo, s50, v21
	v_add_nc_u32_e32 v22, 1, v2
	v_cndmask_b32_e32 v21, v2, v22, vcc_lo
	v_mov_b32_e32 v22, v1
.LBB31_43:                              ;   in Loop: Header=BB31_3 Depth=1
	s_or_b32 exec_lo, exec_lo, s0
	v_mad_u64_u32 v[23:24], null, s73, v21, v[3:4]
	v_mul_lo_u32 v2, s73, v22
	v_mul_lo_u32 v30, s74, v21
	;; [unrolled: 1-line block ×4, first 2 shown]
	v_mad_u64_u32 v[21:22], null, v21, s24, 0
	s_mov_b32 s0, exec_lo
	v_add3_u32 v2, v30, v24, v2
	v_mul_lo_u32 v30, v23, s27
	v_mad_u64_u32 v[23:24], null, v23, s26, 0
	v_add3_u32 v22, v22, v32, v31
	v_mul_lo_u32 v2, v2, s26
	v_lshlrev_b64 v[21:22], 1, v[21:22]
	v_add3_u32 v24, v24, v30, v2
	v_add_co_u32 v2, vcc_lo, s48, v21
	v_add_co_ci_u32_e64 v22, null, s49, v22, vcc_lo
	v_lshlrev_b64 v[23:24], 1, v[23:24]
	v_add_co_u32 v21, vcc_lo, v2, v23
	v_add_co_ci_u32_e64 v22, null, v22, v24, vcc_lo
	v_or_b32_e32 v2, s55, v4
	global_load_ushort v30, v[21:22], off
                                        ; implicit-def: $vgpr21_vgpr22
	v_cmpx_ne_u64_e32 0, v[1:2]
	s_xor_b32 s1, exec_lo, s0
	s_cbranch_execz .LBB31_45
; %bb.44:                               ;   in Loop: Header=BB31_3 Depth=1
	s_ashr_i32 s64, s55, 31
	v_ashrrev_i32_e32 v33, 31, v4
	s_add_u32 s66, s54, s64
	s_mov_b32 s65, s64
	s_addc_u32 s67, s55, s64
	s_xor_b64 s[66:67], s[66:67], s[64:65]
	v_add_co_u32 v22, vcc_lo, v3, v33
	v_cvt_f32_u32_e32 v2, s66
	v_cvt_f32_u32_e32 v21, s67
	s_sub_u32 s84, 0, s66
	s_subb_u32 s85, 0, s67
	v_add_co_ci_u32_e64 v23, null, v4, v33, vcc_lo
	v_fmac_f32_e32 v2, 0x4f800000, v21
	v_xor_b32_e32 v34, v23, v33
	v_rcp_f32_e32 v2, v2
	v_mul_f32_e32 v2, 0x5f7ffffc, v2
	v_mul_f32_e32 v21, 0x2f800000, v2
	v_trunc_f32_e32 v21, v21
	v_fmac_f32_e32 v2, 0xcf800000, v21
	v_cvt_u32_f32_e32 v21, v21
	v_cvt_u32_f32_e32 v2, v2
	v_readfirstlane_b32 s0, v21
	v_readfirstlane_b32 s65, v2
	s_mul_i32 s86, s84, s0
	v_xor_b32_e32 v2, v22, v33
	s_mul_hi_u32 s88, s84, s65
	s_mul_i32 s87, s85, s65
	s_add_i32 s86, s88, s86
	s_mul_i32 s89, s84, s65
	s_add_i32 s86, s86, s87
	s_mul_hi_u32 s88, s65, s89
	s_mul_i32 s91, s65, s86
	s_mul_hi_u32 s90, s0, s89
	s_mul_i32 s87, s0, s89
	s_mul_hi_u32 s89, s65, s86
	s_add_u32 s88, s88, s91
	s_addc_u32 s89, 0, s89
	s_mul_hi_u32 s92, s0, s86
	s_add_u32 s87, s88, s87
	s_mul_i32 s86, s0, s86
	s_addc_u32 s87, s89, s90
	s_addc_u32 s88, s92, 0
	s_add_u32 s86, s87, s86
	s_addc_u32 s87, 0, s88
	s_add_u32 s65, s65, s86
	s_cselect_b32 s86, -1, 0
	s_mul_hi_u32 s88, s84, s65
	s_cmp_lg_u32 s86, 0
	s_mul_i32 s86, s84, s65
	s_addc_u32 s0, s0, s87
	s_mul_i32 s85, s85, s65
	s_mul_i32 s84, s84, s0
	s_mul_hi_u32 s87, s65, s86
	s_add_i32 s84, s88, s84
	s_mul_hi_u32 s88, s0, s86
	s_add_i32 s84, s84, s85
	s_mul_i32 s85, s0, s86
	s_mul_i32 s90, s65, s84
	s_mul_hi_u32 s89, s65, s84
	s_add_u32 s87, s87, s90
	s_addc_u32 s89, 0, s89
	s_mul_hi_u32 s86, s0, s84
	s_add_u32 s85, s87, s85
	s_mul_i32 s84, s0, s84
	s_addc_u32 s85, s89, s88
	s_addc_u32 s86, s86, 0
	s_add_u32 s84, s85, s84
	s_addc_u32 s85, 0, s86
	s_add_u32 s65, s65, s84
	s_cselect_b32 s84, -1, 0
	v_mul_hi_u32 v35, v2, s65
	s_cmp_lg_u32 s84, 0
	v_mad_u64_u32 v[23:24], null, v34, s65, 0
	s_addc_u32 s0, s0, s85
	v_mad_u64_u32 v[21:22], null, v2, s0, 0
	v_mad_u64_u32 v[31:32], null, v34, s0, 0
	v_add_co_u32 v21, vcc_lo, v35, v21
	v_add_co_ci_u32_e64 v22, null, 0, v22, vcc_lo
	v_add_co_u32 v21, vcc_lo, v21, v23
	v_add_co_ci_u32_e32 v21, vcc_lo, v22, v24, vcc_lo
	v_add_co_ci_u32_e32 v22, vcc_lo, 0, v32, vcc_lo
	v_add_co_u32 v23, vcc_lo, v21, v31
	v_add_co_ci_u32_e64 v24, null, 0, v22, vcc_lo
	v_mul_lo_u32 v31, s67, v23
	v_mad_u64_u32 v[21:22], null, s66, v23, 0
	v_mul_lo_u32 v32, s66, v24
	v_sub_co_u32 v2, vcc_lo, v2, v21
	v_add3_u32 v22, v22, v32, v31
	v_sub_nc_u32_e32 v31, v34, v22
	v_sub_co_ci_u32_e64 v22, null, v34, v22, vcc_lo
	v_subrev_co_ci_u32_e64 v21, null, s67, v31, vcc_lo
	v_add_co_u32 v31, s0, v23, 2
	v_add_co_ci_u32_e64 v32, null, 0, v24, s0
	v_sub_co_u32 v35, s0, v2, s66
	v_subrev_co_ci_u32_e64 v21, null, 0, v21, s0
	v_cmp_le_u32_e32 vcc_lo, s66, v35
	v_cndmask_b32_e64 v34, 0, -1, vcc_lo
	v_cmp_le_u32_e32 vcc_lo, s67, v21
	v_cndmask_b32_e64 v35, 0, -1, vcc_lo
	;; [unrolled: 2-line block ×4, first 2 shown]
	v_cmp_eq_u32_e32 vcc_lo, s67, v21
	v_cndmask_b32_e32 v21, v35, v34, vcc_lo
	v_add_co_u32 v34, vcc_lo, v23, 1
	v_add_co_ci_u32_e64 v35, null, 0, v24, vcc_lo
	v_cmp_eq_u32_e32 vcc_lo, s67, v22
	v_xor_b32_e32 v22, s64, v33
	v_cndmask_b32_e32 v2, v36, v2, vcc_lo
	v_cmp_ne_u32_e32 vcc_lo, 0, v21
	v_cmp_ne_u32_e64 s0, 0, v2
	v_cndmask_b32_e32 v2, v34, v31, vcc_lo
	v_cndmask_b32_e32 v21, v35, v32, vcc_lo
	v_cndmask_b32_e64 v2, v23, v2, s0
	v_cndmask_b32_e64 v21, v24, v21, s0
	v_xor_b32_e32 v2, v2, v22
	v_xor_b32_e32 v23, v21, v22
	v_sub_co_u32 v21, vcc_lo, v2, v22
	v_sub_co_ci_u32_e64 v22, null, v23, v22, vcc_lo
.LBB31_45:                              ;   in Loop: Header=BB31_3 Depth=1
	s_andn2_saveexec_b32 s0, s1
	s_cbranch_execz .LBB31_47
; %bb.46:                               ;   in Loop: Header=BB31_3 Depth=1
	v_cvt_f32_u32_e32 v2, s54
	s_sub_i32 s1, 0, s54
	v_rcp_iflag_f32_e32 v2, v2
	v_mul_f32_e32 v2, 0x4f7ffffe, v2
	v_cvt_u32_f32_e32 v2, v2
	v_mul_lo_u32 v21, s1, v2
	v_mul_hi_u32 v21, v2, v21
	v_add_nc_u32_e32 v2, v2, v21
	v_mul_hi_u32 v2, v3, v2
	v_mul_lo_u32 v21, v2, s54
	v_add_nc_u32_e32 v22, 1, v2
	v_sub_nc_u32_e32 v21, v3, v21
	v_subrev_nc_u32_e32 v23, s54, v21
	v_cmp_le_u32_e32 vcc_lo, s54, v21
	v_cndmask_b32_e32 v21, v21, v23, vcc_lo
	v_cndmask_b32_e32 v2, v2, v22, vcc_lo
	v_cmp_le_u32_e32 vcc_lo, s54, v21
	v_add_nc_u32_e32 v22, 1, v2
	v_cndmask_b32_e32 v21, v2, v22, vcc_lo
	v_mov_b32_e32 v22, v1
.LBB31_47:                              ;   in Loop: Header=BB31_3 Depth=1
	s_or_b32 exec_lo, exec_lo, s0
	v_mad_u64_u32 v[23:24], null, s75, v21, v[3:4]
	v_mul_lo_u32 v2, s75, v22
	v_mul_lo_u32 v31, s76, v21
	;; [unrolled: 1-line block ×4, first 2 shown]
	v_mad_u64_u32 v[21:22], null, v21, s28, 0
	s_mov_b32 s0, exec_lo
	v_add3_u32 v2, v31, v24, v2
	v_mul_lo_u32 v31, v23, s31
	v_mad_u64_u32 v[23:24], null, v23, s30, 0
	v_add3_u32 v22, v22, v33, v32
	v_mul_lo_u32 v2, v2, s30
	v_lshlrev_b64 v[21:22], 1, v[21:22]
	v_add3_u32 v24, v24, v31, v2
	v_add_co_u32 v2, vcc_lo, s52, v21
	v_add_co_ci_u32_e64 v22, null, s53, v22, vcc_lo
	v_lshlrev_b64 v[23:24], 1, v[23:24]
	v_add_co_u32 v21, vcc_lo, v2, v23
	v_add_co_ci_u32_e64 v22, null, v22, v24, vcc_lo
	v_or_b32_e32 v2, s61, v4
	global_load_ushort v31, v[21:22], off
                                        ; implicit-def: $vgpr21_vgpr22
	v_cmpx_ne_u64_e32 0, v[1:2]
	s_xor_b32 s1, exec_lo, s0
	s_cbranch_execnz .LBB31_60
; %bb.48:                               ;   in Loop: Header=BB31_3 Depth=1
	s_andn2_saveexec_b32 s0, s1
	s_cbranch_execnz .LBB31_61
.LBB31_49:                              ;   in Loop: Header=BB31_3 Depth=1
	s_or_b32 exec_lo, exec_lo, s0
	s_andn2_b32 vcc_lo, exec_lo, s33
	s_cbranch_vccnz .LBB31_62
.LBB31_50:                              ;   in Loop: Header=BB31_3 Depth=1
	v_or_b32_e32 v2, s57, v4
                                        ; implicit-def: $vgpr23_vgpr24
	s_mov_b32 s0, exec_lo
	v_cmpx_ne_u64_e32 0, v[1:2]
	s_xor_b32 s1, exec_lo, s0
	s_cbranch_execz .LBB31_52
; %bb.51:                               ;   in Loop: Header=BB31_3 Depth=1
	s_ashr_i32 s64, s57, 31
	v_ashrrev_i32_e32 v36, 31, v4
	s_add_u32 s66, s56, s64
	s_mov_b32 s65, s64
	s_addc_u32 s67, s57, s64
	s_xor_b64 s[66:67], s[66:67], s[64:65]
	v_add_co_u32 v24, vcc_lo, v3, v36
	v_cvt_f32_u32_e32 v2, s66
	v_cvt_f32_u32_e32 v23, s67
	s_sub_u32 s84, 0, s66
	s_subb_u32 s85, 0, s67
	v_add_co_ci_u32_e64 v32, null, v4, v36, vcc_lo
	v_fmac_f32_e32 v2, 0x4f800000, v23
	v_xor_b32_e32 v37, v32, v36
	v_rcp_f32_e32 v2, v2
	v_mul_f32_e32 v2, 0x5f7ffffc, v2
	v_mul_f32_e32 v23, 0x2f800000, v2
	v_trunc_f32_e32 v23, v23
	v_fmac_f32_e32 v2, 0xcf800000, v23
	v_cvt_u32_f32_e32 v23, v23
	v_cvt_u32_f32_e32 v2, v2
	v_readfirstlane_b32 s0, v23
	v_readfirstlane_b32 s65, v2
	s_mul_i32 s86, s84, s0
	v_xor_b32_e32 v2, v24, v36
	s_mul_hi_u32 s88, s84, s65
	s_mul_i32 s87, s85, s65
	s_add_i32 s86, s88, s86
	s_mul_i32 s89, s84, s65
	s_add_i32 s86, s86, s87
	s_mul_hi_u32 s88, s65, s89
	s_mul_i32 s91, s65, s86
	s_mul_hi_u32 s90, s0, s89
	s_mul_i32 s87, s0, s89
	s_mul_hi_u32 s89, s65, s86
	s_add_u32 s88, s88, s91
	s_addc_u32 s89, 0, s89
	s_mul_hi_u32 s92, s0, s86
	s_add_u32 s87, s88, s87
	s_mul_i32 s86, s0, s86
	s_addc_u32 s87, s89, s90
	s_addc_u32 s88, s92, 0
	s_add_u32 s86, s87, s86
	s_addc_u32 s87, 0, s88
	s_add_u32 s65, s65, s86
	s_cselect_b32 s86, -1, 0
	s_mul_hi_u32 s88, s84, s65
	s_cmp_lg_u32 s86, 0
	s_mul_i32 s86, s84, s65
	s_addc_u32 s0, s0, s87
	s_mul_i32 s85, s85, s65
	s_mul_i32 s84, s84, s0
	s_mul_hi_u32 s87, s65, s86
	s_add_i32 s84, s88, s84
	s_mul_hi_u32 s88, s0, s86
	s_add_i32 s84, s84, s85
	s_mul_i32 s85, s0, s86
	s_mul_i32 s90, s65, s84
	s_mul_hi_u32 s89, s65, s84
	s_add_u32 s87, s87, s90
	s_addc_u32 s89, 0, s89
	s_mul_hi_u32 s86, s0, s84
	s_add_u32 s85, s87, s85
	s_mul_i32 s84, s0, s84
	s_addc_u32 s85, s89, s88
	s_addc_u32 s86, s86, 0
	s_add_u32 s84, s85, s84
	s_addc_u32 s85, 0, s86
	s_add_u32 s65, s65, s84
	s_cselect_b32 s84, -1, 0
	v_mul_hi_u32 v38, v2, s65
	s_cmp_lg_u32 s84, 0
	v_mad_u64_u32 v[32:33], null, v37, s65, 0
	s_addc_u32 s0, s0, s85
	v_mad_u64_u32 v[23:24], null, v2, s0, 0
	v_mad_u64_u32 v[34:35], null, v37, s0, 0
	v_add_co_u32 v23, vcc_lo, v38, v23
	v_add_co_ci_u32_e64 v24, null, 0, v24, vcc_lo
	v_add_co_u32 v23, vcc_lo, v23, v32
	v_add_co_ci_u32_e32 v23, vcc_lo, v24, v33, vcc_lo
	v_add_co_ci_u32_e32 v24, vcc_lo, 0, v35, vcc_lo
	v_add_co_u32 v32, vcc_lo, v23, v34
	v_add_co_ci_u32_e64 v33, null, 0, v24, vcc_lo
	v_mul_lo_u32 v34, s67, v32
	v_mad_u64_u32 v[23:24], null, s66, v32, 0
	v_mul_lo_u32 v35, s66, v33
	v_sub_co_u32 v2, vcc_lo, v2, v23
	v_add3_u32 v24, v24, v35, v34
	v_sub_nc_u32_e32 v34, v37, v24
	v_sub_co_ci_u32_e64 v24, null, v37, v24, vcc_lo
	v_subrev_co_ci_u32_e64 v23, null, s67, v34, vcc_lo
	v_add_co_u32 v34, s0, v32, 2
	v_add_co_ci_u32_e64 v35, null, 0, v33, s0
	v_sub_co_u32 v38, s0, v2, s66
	v_subrev_co_ci_u32_e64 v23, null, 0, v23, s0
	v_cmp_le_u32_e32 vcc_lo, s66, v38
	v_cndmask_b32_e64 v37, 0, -1, vcc_lo
	v_cmp_le_u32_e32 vcc_lo, s67, v23
	v_cndmask_b32_e64 v38, 0, -1, vcc_lo
	;; [unrolled: 2-line block ×4, first 2 shown]
	v_cmp_eq_u32_e32 vcc_lo, s67, v23
	v_cndmask_b32_e32 v23, v38, v37, vcc_lo
	v_add_co_u32 v37, vcc_lo, v32, 1
	v_add_co_ci_u32_e64 v38, null, 0, v33, vcc_lo
	v_cmp_eq_u32_e32 vcc_lo, s67, v24
	v_xor_b32_e32 v24, s64, v36
	v_cndmask_b32_e32 v2, v39, v2, vcc_lo
	v_cmp_ne_u32_e32 vcc_lo, 0, v23
	v_cmp_ne_u32_e64 s0, 0, v2
	v_cndmask_b32_e32 v2, v37, v34, vcc_lo
	v_cndmask_b32_e32 v23, v38, v35, vcc_lo
	v_cndmask_b32_e64 v2, v32, v2, s0
	v_cndmask_b32_e64 v23, v33, v23, s0
	v_xor_b32_e32 v2, v2, v24
	v_xor_b32_e32 v32, v23, v24
	v_sub_co_u32 v23, vcc_lo, v2, v24
	v_sub_co_ci_u32_e64 v24, null, v32, v24, vcc_lo
.LBB31_52:                              ;   in Loop: Header=BB31_3 Depth=1
	s_andn2_saveexec_b32 s0, s1
	s_cbranch_execz .LBB31_54
; %bb.53:                               ;   in Loop: Header=BB31_3 Depth=1
	v_cvt_f32_u32_e32 v2, s56
	s_sub_i32 s1, 0, s56
	v_rcp_iflag_f32_e32 v2, v2
	v_mul_f32_e32 v2, 0x4f7ffffe, v2
	v_cvt_u32_f32_e32 v2, v2
	v_mul_lo_u32 v23, s1, v2
	v_mul_hi_u32 v23, v2, v23
	v_add_nc_u32_e32 v2, v2, v23
	v_mul_hi_u32 v2, v3, v2
	v_mul_lo_u32 v23, v2, s56
	v_add_nc_u32_e32 v24, 1, v2
	v_sub_nc_u32_e32 v23, v3, v23
	v_subrev_nc_u32_e32 v32, s56, v23
	v_cmp_le_u32_e32 vcc_lo, s56, v23
	v_cndmask_b32_e32 v23, v23, v32, vcc_lo
	v_cndmask_b32_e32 v2, v2, v24, vcc_lo
	v_cmp_le_u32_e32 vcc_lo, s56, v23
	v_add_nc_u32_e32 v24, 1, v2
	v_cndmask_b32_e32 v23, v2, v24, vcc_lo
	v_mov_b32_e32 v24, v1
.LBB31_54:                              ;   in Loop: Header=BB31_3 Depth=1
	s_or_b32 exec_lo, exec_lo, s0
	v_mad_u64_u32 v[32:33], null, s79, v23, v[3:4]
	v_mul_lo_u32 v2, s79, v24
	v_mul_lo_u32 v34, s80, v23
	;; [unrolled: 1-line block ×4, first 2 shown]
	v_mad_u64_u32 v[23:24], null, v23, s12, 0
	v_add3_u32 v2, v34, v33, v2
	v_mul_lo_u32 v34, v32, s15
	v_mad_u64_u32 v[32:33], null, v32, s14, 0
	v_add3_u32 v24, v24, v36, v35
	v_mul_lo_u32 v2, v2, s14
	v_lshlrev_b64 v[23:24], 1, v[23:24]
	v_add3_u32 v33, v33, v34, v2
	v_add_co_u32 v2, vcc_lo, s2, v23
	v_add_co_ci_u32_e64 v24, null, s3, v24, vcc_lo
	v_lshlrev_b64 v[32:33], 1, v[32:33]
	v_add_co_u32 v23, vcc_lo, v2, v32
	v_add_co_ci_u32_e64 v24, null, v24, v33, vcc_lo
	global_load_ushort v2, v[23:24], off
	s_waitcnt vmcnt(0)
	v_lshlrev_b32_e32 v32, 16, v2
	s_andn2_b32 vcc_lo, exec_lo, s68
	s_cbranch_vccnz .LBB31_63
.LBB31_55:                              ;   in Loop: Header=BB31_3 Depth=1
	v_or_b32_e32 v2, s63, v4
                                        ; implicit-def: $vgpr23_vgpr24
	s_mov_b32 s0, exec_lo
	v_cmpx_ne_u64_e32 0, v[1:2]
	s_xor_b32 s1, exec_lo, s0
	s_cbranch_execz .LBB31_57
; %bb.56:                               ;   in Loop: Header=BB31_3 Depth=1
	s_ashr_i32 s64, s63, 31
	v_ashrrev_i32_e32 v37, 31, v4
	s_add_u32 s66, s62, s64
	s_mov_b32 s65, s64
	s_addc_u32 s67, s63, s64
	s_xor_b64 s[66:67], s[66:67], s[64:65]
	v_add_co_u32 v24, vcc_lo, v3, v37
	v_cvt_f32_u32_e32 v2, s66
	v_cvt_f32_u32_e32 v23, s67
	s_sub_u32 s84, 0, s66
	s_subb_u32 s85, 0, s67
	v_add_co_ci_u32_e64 v33, null, v4, v37, vcc_lo
	v_fmac_f32_e32 v2, 0x4f800000, v23
	v_xor_b32_e32 v38, v33, v37
	v_rcp_f32_e32 v2, v2
	v_mul_f32_e32 v2, 0x5f7ffffc, v2
	v_mul_f32_e32 v23, 0x2f800000, v2
	v_trunc_f32_e32 v23, v23
	v_fmac_f32_e32 v2, 0xcf800000, v23
	v_cvt_u32_f32_e32 v23, v23
	v_cvt_u32_f32_e32 v2, v2
	v_readfirstlane_b32 s0, v23
	v_readfirstlane_b32 s65, v2
	s_mul_i32 s86, s84, s0
	v_xor_b32_e32 v2, v24, v37
	s_mul_hi_u32 s88, s84, s65
	s_mul_i32 s87, s85, s65
	s_add_i32 s86, s88, s86
	s_mul_i32 s89, s84, s65
	s_add_i32 s86, s86, s87
	s_mul_hi_u32 s88, s65, s89
	s_mul_i32 s91, s65, s86
	s_mul_hi_u32 s90, s0, s89
	s_mul_i32 s87, s0, s89
	s_mul_hi_u32 s89, s65, s86
	s_add_u32 s88, s88, s91
	s_addc_u32 s89, 0, s89
	s_mul_hi_u32 s92, s0, s86
	s_add_u32 s87, s88, s87
	s_mul_i32 s86, s0, s86
	s_addc_u32 s87, s89, s90
	s_addc_u32 s88, s92, 0
	s_add_u32 s86, s87, s86
	s_addc_u32 s87, 0, s88
	s_add_u32 s65, s65, s86
	s_cselect_b32 s86, -1, 0
	s_mul_hi_u32 s88, s84, s65
	s_cmp_lg_u32 s86, 0
	s_mul_i32 s86, s84, s65
	s_addc_u32 s0, s0, s87
	s_mul_i32 s85, s85, s65
	s_mul_i32 s84, s84, s0
	s_mul_hi_u32 s87, s65, s86
	s_add_i32 s84, s88, s84
	s_mul_hi_u32 s88, s0, s86
	s_add_i32 s84, s84, s85
	s_mul_i32 s85, s0, s86
	s_mul_i32 s90, s65, s84
	s_mul_hi_u32 s89, s65, s84
	s_add_u32 s87, s87, s90
	s_addc_u32 s89, 0, s89
	s_mul_hi_u32 s86, s0, s84
	s_add_u32 s85, s87, s85
	s_mul_i32 s84, s0, s84
	s_addc_u32 s85, s89, s88
	s_addc_u32 s86, s86, 0
	s_add_u32 s84, s85, s84
	s_addc_u32 s85, 0, s86
	s_add_u32 s65, s65, s84
	s_cselect_b32 s84, -1, 0
	v_mul_hi_u32 v39, v2, s65
	s_cmp_lg_u32 s84, 0
	v_mad_u64_u32 v[33:34], null, v38, s65, 0
	s_addc_u32 s0, s0, s85
	v_mad_u64_u32 v[23:24], null, v2, s0, 0
	v_mad_u64_u32 v[35:36], null, v38, s0, 0
	v_add_co_u32 v23, vcc_lo, v39, v23
	v_add_co_ci_u32_e64 v24, null, 0, v24, vcc_lo
	v_add_co_u32 v23, vcc_lo, v23, v33
	v_add_co_ci_u32_e32 v23, vcc_lo, v24, v34, vcc_lo
	v_add_co_ci_u32_e32 v24, vcc_lo, 0, v36, vcc_lo
	v_add_co_u32 v33, vcc_lo, v23, v35
	v_add_co_ci_u32_e64 v34, null, 0, v24, vcc_lo
	v_mul_lo_u32 v35, s67, v33
	v_mad_u64_u32 v[23:24], null, s66, v33, 0
	v_mul_lo_u32 v36, s66, v34
	v_sub_co_u32 v2, vcc_lo, v2, v23
	v_add3_u32 v24, v24, v36, v35
	v_sub_nc_u32_e32 v35, v38, v24
	v_sub_co_ci_u32_e64 v24, null, v38, v24, vcc_lo
	v_subrev_co_ci_u32_e64 v23, null, s67, v35, vcc_lo
	v_add_co_u32 v35, s0, v33, 2
	v_add_co_ci_u32_e64 v36, null, 0, v34, s0
	v_sub_co_u32 v39, s0, v2, s66
	v_subrev_co_ci_u32_e64 v23, null, 0, v23, s0
	v_cmp_le_u32_e32 vcc_lo, s66, v39
	v_cndmask_b32_e64 v38, 0, -1, vcc_lo
	v_cmp_le_u32_e32 vcc_lo, s67, v23
	v_cndmask_b32_e64 v39, 0, -1, vcc_lo
	;; [unrolled: 2-line block ×4, first 2 shown]
	v_cmp_eq_u32_e32 vcc_lo, s67, v23
	v_cndmask_b32_e32 v23, v39, v38, vcc_lo
	v_add_co_u32 v38, vcc_lo, v33, 1
	v_add_co_ci_u32_e64 v39, null, 0, v34, vcc_lo
	v_cmp_eq_u32_e32 vcc_lo, s67, v24
	v_xor_b32_e32 v24, s64, v37
	v_cndmask_b32_e32 v2, v40, v2, vcc_lo
	v_cmp_ne_u32_e32 vcc_lo, 0, v23
	v_cmp_ne_u32_e64 s0, 0, v2
	v_cndmask_b32_e32 v2, v38, v35, vcc_lo
	v_cndmask_b32_e32 v23, v39, v36, vcc_lo
	v_cndmask_b32_e64 v2, v33, v2, s0
	v_cndmask_b32_e64 v23, v34, v23, s0
	v_xor_b32_e32 v2, v2, v24
	v_xor_b32_e32 v33, v23, v24
	v_sub_co_u32 v23, vcc_lo, v2, v24
	v_sub_co_ci_u32_e64 v24, null, v33, v24, vcc_lo
.LBB31_57:                              ;   in Loop: Header=BB31_3 Depth=1
	s_andn2_saveexec_b32 s0, s1
	s_cbranch_execz .LBB31_59
; %bb.58:                               ;   in Loop: Header=BB31_3 Depth=1
	v_cvt_f32_u32_e32 v2, s62
	s_sub_i32 s1, 0, s62
	v_rcp_iflag_f32_e32 v2, v2
	v_mul_f32_e32 v2, 0x4f7ffffe, v2
	v_cvt_u32_f32_e32 v2, v2
	v_mul_lo_u32 v23, s1, v2
	v_mul_hi_u32 v23, v2, v23
	v_add_nc_u32_e32 v2, v2, v23
	v_mul_hi_u32 v2, v3, v2
	v_mul_lo_u32 v23, v2, s62
	v_add_nc_u32_e32 v24, 1, v2
	v_sub_nc_u32_e32 v23, v3, v23
	v_subrev_nc_u32_e32 v33, s62, v23
	v_cmp_le_u32_e32 vcc_lo, s62, v23
	v_cndmask_b32_e32 v23, v23, v33, vcc_lo
	v_cndmask_b32_e32 v2, v2, v24, vcc_lo
	v_cmp_le_u32_e32 vcc_lo, s62, v23
	v_add_nc_u32_e32 v24, 1, v2
	v_cndmask_b32_e32 v23, v2, v24, vcc_lo
	v_mov_b32_e32 v24, v1
.LBB31_59:                              ;   in Loop: Header=BB31_3 Depth=1
	s_or_b32 exec_lo, exec_lo, s0
	v_mad_u64_u32 v[33:34], null, s81, v23, v[3:4]
	v_mul_lo_u32 v2, s81, v24
	v_mul_lo_u32 v35, s82, v23
	v_mul_lo_u32 v36, v24, s36
	v_mul_lo_u32 v37, v23, s37
	v_mad_u64_u32 v[23:24], null, v23, s36, 0
	v_add3_u32 v2, v35, v34, v2
	v_mul_lo_u32 v35, v33, s39
	v_mad_u64_u32 v[33:34], null, v33, s38, 0
	v_add3_u32 v24, v24, v37, v36
	v_mul_lo_u32 v2, v2, s38
	v_lshlrev_b64 v[23:24], 1, v[23:24]
	v_add3_u32 v34, v34, v35, v2
	v_add_co_u32 v2, vcc_lo, s42, v23
	v_add_co_ci_u32_e64 v24, null, s43, v24, vcc_lo
	v_lshlrev_b64 v[33:34], 1, v[33:34]
	v_add_co_u32 v23, vcc_lo, v2, v33
	v_add_co_ci_u32_e64 v24, null, v24, v34, vcc_lo
	global_load_ushort v2, v[23:24], off
	s_waitcnt vmcnt(0)
	v_lshlrev_b32_e32 v2, 16, v2
	s_branch .LBB31_64
.LBB31_60:                              ;   in Loop: Header=BB31_3 Depth=1
	s_ashr_i32 s64, s61, 31
	v_ashrrev_i32_e32 v34, 31, v4
	s_add_u32 s66, s60, s64
	s_mov_b32 s65, s64
	s_addc_u32 s67, s61, s64
	s_xor_b64 s[66:67], s[66:67], s[64:65]
	v_add_co_u32 v22, vcc_lo, v3, v34
	v_cvt_f32_u32_e32 v2, s66
	v_cvt_f32_u32_e32 v21, s67
	s_sub_u32 s84, 0, s66
	s_subb_u32 s85, 0, s67
	v_add_co_ci_u32_e64 v23, null, v4, v34, vcc_lo
	v_fmac_f32_e32 v2, 0x4f800000, v21
	v_xor_b32_e32 v35, v23, v34
	v_rcp_f32_e32 v2, v2
	v_mul_f32_e32 v2, 0x5f7ffffc, v2
	v_mul_f32_e32 v21, 0x2f800000, v2
	v_trunc_f32_e32 v21, v21
	v_fmac_f32_e32 v2, 0xcf800000, v21
	v_cvt_u32_f32_e32 v21, v21
	v_cvt_u32_f32_e32 v2, v2
	v_readfirstlane_b32 s0, v21
	v_readfirstlane_b32 s65, v2
	s_mul_i32 s86, s84, s0
	v_xor_b32_e32 v2, v22, v34
	s_mul_hi_u32 s88, s84, s65
	s_mul_i32 s87, s85, s65
	s_add_i32 s86, s88, s86
	s_mul_i32 s89, s84, s65
	s_add_i32 s86, s86, s87
	s_mul_hi_u32 s88, s65, s89
	s_mul_i32 s91, s65, s86
	s_mul_hi_u32 s90, s0, s89
	s_mul_i32 s87, s0, s89
	s_mul_hi_u32 s89, s65, s86
	s_add_u32 s88, s88, s91
	s_addc_u32 s89, 0, s89
	s_mul_hi_u32 s92, s0, s86
	s_add_u32 s87, s88, s87
	s_mul_i32 s86, s0, s86
	s_addc_u32 s87, s89, s90
	s_addc_u32 s88, s92, 0
	s_add_u32 s86, s87, s86
	s_addc_u32 s87, 0, s88
	s_add_u32 s65, s65, s86
	s_cselect_b32 s86, -1, 0
	s_mul_hi_u32 s88, s84, s65
	s_cmp_lg_u32 s86, 0
	s_mul_i32 s86, s84, s65
	s_addc_u32 s0, s0, s87
	s_mul_i32 s85, s85, s65
	s_mul_i32 s84, s84, s0
	s_mul_hi_u32 s87, s65, s86
	s_add_i32 s84, s88, s84
	s_mul_hi_u32 s88, s0, s86
	s_add_i32 s84, s84, s85
	s_mul_i32 s85, s0, s86
	s_mul_i32 s90, s65, s84
	s_mul_hi_u32 s89, s65, s84
	s_add_u32 s87, s87, s90
	s_addc_u32 s89, 0, s89
	s_mul_hi_u32 s86, s0, s84
	s_add_u32 s85, s87, s85
	s_mul_i32 s84, s0, s84
	s_addc_u32 s85, s89, s88
	s_addc_u32 s86, s86, 0
	s_add_u32 s84, s85, s84
	s_addc_u32 s85, 0, s86
	s_add_u32 s65, s65, s84
	s_cselect_b32 s84, -1, 0
	v_mul_hi_u32 v36, v2, s65
	s_cmp_lg_u32 s84, 0
	v_mad_u64_u32 v[23:24], null, v35, s65, 0
	s_addc_u32 s0, s0, s85
	v_mad_u64_u32 v[21:22], null, v2, s0, 0
	v_mad_u64_u32 v[32:33], null, v35, s0, 0
	v_add_co_u32 v21, vcc_lo, v36, v21
	v_add_co_ci_u32_e64 v22, null, 0, v22, vcc_lo
	v_add_co_u32 v21, vcc_lo, v21, v23
	v_add_co_ci_u32_e32 v21, vcc_lo, v22, v24, vcc_lo
	v_add_co_ci_u32_e32 v22, vcc_lo, 0, v33, vcc_lo
	v_add_co_u32 v23, vcc_lo, v21, v32
	v_add_co_ci_u32_e64 v24, null, 0, v22, vcc_lo
	v_mul_lo_u32 v32, s67, v23
	v_mad_u64_u32 v[21:22], null, s66, v23, 0
	v_mul_lo_u32 v33, s66, v24
	v_sub_co_u32 v2, vcc_lo, v2, v21
	v_add3_u32 v22, v22, v33, v32
	v_sub_nc_u32_e32 v32, v35, v22
	v_sub_co_ci_u32_e64 v22, null, v35, v22, vcc_lo
	v_subrev_co_ci_u32_e64 v21, null, s67, v32, vcc_lo
	v_add_co_u32 v32, s0, v23, 2
	v_add_co_ci_u32_e64 v33, null, 0, v24, s0
	v_sub_co_u32 v36, s0, v2, s66
	v_subrev_co_ci_u32_e64 v21, null, 0, v21, s0
	v_cmp_le_u32_e32 vcc_lo, s66, v36
	v_cndmask_b32_e64 v35, 0, -1, vcc_lo
	v_cmp_le_u32_e32 vcc_lo, s67, v21
	v_cndmask_b32_e64 v36, 0, -1, vcc_lo
	;; [unrolled: 2-line block ×4, first 2 shown]
	v_cmp_eq_u32_e32 vcc_lo, s67, v21
	v_cndmask_b32_e32 v21, v36, v35, vcc_lo
	v_add_co_u32 v35, vcc_lo, v23, 1
	v_add_co_ci_u32_e64 v36, null, 0, v24, vcc_lo
	v_cmp_eq_u32_e32 vcc_lo, s67, v22
	v_xor_b32_e32 v22, s64, v34
	v_cndmask_b32_e32 v2, v37, v2, vcc_lo
	v_cmp_ne_u32_e32 vcc_lo, 0, v21
	v_cmp_ne_u32_e64 s0, 0, v2
	v_cndmask_b32_e32 v2, v35, v32, vcc_lo
	v_cndmask_b32_e32 v21, v36, v33, vcc_lo
	v_cndmask_b32_e64 v2, v23, v2, s0
	v_cndmask_b32_e64 v21, v24, v21, s0
	v_xor_b32_e32 v2, v2, v22
	v_xor_b32_e32 v23, v21, v22
	v_sub_co_u32 v21, vcc_lo, v2, v22
	v_sub_co_ci_u32_e64 v22, null, v23, v22, vcc_lo
	s_andn2_saveexec_b32 s0, s1
	s_cbranch_execz .LBB31_49
.LBB31_61:                              ;   in Loop: Header=BB31_3 Depth=1
	v_cvt_f32_u32_e32 v2, s60
	s_sub_i32 s1, 0, s60
	v_rcp_iflag_f32_e32 v2, v2
	v_mul_f32_e32 v2, 0x4f7ffffe, v2
	v_cvt_u32_f32_e32 v2, v2
	v_mul_lo_u32 v21, s1, v2
	v_mul_hi_u32 v21, v2, v21
	v_add_nc_u32_e32 v2, v2, v21
	v_mul_hi_u32 v2, v3, v2
	v_mul_lo_u32 v21, v2, s60
	v_add_nc_u32_e32 v22, 1, v2
	v_sub_nc_u32_e32 v21, v3, v21
	v_subrev_nc_u32_e32 v23, s60, v21
	v_cmp_le_u32_e32 vcc_lo, s60, v21
	v_cndmask_b32_e32 v21, v21, v23, vcc_lo
	v_cndmask_b32_e32 v2, v2, v22, vcc_lo
	v_cmp_le_u32_e32 vcc_lo, s60, v21
	v_add_nc_u32_e32 v22, 1, v2
	v_cndmask_b32_e32 v21, v2, v22, vcc_lo
	v_mov_b32_e32 v22, v1
	s_or_b32 exec_lo, exec_lo, s0
	s_andn2_b32 vcc_lo, exec_lo, s33
	s_cbranch_vccz .LBB31_50
.LBB31_62:                              ;   in Loop: Header=BB31_3 Depth=1
	v_mov_b32_e32 v32, 0
	s_andn2_b32 vcc_lo, exec_lo, s68
	s_cbranch_vccz .LBB31_55
.LBB31_63:                              ;   in Loop: Header=BB31_3 Depth=1
	v_mov_b32_e32 v2, 0
.LBB31_64:                              ;   in Loop: Header=BB31_3 Depth=1
	s_waitcnt vmcnt(0)
	v_lshlrev_b32_e32 v23, 16, v31
                                        ; implicit-def: $vgpr24
	v_cmp_ngt_f32_e64 s0, 0x3f200000, |v23|
	s_and_saveexec_b32 s1, s0
	s_xor_b32 s0, exec_lo, s1
	s_cbranch_execz .LBB31_66
; %bb.65:                               ;   in Loop: Header=BB31_3 Depth=1
	v_add_f32_e64 v24, |v23|, |v23|
	v_mul_f32_e32 v31, 0x3fb8aa3b, v24
	v_cmp_ngt_f32_e32 vcc_lo, 0xc2ce8ed0, v24
	v_rndne_f32_e32 v33, v31
	v_fma_f32 v34, 0x3fb8aa3b, v24, -v31
	v_sub_f32_e32 v31, v31, v33
	v_fmac_f32_e32 v34, 0x32a5705f, v24
	v_cvt_i32_f32_e32 v33, v33
	v_add_f32_e32 v31, v31, v34
	v_exp_f32_e32 v31, v31
	v_ldexp_f32 v31, v31, v33
	v_cndmask_b32_e32 v31, 0, v31, vcc_lo
	v_cmp_nlt_f32_e32 vcc_lo, 0x42b17218, v24
	v_cndmask_b32_e32 v24, 0x7f800000, v31, vcc_lo
	v_add_f32_e32 v24, 1.0, v24
	v_rcp_f32_e32 v24, v24
	v_fma_f32 v24, v24, -2.0, 1.0
.LBB31_66:                              ;   in Loop: Header=BB31_3 Depth=1
	s_andn2_saveexec_b32 s0, s0
	s_cbranch_execz .LBB31_2
; %bb.67:                               ;   in Loop: Header=BB31_3 Depth=1
	v_mul_f32_e32 v24, v23, v23
	v_fmaak_f32 v31, s83, v24, 0x3ca908c9
	v_fmaak_f32 v31, v24, v31, 0xbd5c1c4e
	;; [unrolled: 1-line block ×4, first 2 shown]
	v_mul_f32_e64 v31, |v23|, v31
	v_fma_f32 v24, v24, v31, |v23|
	s_branch .LBB31_2
.LBB31_68:
	s_endpgm
	.section	.rodata,"a",@progbits
	.p2align	6, 0x0
	.amdhsa_kernel _ZN2at6native12_GLOBAL__N_16kernel18lstm_cell_backwardIN3c108BFloat16EflLi2EEEvNS_4cuda6detail10TensorInfoIT_T1_EESB_SB_SB_SB_SB_SB_SA_SA_
		.amdhsa_group_segment_fixed_size 0
		.amdhsa_private_segment_fixed_size 0
		.amdhsa_kernarg_size 3184
		.amdhsa_user_sgpr_count 6
		.amdhsa_user_sgpr_private_segment_buffer 1
		.amdhsa_user_sgpr_dispatch_ptr 0
		.amdhsa_user_sgpr_queue_ptr 0
		.amdhsa_user_sgpr_kernarg_segment_ptr 1
		.amdhsa_user_sgpr_dispatch_id 0
		.amdhsa_user_sgpr_flat_scratch_init 0
		.amdhsa_user_sgpr_private_segment_size 0
		.amdhsa_wavefront_size32 1
		.amdhsa_uses_dynamic_stack 0
		.amdhsa_system_sgpr_private_segment_wavefront_offset 0
		.amdhsa_system_sgpr_workgroup_id_x 1
		.amdhsa_system_sgpr_workgroup_id_y 0
		.amdhsa_system_sgpr_workgroup_id_z 0
		.amdhsa_system_sgpr_workgroup_info 0
		.amdhsa_system_vgpr_workitem_id 0
		.amdhsa_next_free_vgpr 44
		.amdhsa_next_free_sgpr 93
		.amdhsa_reserve_vcc 1
		.amdhsa_reserve_flat_scratch 0
		.amdhsa_float_round_mode_32 0
		.amdhsa_float_round_mode_16_64 0
		.amdhsa_float_denorm_mode_32 3
		.amdhsa_float_denorm_mode_16_64 3
		.amdhsa_dx10_clamp 1
		.amdhsa_ieee_mode 1
		.amdhsa_fp16_overflow 0
		.amdhsa_workgroup_processor_mode 1
		.amdhsa_memory_ordered 1
		.amdhsa_forward_progress 1
		.amdhsa_shared_vgpr_count 0
		.amdhsa_exception_fp_ieee_invalid_op 0
		.amdhsa_exception_fp_denorm_src 0
		.amdhsa_exception_fp_ieee_div_zero 0
		.amdhsa_exception_fp_ieee_overflow 0
		.amdhsa_exception_fp_ieee_underflow 0
		.amdhsa_exception_fp_ieee_inexact 0
		.amdhsa_exception_int_div_zero 0
	.end_amdhsa_kernel
	.section	.text._ZN2at6native12_GLOBAL__N_16kernel18lstm_cell_backwardIN3c108BFloat16EflLi2EEEvNS_4cuda6detail10TensorInfoIT_T1_EESB_SB_SB_SB_SB_SB_SA_SA_,"axG",@progbits,_ZN2at6native12_GLOBAL__N_16kernel18lstm_cell_backwardIN3c108BFloat16EflLi2EEEvNS_4cuda6detail10TensorInfoIT_T1_EESB_SB_SB_SB_SB_SB_SA_SA_,comdat
.Lfunc_end31:
	.size	_ZN2at6native12_GLOBAL__N_16kernel18lstm_cell_backwardIN3c108BFloat16EflLi2EEEvNS_4cuda6detail10TensorInfoIT_T1_EESB_SB_SB_SB_SB_SB_SA_SA_, .Lfunc_end31-_ZN2at6native12_GLOBAL__N_16kernel18lstm_cell_backwardIN3c108BFloat16EflLi2EEEvNS_4cuda6detail10TensorInfoIT_T1_EESB_SB_SB_SB_SB_SB_SA_SA_
                                        ; -- End function
	.set _ZN2at6native12_GLOBAL__N_16kernel18lstm_cell_backwardIN3c108BFloat16EflLi2EEEvNS_4cuda6detail10TensorInfoIT_T1_EESB_SB_SB_SB_SB_SB_SA_SA_.num_vgpr, 44
	.set _ZN2at6native12_GLOBAL__N_16kernel18lstm_cell_backwardIN3c108BFloat16EflLi2EEEvNS_4cuda6detail10TensorInfoIT_T1_EESB_SB_SB_SB_SB_SB_SA_SA_.num_agpr, 0
	.set _ZN2at6native12_GLOBAL__N_16kernel18lstm_cell_backwardIN3c108BFloat16EflLi2EEEvNS_4cuda6detail10TensorInfoIT_T1_EESB_SB_SB_SB_SB_SB_SA_SA_.numbered_sgpr, 93
	.set _ZN2at6native12_GLOBAL__N_16kernel18lstm_cell_backwardIN3c108BFloat16EflLi2EEEvNS_4cuda6detail10TensorInfoIT_T1_EESB_SB_SB_SB_SB_SB_SA_SA_.num_named_barrier, 0
	.set _ZN2at6native12_GLOBAL__N_16kernel18lstm_cell_backwardIN3c108BFloat16EflLi2EEEvNS_4cuda6detail10TensorInfoIT_T1_EESB_SB_SB_SB_SB_SB_SA_SA_.private_seg_size, 0
	.set _ZN2at6native12_GLOBAL__N_16kernel18lstm_cell_backwardIN3c108BFloat16EflLi2EEEvNS_4cuda6detail10TensorInfoIT_T1_EESB_SB_SB_SB_SB_SB_SA_SA_.uses_vcc, 1
	.set _ZN2at6native12_GLOBAL__N_16kernel18lstm_cell_backwardIN3c108BFloat16EflLi2EEEvNS_4cuda6detail10TensorInfoIT_T1_EESB_SB_SB_SB_SB_SB_SA_SA_.uses_flat_scratch, 0
	.set _ZN2at6native12_GLOBAL__N_16kernel18lstm_cell_backwardIN3c108BFloat16EflLi2EEEvNS_4cuda6detail10TensorInfoIT_T1_EESB_SB_SB_SB_SB_SB_SA_SA_.has_dyn_sized_stack, 0
	.set _ZN2at6native12_GLOBAL__N_16kernel18lstm_cell_backwardIN3c108BFloat16EflLi2EEEvNS_4cuda6detail10TensorInfoIT_T1_EESB_SB_SB_SB_SB_SB_SA_SA_.has_recursion, 0
	.set _ZN2at6native12_GLOBAL__N_16kernel18lstm_cell_backwardIN3c108BFloat16EflLi2EEEvNS_4cuda6detail10TensorInfoIT_T1_EESB_SB_SB_SB_SB_SB_SA_SA_.has_indirect_call, 0
	.section	.AMDGPU.csdata,"",@progbits
; Kernel info:
; codeLenInByte = 14064
; TotalNumSgprs: 95
; NumVgprs: 44
; ScratchSize: 0
; MemoryBound: 0
; FloatMode: 240
; IeeeMode: 1
; LDSByteSize: 0 bytes/workgroup (compile time only)
; SGPRBlocks: 0
; VGPRBlocks: 5
; NumSGPRsForWavesPerEU: 95
; NumVGPRsForWavesPerEU: 44
; Occupancy: 16
; WaveLimiterHint : 1
; COMPUTE_PGM_RSRC2:SCRATCH_EN: 0
; COMPUTE_PGM_RSRC2:USER_SGPR: 6
; COMPUTE_PGM_RSRC2:TRAP_HANDLER: 0
; COMPUTE_PGM_RSRC2:TGID_X_EN: 1
; COMPUTE_PGM_RSRC2:TGID_Y_EN: 0
; COMPUTE_PGM_RSRC2:TGID_Z_EN: 0
; COMPUTE_PGM_RSRC2:TIDIG_COMP_CNT: 0
	.section	.text._ZN2at6native12_GLOBAL__N_16kernel16gru_cell_forwardIddiLi1EEEvNS_4cuda6detail10TensorInfoIT_T1_EES9_S9_S9_S9_S9_S9_S8_S8_,"axG",@progbits,_ZN2at6native12_GLOBAL__N_16kernel16gru_cell_forwardIddiLi1EEEvNS_4cuda6detail10TensorInfoIT_T1_EES9_S9_S9_S9_S9_S9_S8_S8_,comdat
	.globl	_ZN2at6native12_GLOBAL__N_16kernel16gru_cell_forwardIddiLi1EEEvNS_4cuda6detail10TensorInfoIT_T1_EES9_S9_S9_S9_S9_S9_S8_S8_ ; -- Begin function _ZN2at6native12_GLOBAL__N_16kernel16gru_cell_forwardIddiLi1EEEvNS_4cuda6detail10TensorInfoIT_T1_EES9_S9_S9_S9_S9_S9_S8_S8_
	.p2align	8
	.type	_ZN2at6native12_GLOBAL__N_16kernel16gru_cell_forwardIddiLi1EEEvNS_4cuda6detail10TensorInfoIT_T1_EES9_S9_S9_S9_S9_S9_S8_S8_,@function
_ZN2at6native12_GLOBAL__N_16kernel16gru_cell_forwardIddiLi1EEEvNS_4cuda6detail10TensorInfoIT_T1_EES9_S9_S9_S9_S9_S9_S8_S8_: ; @_ZN2at6native12_GLOBAL__N_16kernel16gru_cell_forwardIddiLi1EEEvNS_4cuda6detail10TensorInfoIT_T1_EES9_S9_S9_S9_S9_S9_S8_S8_
; %bb.0:
	s_clause 0x1
	s_load_dword s7, s[4:5], 0x5fc
	s_load_dwordx2 s[2:3], s[4:5], 0x5e8
	s_add_u32 s0, s4, 0x5f0
	s_addc_u32 s1, s5, 0
	s_waitcnt lgkmcnt(0)
	s_and_b32 s46, s7, 0xffff
	v_mad_u64_u32 v[0:1], null, s6, s46, v[0:1]
	s_mov_b32 s6, exec_lo
	v_cmpx_gt_i32_e64 s3, v0
	s_cbranch_execz .LBB32_6
; %bb.1:
	s_clause 0xd
	s_load_dwordx2 s[6:7], s[4:5], 0x1b0
	s_load_dwordx2 s[8:9], s[4:5], 0x0
	s_load_dword s33, s[4:5], 0x6c
	s_load_dwordx2 s[10:11], s[4:5], 0xd8
	s_load_dword s54, s[4:5], 0x144
	s_load_dword s55, s[4:5], 0x21c
	s_load_dwordx2 s[12:13], s[4:5], 0x288
	s_load_dword s56, s[4:5], 0x2f4
	s_load_dwordx2 s[14:15], s[4:5], 0x360
	;; [unrolled: 2-line block ×4, first 2 shown]
	s_load_dword s57, s[4:5], 0x57c
	s_load_dword s61, s[0:1], 0x0
	s_mov_b32 s20, 0xfefa39ef
	s_mov_b32 s21, 0xbfe62e42
	;; [unrolled: 1-line block ×5, first 2 shown]
	s_waitcnt lgkmcnt(0)
	s_cmp_lg_u64 s[6:7], 0
	s_mov_b32 s26, 0x6a5dcb37
	s_cselect_b32 s59, -1, 0
	s_abs_i32 s60, s2
	s_mov_b32 s28, 0x623fde64
	v_cvt_f32_u32_e32 v1, s60
	s_sub_i32 s0, 0, s60
	s_mov_b32 s30, 0x7c89e6b0
	s_mov_b32 s34, 0x14761f6e
	;; [unrolled: 1-line block ×3, first 2 shown]
	v_rcp_iflag_f32_e32 v1, v1
	v_mul_lo_u32 v3, v0, s52
	s_mov_b32 s38, 0x11122322
	s_mov_b32 s40, 0x555502a1
	s_mul_i32 s61, s61, s46
	s_mov_b32 s42, 0x55555511
	s_mov_b32 s44, 11
	;; [unrolled: 1-line block ×3, first 2 shown]
	s_mul_i32 s67, s61, s52
	s_mov_b32 s52, 0xf97b57a0
	v_mul_f32_e32 v1, 0x4f7ffffe, v1
	s_mov_b32 s58, 0
	s_mov_b32 s5, 0xbff71547
	;; [unrolled: 1-line block ×4, first 2 shown]
	v_cvt_u32_f32_e32 v2, v1
	v_mul_lo_u32 v1, v0, s49
	s_mov_b32 s27, 0x3e5ade15
	s_mov_b32 s29, 0x3ec71dee
	;; [unrolled: 1-line block ×3, first 2 shown]
	v_mul_lo_u32 v4, s0, v2
	s_mov_b32 s35, 0x3f2a01a0
	s_mov_b32 s37, 0x3f56c16c
	;; [unrolled: 1-line block ×7, first 2 shown]
	v_mul_hi_u32 v4, v2, v4
	s_mov_b32 s48, 0xfefa3000
	s_mov_b32 s51, 0xbd53de6a
	s_ashr_i32 s62, s2, 31
	s_lshl_b32 s63, s2, 1
	s_lshl_b32 s64, s2, 2
	s_sub_i32 s65, 0, s2
	s_mul_i32 s66, s61, s49
	v_add_nc_u32_e32 v31, v2, v4
	s_mov_b32 s53, 0xbac9cc01
	s_mov_b32 s46, s4
	;; [unrolled: 1-line block ×3, first 2 shown]
	s_branch .LBB32_4
.LBB32_2:                               ;   in Loop: Header=BB32_4 Depth=1
	v_sub_nc_u32_e32 v2, v4, v32
	v_mad_u64_u32 v[11:12], null, s65, v33, v[0:1]
	v_mul_lo_u32 v13, s2, v2
	v_add_nc_u32_e32 v2, 2, v2
	v_mul_lo_u32 v12, v11, s55
	v_mul_lo_u32 v23, v11, s56
	v_mad_u64_u32 v[25:26], null, s2, v2, v[0:1]
	v_add3_u32 v2, v13, s2, v0
	v_ashrrev_i32_e32 v13, 31, v12
	v_mul_lo_u32 v11, v2, s55
	v_mul_lo_u32 v26, v25, s55
	;; [unrolled: 1-line block ×3, first 2 shown]
	v_ashrrev_i32_e32 v24, 31, v23
	v_lshlrev_b64 v[13:14], 3, v[12:13]
	v_mul_lo_u32 v34, v25, s56
	v_lshlrev_b64 v[23:24], 3, v[23:24]
	v_ashrrev_i32_e32 v12, 31, v11
	v_ashrrev_i32_e32 v27, 31, v26
	v_add_co_u32 v13, vcc_lo, s6, v13
	v_ashrrev_i32_e32 v29, 31, v28
	v_lshlrev_b64 v[11:12], 3, v[11:12]
	v_lshlrev_b64 v[25:26], 3, v[26:27]
	v_add_co_ci_u32_e64 v14, null, s7, v14, vcc_lo
	v_ashrrev_i32_e32 v35, 31, v34
	v_lshlrev_b64 v[27:28], 3, v[28:29]
	v_add_co_u32 v11, vcc_lo, s6, v11
	v_add_co_ci_u32_e64 v12, null, s7, v12, vcc_lo
	v_add_co_u32 v25, vcc_lo, s6, v25
	v_add_co_ci_u32_e64 v26, null, s7, v26, vcc_lo
	;; [unrolled: 2-line block ×3, first 2 shown]
	v_lshlrev_b64 v[23:24], 3, v[34:35]
	v_add_co_u32 v34, vcc_lo, s12, v27
	v_add_co_ci_u32_e64 v35, null, s13, v28, vcc_lo
	v_add_co_u32 v38, vcc_lo, s12, v23
	v_add_co_ci_u32_e64 v39, null, s13, v24, vcc_lo
	s_clause 0x2
	global_load_dwordx2 v[29:30], v[13:14], off
	global_load_dwordx2 v[11:12], v[11:12], off
	;; [unrolled: 1-line block ×3, first 2 shown]
	s_clause 0x2
	global_load_dwordx2 v[27:28], v[36:37], off
	global_load_dwordx2 v[13:14], v[34:35], off
	;; [unrolled: 1-line block ×3, first 2 shown]
.LBB32_3:                               ;   in Loop: Header=BB32_4 Depth=1
	s_waitcnt vmcnt(3)
	v_add_f64 v[19:20], v[19:20], v[21:22]
	v_add_f64 v[15:16], v[15:16], v[23:24]
	s_waitcnt vmcnt(0)
	v_add_f64 v[17:18], v[17:18], v[25:26]
	v_add_f64 v[7:8], v[7:8], v[9:10]
	;; [unrolled: 1-line block ×6, first 2 shown]
	v_mul_f64 v[21:22], v[19:20], s[4:5]
	v_cmp_nlt_f64_e64 s0, 0x4090cc00, v[19:20]
	v_rndne_f64_e32 v[21:22], v[21:22]
	v_fma_f64 v[27:28], v[21:22], s[20:21], -v[19:20]
	v_cvt_i32_f64_e32 v2, v[21:22]
	v_fma_f64 v[27:28], v[21:22], s[22:23], v[27:28]
	v_fma_f64 v[29:30], v[27:28], s[26:27], s[24:25]
	;; [unrolled: 1-line block ×10, first 2 shown]
	v_fma_f64 v[29:30], v[27:28], v[29:30], 1.0
	v_fma_f64 v[21:22], v[27:28], v[29:30], 1.0
	v_ldexp_f64 v[21:22], v[21:22], v2
	v_add_f64 v[21:22], v[21:22], 1.0
	v_div_scale_f64 v[27:28], null, v[21:22], v[21:22], 1.0
	v_div_scale_f64 v[36:37], vcc_lo, 1.0, v[21:22], 1.0
	v_rcp_f64_e32 v[29:30], v[27:28]
	v_fma_f64 v[34:35], -v[27:28], v[29:30], 1.0
	v_fma_f64 v[29:30], v[29:30], v[34:35], v[29:30]
	v_fma_f64 v[34:35], -v[27:28], v[29:30], 1.0
	v_fma_f64 v[29:30], v[29:30], v[34:35], v[29:30]
	v_mul_f64 v[34:35], v[36:37], v[29:30]
	v_fma_f64 v[27:28], -v[27:28], v[34:35], v[36:37]
	v_div_fmas_f64 v[27:28], v[27:28], v[29:30], v[34:35]
	v_cmp_ngt_f64_e32 vcc_lo, 0xc0900000, v[19:20]
	v_div_fixup_f64 v[21:22], v[27:28], v[21:22], 1.0
	v_cndmask_b32_e32 v2, 0, v22, vcc_lo
	s_and_b32 vcc_lo, s0, vcc_lo
	v_cndmask_b32_e32 v19, 0, v21, vcc_lo
	v_cndmask_b32_e64 v20, 0x3ff00000, v2, s0
	v_fma_f64 v[15:16], v[17:18], v[19:20], v[15:16]
	v_mul_f64 v[21:22], |v[15:16]|, s[46:47]
	v_cmp_nlt_f64_e64 s0, 0x40331000, |v[15:16]|
	v_rndne_f64_e32 v[21:22], v[21:22]
	v_fma_f64 v[23:24], v[21:22], s[48:49], |v[15:16]|
	v_mul_f64 v[25:26], v[21:22], s[50:51]
	v_cvt_i32_f64_e32 v2, v[21:22]
	v_add_f64 v[27:28], v[23:24], 0
	v_add_f64 v[29:30], v[27:28], v[25:26]
	v_add_f64 v[23:24], v[23:24], -v[27:28]
	v_add_f64 v[27:28], v[27:28], -v[29:30]
	v_add_f64 v[23:24], v[23:24], 0
	v_add_f64 v[25:26], v[27:28], v[25:26]
	;; [unrolled: 1-line block ×3, first 2 shown]
	v_mul_f64 v[25:26], v[21:22], s[52:53]
	v_add_f64 v[27:28], v[29:30], v[23:24]
	v_add_f64 v[34:35], v[27:28], v[25:26]
	v_add_f64 v[29:30], v[29:30], -v[27:28]
	v_add_f64 v[27:28], v[27:28], -v[34:35]
	v_add_f64 v[23:24], v[23:24], v[29:30]
	v_add_f64 v[25:26], v[27:28], v[25:26]
	;; [unrolled: 1-line block ×4, first 2 shown]
	v_fma_f64 v[27:28], v[25:26], s[26:27], s[24:25]
	v_add_f64 v[29:30], v[34:35], -v[25:26]
	v_mul_f64 v[34:35], v[25:26], v[25:26]
	v_fma_f64 v[27:28], v[25:26], v[27:28], s[28:29]
	v_add_f64 v[23:24], v[23:24], v[29:30]
	v_fma_f64 v[29:30], v[25:26], v[25:26], -v[34:35]
	v_fma_f64 v[27:28], v[25:26], v[27:28], s[30:31]
	v_add_f64 v[36:37], v[23:24], v[23:24]
	v_fma_f64 v[27:28], v[25:26], v[27:28], s[34:35]
	v_fma_f64 v[29:30], v[25:26], v[36:37], v[29:30]
	;; [unrolled: 1-line block ×3, first 2 shown]
	v_add_f64 v[36:37], v[34:35], v[29:30]
	v_fma_f64 v[27:28], v[25:26], v[27:28], s[38:39]
	v_add_f64 v[34:35], v[36:37], -v[34:35]
	v_fma_f64 v[27:28], v[25:26], v[27:28], s[40:41]
	v_add_f64 v[29:30], v[29:30], -v[34:35]
	v_fma_f64 v[27:28], v[25:26], v[27:28], s[42:43]
	v_fma_f64 v[27:28], v[25:26], v[27:28], s[44:45]
	v_mul_f64 v[38:39], v[36:37], v[27:28]
	v_fma_f64 v[34:35], v[36:37], v[27:28], -v[38:39]
	v_fma_f64 v[27:28], v[29:30], v[27:28], v[34:35]
	v_add_f64 v[29:30], v[38:39], v[27:28]
	v_add_f64 v[34:35], v[25:26], v[29:30]
	v_add_f64 v[36:37], v[29:30], -v[38:39]
	v_add_f64 v[25:26], v[34:35], -v[25:26]
	;; [unrolled: 1-line block ×4, first 2 shown]
	v_add_f64 v[23:24], v[23:24], v[27:28]
	v_add_f64 v[23:24], v[23:24], v[25:26]
	;; [unrolled: 1-line block ×3, first 2 shown]
	v_add_f64 v[27:28], v[25:26], 1.0
	v_add_f64 v[29:30], v[25:26], -v[34:35]
	v_add_f64 v[34:35], v[27:28], -1.0
	v_add_f64 v[23:24], v[23:24], -v[29:30]
	v_add_f64 v[25:26], v[25:26], -v[34:35]
	v_add_f64 v[23:24], v[23:24], v[25:26]
	v_add_f64 v[21:22], v[27:28], v[23:24]
	v_ldexp_f64 v[25:26], v[21:22], v2
	v_add_f64 v[21:22], v[21:22], -v[27:28]
	v_rcp_f64_e32 v[29:30], v[25:26]
	v_add_f64 v[21:22], v[23:24], -v[21:22]
	v_ldexp_f64 v[21:22], v[21:22], v2
	v_fma_f64 v[34:35], -v[25:26], v[29:30], 1.0
	v_fma_f64 v[29:30], v[34:35], v[29:30], v[29:30]
	v_fma_f64 v[34:35], -v[25:26], v[29:30], 1.0
	v_fma_f64 v[27:28], v[34:35], v[29:30], v[29:30]
	v_mul_f64 v[23:24], v[25:26], v[27:28]
	v_fma_f64 v[29:30], v[27:28], v[25:26], -v[23:24]
	v_fma_f64 v[29:30], v[27:28], v[21:22], v[29:30]
	v_add_f64 v[34:35], v[23:24], v[29:30]
	v_add_f64 v[36:37], -v[34:35], 1.0
	v_add_f64 v[23:24], v[34:35], -v[23:24]
	v_add_f64 v[38:39], -v[36:37], 1.0
	v_add_f64 v[23:24], v[23:24], -v[29:30]
	v_add_f64 v[29:30], v[38:39], -v[34:35]
	v_add_f64 v[23:24], v[23:24], v[29:30]
	v_add_f64 v[29:30], v[36:37], v[23:24]
	v_mul_f64 v[34:35], v[27:28], v[29:30]
	v_add_f64 v[36:37], v[36:37], -v[29:30]
	v_mul_f64 v[38:39], v[25:26], v[34:35]
	v_add_f64 v[23:24], v[23:24], v[36:37]
	v_add_f64 v[9:10], v[27:28], v[34:35]
	v_fma_f64 v[40:41], v[34:35], v[25:26], -v[38:39]
	v_add_f64 v[11:12], v[9:10], -v[27:28]
	v_fma_f64 v[40:41], v[34:35], v[21:22], v[40:41]
	v_add_f64 v[11:12], v[34:35], -v[11:12]
	v_add_f64 v[42:43], v[38:39], v[40:41]
	v_add_f64 v[44:45], v[29:30], -v[42:43]
	v_add_f64 v[36:37], v[42:43], -v[38:39]
	;; [unrolled: 1-line block ×5, first 2 shown]
	v_add_f64 v[23:24], v[23:24], v[29:30]
	v_add_f64 v[23:24], v[36:37], v[23:24]
	;; [unrolled: 1-line block ×3, first 2 shown]
	v_mul_f64 v[13:14], v[27:28], v[23:24]
	v_mul_f64 v[23:24], v[7:8], s[4:5]
	v_add_f64 v[11:12], v[11:12], v[13:14]
	v_rndne_f64_e32 v[13:14], v[23:24]
	v_add_f64 v[23:24], v[9:10], v[11:12]
	v_fma_f64 v[27:28], v[13:14], s[20:21], -v[7:8]
	v_cvt_i32_f64_e32 v2, v[13:14]
	v_add_f64 v[29:30], v[25:26], v[23:24]
	v_add_f64 v[9:10], v[23:24], -v[9:10]
	v_fma_f64 v[27:28], v[13:14], s[22:23], v[27:28]
	v_add_f64 v[38:39], v[25:26], -v[23:24]
	v_add_f64 v[34:35], v[29:30], -v[25:26]
	;; [unrolled: 1-line block ×3, first 2 shown]
	v_fma_f64 v[11:12], v[27:28], s[26:27], s[24:25]
	v_add_f64 v[25:26], v[25:26], -v[38:39]
	v_add_f64 v[34:35], v[23:24], -v[34:35]
	v_add_f64 v[36:37], v[21:22], v[9:10]
	v_fma_f64 v[11:12], v[27:28], v[11:12], s[28:29]
	v_add_f64 v[23:24], v[25:26], -v[23:24]
	v_add_f64 v[34:35], v[36:37], v[34:35]
	v_fma_f64 v[11:12], v[27:28], v[11:12], s[30:31]
	v_add_f64 v[21:22], v[21:22], v[23:24]
	v_add_f64 v[36:37], v[29:30], v[34:35]
	v_fma_f64 v[11:12], v[27:28], v[11:12], s[34:35]
	v_add_f64 v[9:10], v[21:22], -v[9:10]
	v_rcp_f64_e32 v[40:41], v[36:37]
	v_fma_f64 v[11:12], v[27:28], v[11:12], s[36:37]
	v_add_f64 v[29:30], v[36:37], -v[29:30]
	v_fma_f64 v[11:12], v[27:28], v[11:12], s[38:39]
	v_fma_f64 v[25:26], -v[36:37], v[40:41], 1.0
	v_add_f64 v[13:14], v[34:35], -v[29:30]
	v_fma_f64 v[11:12], v[27:28], v[11:12], s[40:41]
	v_fma_f64 v[23:24], v[25:26], v[40:41], v[40:41]
	v_add_f64 v[25:26], v[38:39], v[9:10]
	v_fma_f64 v[11:12], v[27:28], v[11:12], s[42:43]
	v_fma_f64 v[21:22], -v[36:37], v[23:24], 1.0
	v_fma_f64 v[11:12], v[27:28], v[11:12], s[44:45]
	v_fma_f64 v[21:22], v[21:22], v[23:24], v[23:24]
	v_fma_f64 v[11:12], v[27:28], v[11:12], 1.0
	v_mul_f64 v[23:24], v[25:26], v[21:22]
	v_fma_f64 v[11:12], v[27:28], v[11:12], 1.0
	v_mul_f64 v[40:41], v[36:37], v[23:24]
	v_ldexp_f64 v[11:12], v[11:12], v2
	v_fma_f64 v[27:28], v[23:24], v[36:37], -v[40:41]
	v_add_f64 v[11:12], v[11:12], 1.0
	v_fma_f64 v[13:14], v[23:24], v[13:14], v[27:28]
	v_div_scale_f64 v[29:30], null, v[11:12], v[11:12], 1.0
	v_add_f64 v[27:28], v[40:41], v[13:14]
	v_rcp_f64_e32 v[36:37], v[29:30]
	v_add_f64 v[34:35], v[25:26], -v[27:28]
	v_add_f64 v[40:41], v[27:28], -v[40:41]
	;; [unrolled: 1-line block ×3, first 2 shown]
	v_fma_f64 v[44:45], -v[29:30], v[36:37], 1.0
	v_add_f64 v[25:26], v[25:26], -v[38:39]
	v_add_f64 v[13:14], v[13:14], -v[40:41]
	;; [unrolled: 1-line block ×3, first 2 shown]
	v_fma_f64 v[36:37], v[36:37], v[44:45], v[36:37]
	v_add_f64 v[9:10], v[9:10], -v[25:26]
	v_add_f64 v[13:14], v[27:28], -v[13:14]
	v_fma_f64 v[25:26], -v[29:30], v[36:37], 1.0
	v_add_f64 v[9:10], v[9:10], v[13:14]
	v_div_scale_f64 v[13:14], vcc_lo, 1.0, v[11:12], 1.0
	v_fma_f64 v[25:26], v[36:37], v[25:26], v[36:37]
	v_add_f64 v[9:10], v[34:35], v[9:10]
	v_mul_f64 v[27:28], v[13:14], v[25:26]
	v_mul_f64 v[9:10], v[21:22], v[9:10]
	v_lshlrev_b32_e32 v22, 2, v32
	v_fma_f64 v[13:14], -v[29:30], v[27:28], v[13:14]
	v_add_f64 v[9:10], v[23:24], v[9:10]
	v_div_fmas_f64 v[13:14], v[13:14], v[25:26], v[27:28]
	v_cmp_gt_f64_e64 vcc_lo, 0x3e400000, |v[15:16]|
	v_cndmask_b32_e64 v2, 0x3ff00000, v10, s0
	v_cndmask_b32_e64 v21, 0, v9, s0
	v_cmp_nlt_f64_e64 s0, 0x4090cc00, v[7:8]
	v_div_fixup_f64 v[9:10], v[13:14], v[11:12], 1.0
	v_lshlrev_b32_e32 v13, 2, v4
	v_ashrrev_i32_e32 v4, 31, v3
	v_mad_u64_u32 v[11:12], null, s64, v33, v[0:1]
	v_add_nc_u32_e32 v1, s66, v1
	v_sub_nc_u32_e32 v14, v22, v13
	v_and_b32_e32 v22, 0x7fffffff, v16
	v_lshlrev_b64 v[12:13], 3, v[3:4]
	v_add_nc_u32_e32 v3, s67, v3
	v_or_b32_e32 v4, 1, v14
	v_or_b32_e32 v23, 2, v14
	;; [unrolled: 1-line block ×3, first 2 shown]
	v_add_nc_u32_e32 v25, 4, v14
	v_cndmask_b32_e32 v14, v21, v15, vcc_lo
	v_cndmask_b32_e32 v2, v2, v22, vcc_lo
	v_cmp_ngt_f64_e32 vcc_lo, 0xc0900000, v[7:8]
	v_mad_u64_u32 v[21:22], null, s2, v4, v[0:1]
	v_mad_u64_u32 v[7:8], null, s2, v23, v[0:1]
	v_bfi_b32 v15, 0x7fffffff, v2, v16
	v_mad_u64_u32 v[22:23], null, s2, v24, v[0:1]
	v_mul_lo_u32 v11, v11, s57
	v_mad_u64_u32 v[25:26], null, s2, v25, v[0:1]
	v_add_f64 v[23:24], v[5:6], -v[14:15]
	v_mul_lo_u32 v7, v7, s57
	v_add_co_u32 v26, s1, s16, v12
	v_add_co_ci_u32_e64 v27, null, s17, v13, s1
	v_ashrrev_i32_e32 v12, 31, v11
	v_mul_lo_u32 v28, v25, s57
	v_add_nc_u32_e32 v0, s61, v0
	v_ashrrev_i32_e32 v8, 31, v7
	v_cndmask_b32_e32 v4, 0, v10, vcc_lo
	s_and_b32 vcc_lo, s0, vcc_lo
	v_mul_lo_u32 v10, v21, s57
	v_cndmask_b32_e32 v32, 0, v9, vcc_lo
	v_mul_lo_u32 v21, v22, s57
	v_cndmask_b32_e64 v33, 0x3ff00000, v4, s0
	v_lshlrev_b64 v[12:13], 3, v[11:12]
	v_ashrrev_i32_e32 v29, 31, v28
	v_lshlrev_b64 v[7:8], 3, v[7:8]
	v_cmp_le_i32_e64 s1, s3, v0
	v_ashrrev_i32_e32 v11, 31, v10
	v_fma_f64 v[23:24], v[32:33], v[23:24], v[14:15]
	v_ashrrev_i32_e32 v22, 31, v21
	v_lshlrev_b64 v[28:29], 3, v[28:29]
	s_or_b32 s58, s1, s58
	v_lshlrev_b64 v[9:10], 3, v[10:11]
	v_add_co_u32 v11, vcc_lo, s18, v12
	v_lshlrev_b64 v[21:22], 3, v[21:22]
	v_add_co_ci_u32_e64 v12, null, s19, v13, vcc_lo
	v_add_co_u32 v9, vcc_lo, s18, v9
	v_add_co_ci_u32_e64 v10, null, s19, v10, vcc_lo
	v_add_co_u32 v7, vcc_lo, s18, v7
	v_add_co_ci_u32_e64 v8, null, s19, v8, vcc_lo
	v_add_co_u32 v21, vcc_lo, s18, v21
	v_add_co_ci_u32_e64 v22, null, s19, v22, vcc_lo
	v_add_co_u32 v28, vcc_lo, s18, v28
	v_add_co_ci_u32_e64 v29, null, s19, v29, vcc_lo
	global_store_dwordx2 v[26:27], v[23:24], off
	global_store_dwordx2 v[11:12], v[19:20], off
	;; [unrolled: 1-line block ×6, first 2 shown]
	s_andn2_b32 exec_lo, exec_lo, s58
	s_cbranch_execz .LBB32_6
.LBB32_4:                               ; =>This Inner Loop Header: Depth=1
	v_sub_nc_u32_e32 v2, 0, v0
	v_max_i32_e32 v2, v0, v2
	v_mul_hi_u32 v4, v2, v31
	v_mul_lo_u32 v5, v4, s60
	v_sub_nc_u32_e32 v2, v2, v5
	v_add_nc_u32_e32 v5, 1, v4
	v_subrev_nc_u32_e32 v6, s60, v2
	v_cmp_le_u32_e32 vcc_lo, s60, v2
	v_cndmask_b32_e32 v5, v4, v5, vcc_lo
	v_cndmask_b32_e32 v2, v2, v6, vcc_lo
	v_ashrrev_i32_e32 v4, 31, v0
	v_add_nc_u32_e32 v6, 1, v5
	v_cmp_le_u32_e32 vcc_lo, s60, v2
	v_xor_b32_e32 v4, s62, v4
	v_cndmask_b32_e32 v2, v5, v6, vcc_lo
	v_xor_b32_e32 v32, v2, v4
	v_lshlrev_b32_e32 v2, 1, v4
	v_sub_nc_u32_e32 v33, v32, v4
	v_lshlrev_b32_e32 v7, 1, v32
	v_mad_u64_u32 v[5:6], null, s63, v33, v[0:1]
	v_sub_nc_u32_e32 v6, v7, v2
	v_ashrrev_i32_e32 v2, 31, v1
	v_or_b32_e32 v7, 1, v6
	v_add_nc_u32_e32 v9, 2, v6
	v_mul_lo_u32 v6, v5, s33
	v_mul_lo_u32 v8, v5, s54
	v_mad_u64_u32 v[10:11], null, s2, v7, v[0:1]
	v_mad_u64_u32 v[11:12], null, s2, v9, v[0:1]
	v_lshlrev_b64 v[12:13], 3, v[1:2]
	v_ashrrev_i32_e32 v7, 31, v6
	v_ashrrev_i32_e32 v9, 31, v8
	v_mul_lo_u32 v5, v10, s33
	v_mul_lo_u32 v10, v10, s54
	;; [unrolled: 1-line block ×3, first 2 shown]
	v_lshlrev_b64 v[18:19], 3, v[6:7]
	v_mul_lo_u32 v16, v11, s54
	v_lshlrev_b64 v[7:8], 3, v[8:9]
	v_add_co_u32 v12, vcc_lo, s14, v12
	v_ashrrev_i32_e32 v6, 31, v5
	v_add_co_ci_u32_e64 v13, null, s15, v13, vcc_lo
	v_ashrrev_i32_e32 v15, 31, v14
	v_add_co_u32 v18, vcc_lo, s8, v18
	v_ashrrev_i32_e32 v11, 31, v10
	v_add_co_ci_u32_e64 v19, null, s9, v19, vcc_lo
	v_lshlrev_b64 v[5:6], 3, v[5:6]
	v_add_co_u32 v21, vcc_lo, s10, v7
	v_ashrrev_i32_e32 v17, 31, v16
	v_add_co_ci_u32_e64 v22, null, s11, v8, vcc_lo
	v_lshlrev_b64 v[7:8], 3, v[14:15]
	v_lshlrev_b64 v[9:10], 3, v[10:11]
	;; [unrolled: 1-line block ×3, first 2 shown]
	v_add_co_u32 v5, vcc_lo, s8, v5
	v_add_co_ci_u32_e64 v6, null, s9, v6, vcc_lo
	v_add_co_u32 v16, vcc_lo, s8, v7
	v_add_co_ci_u32_e64 v17, null, s9, v8, vcc_lo
	;; [unrolled: 2-line block ×4, first 2 shown]
	s_clause 0x2
	global_load_dwordx2 v[19:20], v[18:19], off
	global_load_dwordx2 v[7:8], v[5:6], off
	;; [unrolled: 1-line block ×3, first 2 shown]
	s_clause 0x2
	global_load_dwordx2 v[21:22], v[21:22], off
	global_load_dwordx2 v[9:10], v[9:10], off
	;; [unrolled: 1-line block ×4, first 2 shown]
	s_andn2_b32 vcc_lo, exec_lo, s59
	s_cbranch_vccz .LBB32_2
; %bb.5:                                ;   in Loop: Header=BB32_4 Depth=1
	v_mov_b32_e32 v11, 0
	v_mov_b32_e32 v23, 0
	;; [unrolled: 1-line block ×12, first 2 shown]
	s_branch .LBB32_3
.LBB32_6:
	s_endpgm
	.section	.rodata,"a",@progbits
	.p2align	6, 0x0
	.amdhsa_kernel _ZN2at6native12_GLOBAL__N_16kernel16gru_cell_forwardIddiLi1EEEvNS_4cuda6detail10TensorInfoIT_T1_EES9_S9_S9_S9_S9_S9_S8_S8_
		.amdhsa_group_segment_fixed_size 0
		.amdhsa_private_segment_fixed_size 0
		.amdhsa_kernarg_size 1776
		.amdhsa_user_sgpr_count 6
		.amdhsa_user_sgpr_private_segment_buffer 1
		.amdhsa_user_sgpr_dispatch_ptr 0
		.amdhsa_user_sgpr_queue_ptr 0
		.amdhsa_user_sgpr_kernarg_segment_ptr 1
		.amdhsa_user_sgpr_dispatch_id 0
		.amdhsa_user_sgpr_flat_scratch_init 0
		.amdhsa_user_sgpr_private_segment_size 0
		.amdhsa_wavefront_size32 1
		.amdhsa_uses_dynamic_stack 0
		.amdhsa_system_sgpr_private_segment_wavefront_offset 0
		.amdhsa_system_sgpr_workgroup_id_x 1
		.amdhsa_system_sgpr_workgroup_id_y 0
		.amdhsa_system_sgpr_workgroup_id_z 0
		.amdhsa_system_sgpr_workgroup_info 0
		.amdhsa_system_vgpr_workitem_id 0
		.amdhsa_next_free_vgpr 46
		.amdhsa_next_free_sgpr 68
		.amdhsa_reserve_vcc 1
		.amdhsa_reserve_flat_scratch 0
		.amdhsa_float_round_mode_32 0
		.amdhsa_float_round_mode_16_64 0
		.amdhsa_float_denorm_mode_32 3
		.amdhsa_float_denorm_mode_16_64 3
		.amdhsa_dx10_clamp 1
		.amdhsa_ieee_mode 1
		.amdhsa_fp16_overflow 0
		.amdhsa_workgroup_processor_mode 1
		.amdhsa_memory_ordered 1
		.amdhsa_forward_progress 1
		.amdhsa_shared_vgpr_count 0
		.amdhsa_exception_fp_ieee_invalid_op 0
		.amdhsa_exception_fp_denorm_src 0
		.amdhsa_exception_fp_ieee_div_zero 0
		.amdhsa_exception_fp_ieee_overflow 0
		.amdhsa_exception_fp_ieee_underflow 0
		.amdhsa_exception_fp_ieee_inexact 0
		.amdhsa_exception_int_div_zero 0
	.end_amdhsa_kernel
	.section	.text._ZN2at6native12_GLOBAL__N_16kernel16gru_cell_forwardIddiLi1EEEvNS_4cuda6detail10TensorInfoIT_T1_EES9_S9_S9_S9_S9_S9_S8_S8_,"axG",@progbits,_ZN2at6native12_GLOBAL__N_16kernel16gru_cell_forwardIddiLi1EEEvNS_4cuda6detail10TensorInfoIT_T1_EES9_S9_S9_S9_S9_S9_S8_S8_,comdat
.Lfunc_end32:
	.size	_ZN2at6native12_GLOBAL__N_16kernel16gru_cell_forwardIddiLi1EEEvNS_4cuda6detail10TensorInfoIT_T1_EES9_S9_S9_S9_S9_S9_S8_S8_, .Lfunc_end32-_ZN2at6native12_GLOBAL__N_16kernel16gru_cell_forwardIddiLi1EEEvNS_4cuda6detail10TensorInfoIT_T1_EES9_S9_S9_S9_S9_S9_S8_S8_
                                        ; -- End function
	.set _ZN2at6native12_GLOBAL__N_16kernel16gru_cell_forwardIddiLi1EEEvNS_4cuda6detail10TensorInfoIT_T1_EES9_S9_S9_S9_S9_S9_S8_S8_.num_vgpr, 46
	.set _ZN2at6native12_GLOBAL__N_16kernel16gru_cell_forwardIddiLi1EEEvNS_4cuda6detail10TensorInfoIT_T1_EES9_S9_S9_S9_S9_S9_S8_S8_.num_agpr, 0
	.set _ZN2at6native12_GLOBAL__N_16kernel16gru_cell_forwardIddiLi1EEEvNS_4cuda6detail10TensorInfoIT_T1_EES9_S9_S9_S9_S9_S9_S8_S8_.numbered_sgpr, 68
	.set _ZN2at6native12_GLOBAL__N_16kernel16gru_cell_forwardIddiLi1EEEvNS_4cuda6detail10TensorInfoIT_T1_EES9_S9_S9_S9_S9_S9_S8_S8_.num_named_barrier, 0
	.set _ZN2at6native12_GLOBAL__N_16kernel16gru_cell_forwardIddiLi1EEEvNS_4cuda6detail10TensorInfoIT_T1_EES9_S9_S9_S9_S9_S9_S8_S8_.private_seg_size, 0
	.set _ZN2at6native12_GLOBAL__N_16kernel16gru_cell_forwardIddiLi1EEEvNS_4cuda6detail10TensorInfoIT_T1_EES9_S9_S9_S9_S9_S9_S8_S8_.uses_vcc, 1
	.set _ZN2at6native12_GLOBAL__N_16kernel16gru_cell_forwardIddiLi1EEEvNS_4cuda6detail10TensorInfoIT_T1_EES9_S9_S9_S9_S9_S9_S8_S8_.uses_flat_scratch, 0
	.set _ZN2at6native12_GLOBAL__N_16kernel16gru_cell_forwardIddiLi1EEEvNS_4cuda6detail10TensorInfoIT_T1_EES9_S9_S9_S9_S9_S9_S8_S8_.has_dyn_sized_stack, 0
	.set _ZN2at6native12_GLOBAL__N_16kernel16gru_cell_forwardIddiLi1EEEvNS_4cuda6detail10TensorInfoIT_T1_EES9_S9_S9_S9_S9_S9_S8_S8_.has_recursion, 0
	.set _ZN2at6native12_GLOBAL__N_16kernel16gru_cell_forwardIddiLi1EEEvNS_4cuda6detail10TensorInfoIT_T1_EES9_S9_S9_S9_S9_S9_S8_S8_.has_indirect_call, 0
	.section	.AMDGPU.csdata,"",@progbits
; Kernel info:
; codeLenInByte = 3500
; TotalNumSgprs: 70
; NumVgprs: 46
; ScratchSize: 0
; MemoryBound: 0
; FloatMode: 240
; IeeeMode: 1
; LDSByteSize: 0 bytes/workgroup (compile time only)
; SGPRBlocks: 0
; VGPRBlocks: 5
; NumSGPRsForWavesPerEU: 70
; NumVGPRsForWavesPerEU: 46
; Occupancy: 16
; WaveLimiterHint : 1
; COMPUTE_PGM_RSRC2:SCRATCH_EN: 0
; COMPUTE_PGM_RSRC2:USER_SGPR: 6
; COMPUTE_PGM_RSRC2:TRAP_HANDLER: 0
; COMPUTE_PGM_RSRC2:TGID_X_EN: 1
; COMPUTE_PGM_RSRC2:TGID_Y_EN: 0
; COMPUTE_PGM_RSRC2:TGID_Z_EN: 0
; COMPUTE_PGM_RSRC2:TIDIG_COMP_CNT: 0
	.section	.text._ZN2at6native12_GLOBAL__N_16kernel16gru_cell_forwardIddiLi2EEEvNS_4cuda6detail10TensorInfoIT_T1_EES9_S9_S9_S9_S9_S9_S8_S8_,"axG",@progbits,_ZN2at6native12_GLOBAL__N_16kernel16gru_cell_forwardIddiLi2EEEvNS_4cuda6detail10TensorInfoIT_T1_EES9_S9_S9_S9_S9_S9_S8_S8_,comdat
	.globl	_ZN2at6native12_GLOBAL__N_16kernel16gru_cell_forwardIddiLi2EEEvNS_4cuda6detail10TensorInfoIT_T1_EES9_S9_S9_S9_S9_S9_S8_S8_ ; -- Begin function _ZN2at6native12_GLOBAL__N_16kernel16gru_cell_forwardIddiLi2EEEvNS_4cuda6detail10TensorInfoIT_T1_EES9_S9_S9_S9_S9_S9_S8_S8_
	.p2align	8
	.type	_ZN2at6native12_GLOBAL__N_16kernel16gru_cell_forwardIddiLi2EEEvNS_4cuda6detail10TensorInfoIT_T1_EES9_S9_S9_S9_S9_S9_S8_S8_,@function
_ZN2at6native12_GLOBAL__N_16kernel16gru_cell_forwardIddiLi2EEEvNS_4cuda6detail10TensorInfoIT_T1_EES9_S9_S9_S9_S9_S9_S8_S8_: ; @_ZN2at6native12_GLOBAL__N_16kernel16gru_cell_forwardIddiLi2EEEvNS_4cuda6detail10TensorInfoIT_T1_EES9_S9_S9_S9_S9_S9_S8_S8_
; %bb.0:
	s_clause 0x1
	s_load_dword s2, s[4:5], 0x5fc
	s_load_dwordx2 s[8:9], s[4:5], 0x5e8
	s_add_u32 s0, s4, 0x5f0
	s_addc_u32 s1, s5, 0
	s_mov_b32 s3, exec_lo
	s_waitcnt lgkmcnt(0)
	s_and_b32 s2, s2, 0xffff
	v_mad_u64_u32 v[0:1], null, s6, s2, v[0:1]
	v_cmpx_gt_i32_e64 s9, v0
	s_cbranch_execz .LBB33_6
; %bb.1:
	s_clause 0x2
	s_load_dwordx2 s[6:7], s[4:5], 0x1b0
	s_load_dword s33, s[4:5], 0xc
	s_load_dword s66, s[4:5], 0xe4
	;; [unrolled: 1-line block ×3, first 2 shown]
	s_clause 0xf
	s_load_dwordx2 s[10:11], s[4:5], 0x288
	s_load_dword s67, s[4:5], 0x2f4
	s_load_dwordx2 s[12:13], s[4:5], 0x360
	s_load_dword s0, s[4:5], 0x36c
	s_load_dwordx2 s[14:15], s[4:5], 0x0
	s_load_dwordx2 s[16:17], s[4:5], 0x6c
	;; [unrolled: 1-line block ×3, first 2 shown]
	s_load_dword s1, s[4:5], 0x444
	s_load_dword s68, s[4:5], 0x51c
	s_load_dwordx2 s[20:21], s[4:5], 0x144
	s_load_dword s69, s[4:5], 0x21c
	s_load_dwordx2 s[22:23], s[4:5], 0x3cc
	s_load_dwordx2 s[24:25], s[4:5], 0x438
	;; [unrolled: 1-line block ×5, first 2 shown]
	s_mov_b32 s34, 0xfefa39ef
	s_waitcnt lgkmcnt(0)
	s_cmp_lg_u64 s[6:7], 0
	s_mov_b32 s36, 0x3b39803f
	s_cselect_b32 s70, -1, 0
	s_abs_i32 s71, s8
	s_abs_i32 s74, s33
	v_cvt_f32_u32_e32 v1, s71
	v_cvt_f32_u32_e32 v2, s74
	s_abs_i32 s76, s0
	s_abs_i32 s75, s66
	v_cvt_f32_u32_e32 v4, s76
	v_rcp_iflag_f32_e32 v1, v1
	v_rcp_iflag_f32_e32 v2, v2
	s_abs_i32 s77, s1
	s_abs_i32 s78, s68
	v_cvt_f32_u32_e32 v3, s75
	v_cvt_f32_u32_e32 v5, s77
	;; [unrolled: 1-line block ×3, first 2 shown]
	v_rcp_iflag_f32_e32 v4, v4
	s_mul_i32 s72, s72, s2
	v_rcp_iflag_f32_e32 v3, v3
	v_rcp_iflag_f32_e32 v5, v5
	;; [unrolled: 1-line block ×3, first 2 shown]
	v_mul_f32_e32 v1, 0x4f7ffffe, v1
	v_mul_f32_e32 v2, 0x4f7ffffe, v2
	s_sub_i32 s2, 0, s71
	s_sub_i32 s3, 0, s74
	;; [unrolled: 1-line block ×3, first 2 shown]
	v_cvt_u32_f32_e32 v1, v1
	v_cvt_u32_f32_e32 v2, v2
	v_mul_f32_e32 v4, 0x4f7ffffe, v4
	v_mul_f32_e32 v3, 0x4f7ffffe, v3
	;; [unrolled: 1-line block ×4, first 2 shown]
	v_mul_lo_u32 v7, s2, v1
	v_mul_lo_u32 v8, s3, v2
	v_cvt_u32_f32_e32 v4, v4
	v_cvt_u32_f32_e32 v3, v3
	;; [unrolled: 1-line block ×4, first 2 shown]
	s_sub_i32 s2, 0, s76
	s_sub_i32 s3, 0, s77
	v_mul_lo_u32 v10, s2, v4
	s_sub_i32 s2, 0, s78
	v_mul_lo_u32 v9, s30, v3
	v_mul_hi_u32 v7, v1, v7
	v_mul_lo_u32 v11, s3, v5
	v_mul_hi_u32 v8, v2, v8
	v_mul_lo_u32 v12, s2, v6
	s_mov_b32 s30, 0x652b82fe
	s_mov_b32 s38, 0xfca7ab0c
	;; [unrolled: 1-line block ×3, first 2 shown]
	v_mul_hi_u32 v9, v3, v9
	v_add_nc_u32_e32 v27, v1, v7
	v_mul_hi_u32 v1, v4, v10
	v_mul_hi_u32 v7, v5, v11
	v_add_nc_u32_e32 v28, v2, v8
	v_mul_hi_u32 v2, v6, v12
	s_mov_b32 s42, 0x623fde64
	s_mov_b32 s44, 0x7c89e6b0
	v_add_nc_u32_e32 v29, v3, v9
	s_mov_b32 s46, 0x14761f6e
	v_add_nc_u32_e32 v30, v4, v1
	v_add_nc_u32_e32 v31, v5, v7
	s_mov_b32 s48, 0x1852b7b0
	v_add_nc_u32_e32 v32, v6, v2
	s_mov_b32 s50, 0x11122322
	s_mov_b32 s52, 0x555502a1
	;; [unrolled: 1-line block ×6, first 2 shown]
	s_ashr_i32 s73, s8, 31
	s_mov_b32 s79, 0
	s_ashr_i32 s80, s33, 31
	s_ashr_i32 s81, s66, 31
	;; [unrolled: 1-line block ×5, first 2 shown]
	s_lshl_b32 s85, s8, 1
	s_lshl_b32 s86, s8, 2
	s_sub_i32 s87, 0, s8
	s_sub_i32 s88, 0, s0
	;; [unrolled: 1-line block ×3, first 2 shown]
	s_mov_b32 s31, 0xbff71547
	s_mov_b32 s35, 0xbfe62e42
	;; [unrolled: 1-line block ×17, first 2 shown]
	s_branch .LBB33_4
.LBB33_2:                               ;   in Loop: Header=BB33_4 Depth=1
	v_sub_nc_u32_e32 v13, v35, v36
	s_waitcnt vmcnt(0)
	v_mad_u64_u32 v[7:8], null, s87, v37, v[0:1]
	v_mul_lo_u32 v8, s8, v13
	v_add_nc_u32_e32 v14, 2, v13
	v_mul_lo_u32 v13, v7, s69
	v_mul_lo_u32 v7, v7, s67
	v_mad_u64_u32 v[15:16], null, s8, v14, v[0:1]
	v_add3_u32 v16, v8, s8, v0
	v_ashrrev_i32_e32 v14, 31, v13
	v_mul_lo_u32 v21, v16, s69
	v_mul_lo_u32 v23, v15, s69
	v_mul_lo_u32 v25, v16, s67
	v_ashrrev_i32_e32 v8, 31, v7
	v_lshlrev_b64 v[13:14], 3, v[13:14]
	v_mul_lo_u32 v15, v15, s67
	v_lshlrev_b64 v[7:8], 3, v[7:8]
	v_ashrrev_i32_e32 v22, 31, v21
	v_ashrrev_i32_e32 v24, 31, v23
	v_add_co_u32 v13, vcc_lo, s6, v13
	v_ashrrev_i32_e32 v26, 31, v25
	v_lshlrev_b64 v[21:22], 3, v[21:22]
	v_lshlrev_b64 v[23:24], 3, v[23:24]
	v_add_co_ci_u32_e64 v14, null, s7, v14, vcc_lo
	v_ashrrev_i32_e32 v16, 31, v15
	v_lshlrev_b64 v[25:26], 3, v[25:26]
	v_add_co_u32 v21, vcc_lo, s6, v21
	v_add_co_ci_u32_e64 v22, null, s7, v22, vcc_lo
	v_add_co_u32 v23, vcc_lo, s6, v23
	v_add_co_ci_u32_e64 v24, null, s7, v24, vcc_lo
	;; [unrolled: 2-line block ×3, first 2 shown]
	v_lshlrev_b64 v[7:8], 3, v[15:16]
	v_add_co_u32 v15, vcc_lo, s10, v25
	v_add_co_ci_u32_e64 v16, null, s11, v26, vcc_lo
	v_add_co_u32 v40, vcc_lo, s10, v7
	v_add_co_ci_u32_e64 v41, null, s11, v8, vcc_lo
	s_clause 0x2
	global_load_dwordx2 v[25:26], v[13:14], off
	global_load_dwordx2 v[13:14], v[21:22], off
	;; [unrolled: 1-line block ×3, first 2 shown]
	s_clause 0x2
	global_load_dwordx2 v[23:24], v[38:39], off
	global_load_dwordx2 v[15:16], v[15:16], off
	;; [unrolled: 1-line block ×3, first 2 shown]
.LBB33_3:                               ;   in Loop: Header=BB33_4 Depth=1
	s_waitcnt vmcnt(3)
	v_add_f64 v[17:18], v[17:18], v[19:20]
	v_add_f64 v[7:8], v[3:4], v[7:8]
	s_waitcnt vmcnt(0)
	v_add_f64 v[3:4], v[5:6], v[21:22]
	s_mov_b32 s58, s30
	s_mov_b32 s61, s35
	v_add_f64 v[9:10], v[9:10], v[11:12]
	v_mul_lo_u32 v37, s86, v37
	v_lshlrev_b32_e32 v36, 2, v36
	v_lshlrev_b32_e32 v35, 2, v35
	v_mul_hi_u32 v50, v33, v31
	v_sub_nc_u32_e32 v35, v36, v35
	v_xor_b32_e32 v36, s83, v34
	v_add_nc_u32_e32 v34, v0, v37
	v_mul_lo_u32 v51, v50, s77
	v_or_b32_e32 v53, 1, v35
	v_add_nc_u32_e32 v52, 1, v50
	v_add_f64 v[17:18], v[17:18], v[25:26]
	v_sub_nc_u32_e32 v33, v33, v51
	v_add_f64 v[9:10], v[9:10], v[13:14]
	v_add_f64 v[17:18], v[23:24], v[17:18]
	;; [unrolled: 1-line block ×3, first 2 shown]
	v_mul_f64 v[19:20], v[17:18], s[30:31]
	v_cmp_nlt_f64_e64 s0, 0x4090cc00, v[17:18]
	v_rndne_f64_e32 v[19:20], v[19:20]
	v_fma_f64 v[23:24], v[19:20], s[34:35], -v[17:18]
	v_cvt_i32_f64_e32 v38, v[19:20]
	v_fma_f64 v[23:24], v[19:20], s[36:37], v[23:24]
	v_fma_f64 v[25:26], v[23:24], s[40:41], s[38:39]
	;; [unrolled: 1-line block ×10, first 2 shown]
	v_fma_f64 v[25:26], v[23:24], v[25:26], 1.0
	v_fma_f64 v[19:20], v[23:24], v[25:26], 1.0
	v_ldexp_f64 v[19:20], v[19:20], v38
	v_add_f64 v[19:20], v[19:20], 1.0
	v_div_scale_f64 v[23:24], null, v[19:20], v[19:20], 1.0
	v_div_scale_f64 v[40:41], vcc_lo, 1.0, v[19:20], 1.0
	v_rcp_f64_e32 v[25:26], v[23:24]
	v_fma_f64 v[38:39], -v[23:24], v[25:26], 1.0
	v_fma_f64 v[25:26], v[25:26], v[38:39], v[25:26]
	v_fma_f64 v[38:39], -v[23:24], v[25:26], 1.0
	v_fma_f64 v[25:26], v[25:26], v[38:39], v[25:26]
	v_mul_f64 v[38:39], v[40:41], v[25:26]
	v_fma_f64 v[23:24], -v[23:24], v[38:39], v[40:41]
	v_div_fmas_f64 v[23:24], v[23:24], v[25:26], v[38:39]
	v_cmp_ngt_f64_e32 vcc_lo, 0xc0900000, v[17:18]
	v_div_fixup_f64 v[19:20], v[23:24], v[19:20], 1.0
	v_cndmask_b32_e32 v20, 0, v20, vcc_lo
	s_and_b32 vcc_lo, s0, vcc_lo
	v_cndmask_b32_e32 v5, 0, v19, vcc_lo
	v_cmp_le_u32_e32 vcc_lo, s77, v33
	v_cndmask_b32_e64 v6, 0x3ff00000, v20, s0
	v_fma_f64 v[7:8], v[3:4], v[5:6], v[7:8]
	v_mul_f64 v[17:18], |v[7:8]|, s[58:59]
	v_rndne_f64_e32 v[17:18], v[17:18]
	v_fma_f64 v[19:20], v[17:18], s[60:61], |v[7:8]|
	v_mul_f64 v[21:22], v[17:18], s[62:63]
	v_add_f64 v[23:24], v[19:20], 0
	v_add_f64 v[25:26], v[23:24], v[21:22]
	v_add_f64 v[19:20], v[19:20], -v[23:24]
	v_add_f64 v[23:24], v[23:24], -v[25:26]
	v_add_f64 v[19:20], v[19:20], 0
	v_add_f64 v[21:22], v[23:24], v[21:22]
	;; [unrolled: 1-line block ×3, first 2 shown]
	v_mul_f64 v[21:22], v[17:18], s[64:65]
	v_add_f64 v[23:24], v[25:26], v[19:20]
	v_add_f64 v[38:39], v[23:24], v[21:22]
	v_add_f64 v[25:26], v[25:26], -v[23:24]
	v_add_f64 v[23:24], v[23:24], -v[38:39]
	v_add_f64 v[19:20], v[19:20], v[25:26]
	v_add_f64 v[21:22], v[23:24], v[21:22]
	;; [unrolled: 1-line block ×4, first 2 shown]
	v_fma_f64 v[23:24], v[21:22], s[40:41], s[38:39]
	v_add_f64 v[25:26], v[38:39], -v[21:22]
	v_mul_f64 v[38:39], v[21:22], v[21:22]
	v_fma_f64 v[23:24], v[21:22], v[23:24], s[42:43]
	v_add_f64 v[19:20], v[19:20], v[25:26]
	v_fma_f64 v[25:26], v[21:22], v[21:22], -v[38:39]
	v_fma_f64 v[23:24], v[21:22], v[23:24], s[44:45]
	v_add_f64 v[40:41], v[19:20], v[19:20]
	v_fma_f64 v[23:24], v[21:22], v[23:24], s[46:47]
	v_fma_f64 v[25:26], v[21:22], v[40:41], v[25:26]
	;; [unrolled: 1-line block ×3, first 2 shown]
	v_add_f64 v[40:41], v[38:39], v[25:26]
	v_fma_f64 v[23:24], v[21:22], v[23:24], s[50:51]
	v_add_f64 v[38:39], v[40:41], -v[38:39]
	v_fma_f64 v[23:24], v[21:22], v[23:24], s[52:53]
	v_add_f64 v[25:26], v[25:26], -v[38:39]
	v_fma_f64 v[23:24], v[21:22], v[23:24], s[54:55]
	v_fma_f64 v[23:24], v[21:22], v[23:24], s[56:57]
	v_mul_f64 v[42:43], v[40:41], v[23:24]
	v_fma_f64 v[38:39], v[40:41], v[23:24], -v[42:43]
	v_fma_f64 v[23:24], v[25:26], v[23:24], v[38:39]
	v_add_f64 v[25:26], v[42:43], v[23:24]
	v_add_f64 v[38:39], v[21:22], v[25:26]
	v_add_f64 v[40:41], v[25:26], -v[42:43]
	v_add_f64 v[21:22], v[38:39], -v[21:22]
	;; [unrolled: 1-line block ×3, first 2 shown]
	v_cvt_i32_f64_e32 v40, v[17:18]
	v_add_f64 v[21:22], v[25:26], -v[21:22]
	v_add_f64 v[19:20], v[19:20], v[23:24]
	v_add_f64 v[19:20], v[19:20], v[21:22]
	;; [unrolled: 1-line block ×3, first 2 shown]
	v_add_f64 v[23:24], v[21:22], 1.0
	v_add_f64 v[25:26], v[21:22], -v[38:39]
	v_add_f64 v[38:39], v[23:24], -1.0
	v_add_f64 v[19:20], v[19:20], -v[25:26]
	v_add_f64 v[21:22], v[21:22], -v[38:39]
	v_add_f64 v[19:20], v[19:20], v[21:22]
	v_add_f64 v[17:18], v[23:24], v[19:20]
	v_ldexp_f64 v[21:22], v[17:18], v40
	v_add_f64 v[17:18], v[17:18], -v[23:24]
	v_rcp_f64_e32 v[25:26], v[21:22]
	v_add_f64 v[17:18], v[19:20], -v[17:18]
	v_ldexp_f64 v[17:18], v[17:18], v40
	v_fma_f64 v[38:39], -v[21:22], v[25:26], 1.0
	v_fma_f64 v[25:26], v[38:39], v[25:26], v[25:26]
	v_fma_f64 v[38:39], -v[21:22], v[25:26], 1.0
	v_fma_f64 v[23:24], v[38:39], v[25:26], v[25:26]
	v_mul_f64 v[19:20], v[21:22], v[23:24]
	v_fma_f64 v[25:26], v[23:24], v[21:22], -v[19:20]
	v_fma_f64 v[25:26], v[23:24], v[17:18], v[25:26]
	v_add_f64 v[38:39], v[19:20], v[25:26]
	v_add_f64 v[40:41], -v[38:39], 1.0
	v_add_f64 v[19:20], v[38:39], -v[19:20]
	v_add_f64 v[42:43], -v[40:41], 1.0
	v_add_f64 v[19:20], v[19:20], -v[25:26]
	v_add_f64 v[25:26], v[42:43], -v[38:39]
	v_add_f64 v[19:20], v[19:20], v[25:26]
	v_add_f64 v[25:26], v[40:41], v[19:20]
	v_mul_f64 v[38:39], v[23:24], v[25:26]
	v_add_f64 v[40:41], v[40:41], -v[25:26]
	v_mul_f64 v[42:43], v[21:22], v[38:39]
	v_add_f64 v[19:20], v[19:20], v[40:41]
	v_add_f64 v[11:12], v[23:24], v[38:39]
	v_fma_f64 v[44:45], v[38:39], v[21:22], -v[42:43]
	v_add_f64 v[13:14], v[11:12], -v[23:24]
	v_fma_f64 v[44:45], v[38:39], v[17:18], v[44:45]
	v_add_f64 v[13:14], v[38:39], -v[13:14]
	v_add_f64 v[46:47], v[42:43], v[44:45]
	v_add_f64 v[48:49], v[25:26], -v[46:47]
	v_add_f64 v[40:41], v[46:47], -v[42:43]
	v_add_f64 v[25:26], v[25:26], -v[48:49]
	v_add_f64 v[40:41], v[40:41], -v[44:45]
	v_add_f64 v[25:26], v[25:26], -v[46:47]
	v_add_f64 v[19:20], v[19:20], v[25:26]
	v_add_f64 v[19:20], v[40:41], v[19:20]
	;; [unrolled: 1-line block ×3, first 2 shown]
	v_mul_f64 v[15:16], v[23:24], v[19:20]
	v_mul_f64 v[19:20], v[9:10], s[30:31]
	v_add_f64 v[13:14], v[13:14], v[15:16]
	v_rndne_f64_e32 v[15:16], v[19:20]
	v_add_f64 v[19:20], v[11:12], v[13:14]
	v_fma_f64 v[23:24], v[15:16], s[34:35], -v[9:10]
	v_cvt_i32_f64_e32 v46, v[15:16]
	v_add_f64 v[25:26], v[21:22], v[19:20]
	v_add_f64 v[11:12], v[19:20], -v[11:12]
	v_fma_f64 v[23:24], v[15:16], s[36:37], v[23:24]
	v_add_f64 v[42:43], v[21:22], -v[19:20]
	v_add_f64 v[38:39], v[25:26], -v[21:22]
	;; [unrolled: 1-line block ×3, first 2 shown]
	v_fma_f64 v[13:14], v[23:24], s[40:41], s[38:39]
	v_add_f64 v[21:22], v[21:22], -v[42:43]
	v_add_f64 v[38:39], v[19:20], -v[38:39]
	v_add_f64 v[40:41], v[17:18], v[11:12]
	v_fma_f64 v[13:14], v[23:24], v[13:14], s[42:43]
	v_add_f64 v[19:20], v[21:22], -v[19:20]
	v_add_f64 v[38:39], v[40:41], v[38:39]
	v_fma_f64 v[13:14], v[23:24], v[13:14], s[44:45]
	v_add_f64 v[17:18], v[17:18], v[19:20]
	v_add_f64 v[40:41], v[25:26], v[38:39]
	v_fma_f64 v[13:14], v[23:24], v[13:14], s[46:47]
	v_add_f64 v[11:12], v[17:18], -v[11:12]
	v_rcp_f64_e32 v[44:45], v[40:41]
	v_fma_f64 v[13:14], v[23:24], v[13:14], s[48:49]
	v_add_f64 v[25:26], v[40:41], -v[25:26]
	v_fma_f64 v[13:14], v[23:24], v[13:14], s[50:51]
	v_fma_f64 v[21:22], -v[40:41], v[44:45], 1.0
	v_add_f64 v[15:16], v[38:39], -v[25:26]
	v_fma_f64 v[13:14], v[23:24], v[13:14], s[52:53]
	v_fma_f64 v[19:20], v[21:22], v[44:45], v[44:45]
	v_add_f64 v[21:22], v[42:43], v[11:12]
	v_fma_f64 v[13:14], v[23:24], v[13:14], s[54:55]
	v_fma_f64 v[17:18], -v[40:41], v[19:20], 1.0
	v_fma_f64 v[13:14], v[23:24], v[13:14], s[56:57]
	v_fma_f64 v[17:18], v[17:18], v[19:20], v[19:20]
	v_fma_f64 v[13:14], v[23:24], v[13:14], 1.0
	v_mul_f64 v[19:20], v[21:22], v[17:18]
	v_fma_f64 v[13:14], v[23:24], v[13:14], 1.0
	v_mul_f64 v[44:45], v[40:41], v[19:20]
	v_ldexp_f64 v[13:14], v[13:14], v46
	v_fma_f64 v[23:24], v[19:20], v[40:41], -v[44:45]
	v_add_f64 v[13:14], v[13:14], 1.0
	v_fma_f64 v[15:16], v[19:20], v[15:16], v[23:24]
	v_div_scale_f64 v[25:26], null, v[13:14], v[13:14], 1.0
	v_add_f64 v[23:24], v[44:45], v[15:16]
	v_rcp_f64_e32 v[40:41], v[25:26]
	v_add_f64 v[38:39], v[21:22], -v[23:24]
	v_add_f64 v[44:45], v[23:24], -v[44:45]
	;; [unrolled: 1-line block ×3, first 2 shown]
	v_fma_f64 v[48:49], -v[25:26], v[40:41], 1.0
	v_add_f64 v[21:22], v[21:22], -v[42:43]
	v_add_f64 v[15:16], v[15:16], -v[44:45]
	v_or_b32_e32 v42, 2, v35
	v_or_b32_e32 v43, 3, v35
	v_add_nc_u32_e32 v44, 4, v35
	v_ashrrev_i32_e32 v45, 31, v34
	v_add_f64 v[23:24], v[46:47], -v[23:24]
	v_fma_f64 v[34:35], v[40:41], v[48:49], v[40:41]
	v_add_f64 v[11:12], v[11:12], -v[21:22]
	v_mul_lo_u32 v41, s8, v43
	v_add3_u32 v43, v45, v37, v0
	v_subrev_nc_u32_e32 v48, s77, v33
	v_cndmask_b32_e32 v47, v50, v52, vcc_lo
	v_mul_lo_u32 v46, s8, v53
	v_mul_lo_u32 v40, s8, v42
	v_xor_b32_e32 v43, v43, v45
	v_mul_lo_u32 v42, s8, v44
	v_xor_b32_e32 v44, s84, v45
	v_add_nc_u32_e32 v50, v0, v41
	v_add_nc_u32_e32 v45, v0, v46
	;; [unrolled: 1-line block ×4, first 2 shown]
	v_ashrrev_i32_e32 v45, 31, v45
	v_add_f64 v[15:16], v[23:24], -v[15:16]
	v_fma_f64 v[21:22], -v[25:26], v[34:35], 1.0
	v_cndmask_b32_e32 v23, v33, v48, vcc_lo
	v_mul_hi_u32 v33, v43, v32
	v_add_nc_u32_e32 v24, 1, v47
	v_ashrrev_i32_e32 v48, 31, v49
	v_ashrrev_i32_e32 v49, 31, v50
	v_cmp_le_u32_e32 vcc_lo, s77, v23
	v_ashrrev_i32_e32 v50, 31, v51
	v_add3_u32 v52, v48, v40, v0
	v_mul_lo_u32 v57, v33, s78
	v_cndmask_b32_e32 v23, v47, v24, vcc_lo
	v_add3_u32 v24, v45, v46, v0
	v_add_nc_u32_e32 v58, 1, v33
	v_xor_b32_e32 v47, s84, v45
	v_xor_b32_e32 v51, s84, v48
	;; [unrolled: 1-line block ×4, first 2 shown]
	v_add3_u32 v54, v49, v41, v0
	v_xor_b32_e32 v48, v52, v48
	v_xor_b32_e32 v53, s84, v49
	v_add_f64 v[11:12], v[11:12], v[15:16]
	v_div_scale_f64 v[15:16], vcc_lo, 1.0, v[13:14], 1.0
	v_fma_f64 v[21:22], v[34:35], v[21:22], v[34:35]
	v_sub_nc_u32_e32 v34, v43, v57
	v_sub_nc_u32_e32 v36, v23, v36
	v_add3_u32 v56, v50, v42, v0
	v_xor_b32_e32 v49, v54, v49
	v_mul_hi_u32 v52, v48, v32
	v_cmp_le_u32_e64 s0, s78, v34
	v_mad_u64_u32 v[23:24], null, s89, v36, v[0:1]
	v_xor_b32_e32 v55, s84, v50
	v_xor_b32_e32 v35, v56, v50
	v_cndmask_b32_e64 v24, v33, v58, s0
	v_subrev_nc_u32_e32 v33, s78, v34
	v_mul_hi_u32 v50, v45, v32
	v_mul_hi_u32 v43, v49, v32
	v_mul_lo_u32 v58, v52, s78
	v_mul_hi_u32 v54, v35, v32
	v_add_nc_u32_e32 v61, 1, v24
	v_mul_lo_u32 v23, v23, s27
	v_add_f64 v[11:12], v[38:39], v[11:12]
	v_cndmask_b32_e64 v39, v34, v33, s0
	v_mul_lo_u32 v56, v50, s78
	v_mul_f64 v[33:34], v[15:16], v[21:22]
	v_mul_lo_u32 v59, v43, s78
	v_sub_nc_u32_e32 v48, v48, v58
	v_mul_lo_u32 v60, v54, s78
	v_add_nc_u32_e32 v38, 1, v52
	v_cmp_le_u32_e64 s0, s78, v39
	v_add_nc_u32_e32 v57, 1, v50
	v_sub_nc_u32_e32 v45, v45, v56
	v_cmp_le_u32_e64 s1, s78, v48
	v_sub_nc_u32_e32 v49, v49, v59
	v_add_nc_u32_e32 v39, 1, v43
	v_cndmask_b32_e64 v61, v24, v61, s0
	v_sub_nc_u32_e32 v35, v35, v60
	v_cmp_le_u32_e64 s0, s78, v45
	v_cmp_le_u32_e64 s2, s78, v49
	v_mad_u64_u32 v[23:24], null, v36, s26, v[23:24]
	v_add_nc_u32_e32 v62, 1, v54
	v_xor_b32_e32 v24, v61, v44
	v_mul_f64 v[11:12], v[17:18], v[11:12]
	v_subrev_nc_u32_e32 v18, s78, v48
	v_cndmask_b32_e64 v17, v52, v38, s1
	v_fma_f64 v[15:16], -v[25:26], v[33:34], v[15:16]
	v_subrev_nc_u32_e32 v25, s78, v49
	v_cndmask_b32_e64 v36, v50, v57, s0
	v_cndmask_b32_e64 v18, v48, v18, s1
	v_subrev_nc_u32_e32 v50, s78, v45
	v_cndmask_b32_e64 v38, v43, v39, s2
	v_cmp_le_u32_e64 s3, s78, v35
	v_subrev_nc_u32_e32 v39, s78, v35
	v_add_nc_u32_e32 v48, 1, v17
	v_cndmask_b32_e64 v25, v49, v25, s2
	v_sub_nc_u32_e32 v43, v24, v44
	v_cndmask_b32_e64 v26, v54, v62, s3
	v_cndmask_b32_e64 v44, v45, v50, s0
	v_add_nc_u32_e32 v49, 1, v38
	v_cndmask_b32_e64 v35, v35, v39, s3
	v_add_nc_u32_e32 v45, 1, v36
	v_add_nc_u32_e32 v39, 1, v26
	v_cmp_le_u32_e64 s1, s78, v44
	v_cmp_nlt_f64_e64 s0, 0x40331000, |v[7:8]|
	v_add_f64 v[11:12], v[19:20], v[11:12]
	v_mul_lo_u32 v50, v43, s68
	v_ashrrev_i32_e32 v24, 31, v23
	v_div_fmas_f64 v[15:16], v[15:16], v[21:22], v[33:34]
	v_cmp_le_u32_e32 vcc_lo, s78, v18
	v_cndmask_b32_e64 v19, v36, v45, s1
	v_cndmask_b32_e32 v20, v17, v48, vcc_lo
	v_cmp_le_u32_e32 vcc_lo, s78, v25
	v_xor_b32_e32 v19, v19, v47
	v_lshlrev_b64 v[17:18], 3, v[23:24]
	v_sub_nc_u32_e32 v23, v37, v50
	v_xor_b32_e32 v20, v20, v51
	v_cndmask_b32_e32 v21, v38, v49, vcc_lo
	v_cmp_le_u32_e32 vcc_lo, s78, v35
	v_sub_nc_u32_e32 v24, v19, v47
	v_sub_nc_u32_e32 v25, v20, v51
	v_xor_b32_e32 v21, v21, v53
	v_cndmask_b32_e32 v22, v26, v39, vcc_lo
	v_cmp_gt_f64_e64 vcc_lo, 0x3e400000, |v[7:8]|
	v_cndmask_b32_e64 v19, 0x3ff00000, v12, s0
	v_cndmask_b32_e64 v20, 0, v11, s0
	v_sub_nc_u32_e32 v26, v21, v53
	v_xor_b32_e32 v22, v22, v55
	v_add_nc_u32_e32 v21, v0, v23
	v_div_fixup_f64 v[11:12], v[15:16], v[13:14], 1.0
	v_mul_lo_u32 v16, v25, s68
	v_mul_lo_u32 v23, v26, s68
	v_sub_nc_u32_e32 v33, v22, v55
	v_mul_lo_u32 v22, v24, s68
	v_mul_lo_u32 v13, v21, s5
	v_add_co_u32 v14, s0, s24, v17
	v_mul_lo_u32 v34, v33, s68
	v_add_co_ci_u32_e64 v15, null, s25, v18, s0
	v_sub_nc_u32_e32 v21, v40, v16
	v_sub_nc_u32_e32 v18, v46, v22
	;; [unrolled: 1-line block ×3, first 2 shown]
	v_mad_u64_u32 v[16:17], null, v43, s4, v[13:14]
	v_sub_nc_u32_e32 v23, v42, v34
	v_and_b32_e32 v34, 0x7fffffff, v8
	v_add_nc_u32_e32 v13, v0, v18
	v_cndmask_b32_e32 v7, v20, v7, vcc_lo
	v_cmp_nlt_f64_e64 s0, 0x4090cc00, v[9:10]
	v_add_nc_u32_e32 v17, v0, v21
	v_cndmask_b32_e32 v18, v19, v34, vcc_lo
	v_cmp_ngt_f64_e32 vcc_lo, 0xc0900000, v[9:10]
	v_mul_lo_u32 v9, v13, s5
	v_add_nc_u32_e32 v19, v0, v22
	v_mul_lo_u32 v10, v17, s5
	v_bfi_b32 v8, 0x7fffffff, v18, v8
	v_add_nc_u32_e32 v20, v0, v23
	v_ashrrev_i32_e32 v17, 31, v16
	v_mul_lo_u32 v18, v19, s5
	v_add_nc_u32_e32 v0, s72, v0
	v_mul_lo_u32 v19, v20, s5
	v_mad_u64_u32 v[20:21], null, v24, s4, v[9:10]
	v_mad_u64_u32 v[9:10], null, v25, s4, v[10:11]
	v_lshlrev_b64 v[16:17], 3, v[16:17]
	v_cmp_le_i32_e64 s1, s9, v0
	v_mad_u64_u32 v[22:23], null, v26, s4, v[18:19]
	v_mad_u64_u32 v[18:19], null, v33, s4, v[19:20]
	v_cndmask_b32_e32 v34, 0, v12, vcc_lo
	v_add_f64 v[12:13], v[1:2], -v[7:8]
	s_and_b32 vcc_lo, s0, vcc_lo
	v_ashrrev_i32_e32 v21, 31, v20
	v_cndmask_b32_e32 v24, 0, v11, vcc_lo
	v_cndmask_b32_e64 v25, 0x3ff00000, v34, s0
	v_ashrrev_i32_e32 v10, 31, v9
	v_ashrrev_i32_e32 v23, 31, v22
	v_lshlrev_b64 v[20:21], 3, v[20:21]
	v_ashrrev_i32_e32 v19, 31, v18
	v_add_co_u32 v16, vcc_lo, s28, v16
	v_lshlrev_b64 v[9:10], 3, v[9:10]
	v_lshlrev_b64 v[22:23], 3, v[22:23]
	v_add_co_ci_u32_e64 v17, null, s29, v17, vcc_lo
	v_lshlrev_b64 v[18:19], 3, v[18:19]
	v_add_co_u32 v20, vcc_lo, s28, v20
	v_add_co_ci_u32_e64 v21, null, s29, v21, vcc_lo
	v_add_co_u32 v9, vcc_lo, s28, v9
	v_fma_f64 v[11:12], v[24:25], v[12:13], v[7:8]
	v_add_co_ci_u32_e64 v10, null, s29, v10, vcc_lo
	v_add_co_u32 v22, vcc_lo, s28, v22
	v_add_co_ci_u32_e64 v23, null, s29, v23, vcc_lo
	v_add_co_u32 v18, vcc_lo, s28, v18
	s_or_b32 s79, s1, s79
	v_add_co_ci_u32_e64 v19, null, s29, v19, vcc_lo
	global_store_dwordx2 v[14:15], v[11:12], off
	global_store_dwordx2 v[16:17], v[5:6], off
	global_store_dwordx2 v[20:21], v[24:25], off
	global_store_dwordx2 v[9:10], v[7:8], off
	global_store_dwordx2 v[22:23], v[1:2], off
	global_store_dwordx2 v[18:19], v[3:4], off
	s_andn2_b32 exec_lo, exec_lo, s79
	s_cbranch_execz .LBB33_6
.LBB33_4:                               ; =>This Inner Loop Header: Depth=1
	v_sub_nc_u32_e32 v1, 0, v0
	v_ashrrev_i32_e32 v34, 31, v0
	v_max_i32_e32 v33, v0, v1
	v_xor_b32_e32 v35, s73, v34
	v_xor_b32_e32 v8, s82, v34
	v_mul_hi_u32 v1, v33, v27
	v_mul_lo_u32 v2, v1, s71
	v_add_nc_u32_e32 v3, 1, v1
	v_sub_nc_u32_e32 v2, v33, v2
	v_subrev_nc_u32_e32 v4, s71, v2
	v_cmp_le_u32_e32 vcc_lo, s71, v2
	v_cndmask_b32_e32 v1, v1, v3, vcc_lo
	v_cndmask_b32_e32 v2, v2, v4, vcc_lo
	v_mul_hi_u32 v3, v33, v30
	v_add_nc_u32_e32 v4, 1, v1
	v_cmp_le_u32_e32 vcc_lo, s71, v2
	v_mul_lo_u32 v2, v3, s76
	v_cndmask_b32_e32 v1, v1, v4, vcc_lo
	v_add_nc_u32_e32 v5, 1, v3
	v_xor_b32_e32 v36, v1, v35
	v_lshlrev_b32_e32 v1, 1, v35
	v_sub_nc_u32_e32 v2, v33, v2
	v_sub_nc_u32_e32 v37, v36, v35
	v_lshlrev_b32_e32 v4, 1, v36
	v_cmp_le_u32_e32 vcc_lo, s76, v2
	v_subrev_nc_u32_e32 v6, s76, v2
	v_mul_lo_u32 v7, s85, v37
	v_sub_nc_u32_e32 v1, v4, v1
	v_cndmask_b32_e32 v3, v3, v5, vcc_lo
	v_cndmask_b32_e32 v2, v2, v6, vcc_lo
	v_or_b32_e32 v4, 1, v1
	v_add_nc_u32_e32 v1, 2, v1
	v_add_nc_u32_e32 v5, v0, v7
	;; [unrolled: 1-line block ×3, first 2 shown]
	v_cmp_le_u32_e32 vcc_lo, s76, v2
	v_mul_lo_u32 v4, s8, v4
	v_mul_lo_u32 v9, s8, v1
	v_ashrrev_i32_e32 v5, 31, v5
	v_cndmask_b32_e32 v1, v3, v6, vcc_lo
	v_add3_u32 v2, v5, v7, v0
	v_add_nc_u32_e32 v3, v0, v4
	v_add_nc_u32_e32 v6, v0, v9
	v_xor_b32_e32 v10, s80, v5
	v_xor_b32_e32 v1, v1, v8
	;; [unrolled: 1-line block ×3, first 2 shown]
	v_ashrrev_i32_e32 v3, 31, v3
	v_ashrrev_i32_e32 v6, 31, v6
	v_xor_b32_e32 v5, s81, v5
	v_mul_hi_u32 v11, v2, v28
	v_add3_u32 v13, v3, v4, v0
	v_add3_u32 v15, v6, v9, v0
	v_mul_hi_u32 v14, v2, v29
	v_xor_b32_e32 v12, s80, v3
	v_xor_b32_e32 v16, s80, v6
	;; [unrolled: 1-line block ×6, first 2 shown]
	v_mul_lo_u32 v15, v11, s74
	v_mul_lo_u32 v18, v14, s75
	v_mul_hi_u32 v19, v3, v28
	v_add_nc_u32_e32 v20, 1, v11
	v_mul_hi_u32 v21, v6, v28
	v_add_nc_u32_e32 v22, 1, v14
	v_mul_hi_u32 v23, v3, v29
	v_mul_hi_u32 v24, v6, v29
	v_sub_nc_u32_e32 v15, v2, v15
	v_sub_nc_u32_e32 v2, v2, v18
	v_mul_lo_u32 v18, v19, s74
	v_add_nc_u32_e32 v25, 1, v19
	v_mul_lo_u32 v26, v21, s74
	v_subrev_nc_u32_e32 v43, s74, v15
	v_cmp_le_u32_e32 vcc_lo, s74, v15
	v_cmp_le_u32_e64 s0, s75, v2
	v_mul_lo_u32 v39, v23, s75
	v_mul_lo_u32 v41, v24, s75
	v_sub_nc_u32_e32 v18, v3, v18
	v_cndmask_b32_e32 v11, v11, v20, vcc_lo
	v_cndmask_b32_e32 v15, v15, v43, vcc_lo
	v_cndmask_b32_e64 v14, v14, v22, s0
	v_subrev_nc_u32_e32 v20, s75, v2
	v_sub_nc_u32_e32 v26, v6, v26
	v_add_nc_u32_e32 v22, 1, v11
	v_cmp_le_u32_e32 vcc_lo, s74, v15
	v_add_nc_u32_e32 v38, 1, v21
	v_cndmask_b32_e64 v2, v2, v20, s0
	v_add_nc_u32_e32 v20, 1, v14
	v_sub_nc_u32_e32 v3, v3, v39
	v_cndmask_b32_e32 v11, v11, v22, vcc_lo
	v_cmp_le_u32_e32 vcc_lo, s74, v18
	v_sub_nc_u32_e32 v6, v6, v41
	v_cmp_le_u32_e64 s0, s74, v26
	v_subrev_nc_u32_e32 v22, s74, v26
	v_cmp_le_u32_e64 s1, s75, v2
	v_cndmask_b32_e32 v15, v19, v25, vcc_lo
	v_subrev_nc_u32_e32 v19, s74, v18
	v_add_nc_u32_e32 v40, 1, v23
	v_add_nc_u32_e32 v42, 1, v24
	v_cndmask_b32_e64 v21, v21, v38, s0
	v_cndmask_b32_e64 v2, v14, v20, s1
	v_cndmask_b32_e32 v18, v18, v19, vcc_lo
	v_cmp_le_u32_e64 s1, s75, v3
	v_subrev_nc_u32_e32 v20, s75, v3
	v_cmp_le_u32_e64 s2, s75, v6
	v_xor_b32_e32 v11, v11, v10
	v_add_nc_u32_e32 v19, 1, v15
	v_cndmask_b32_e64 v22, v26, v22, s0
	v_cmp_le_u32_e32 vcc_lo, s74, v18
	v_cndmask_b32_e64 v14, v23, v40, s1
	v_cndmask_b32_e64 v23, v24, v42, s2
	v_subrev_nc_u32_e32 v24, s75, v6
	v_add_nc_u32_e32 v25, 1, v21
	v_cndmask_b32_e64 v3, v3, v20, s1
	v_sub_nc_u32_e32 v10, v11, v10
	v_cndmask_b32_e32 v11, v15, v19, vcc_lo
	v_cmp_le_u32_e32 vcc_lo, s74, v22
	v_xor_b32_e32 v2, v2, v5
	v_add_nc_u32_e32 v20, 1, v14
	v_cndmask_b32_e64 v6, v6, v24, s2
	v_add_nc_u32_e32 v24, 1, v23
	v_cndmask_b32_e32 v15, v21, v25, vcc_lo
	v_cmp_le_u32_e32 vcc_lo, s75, v3
	v_sub_nc_u32_e32 v18, v2, v5
	v_xor_b32_e32 v5, v11, v12
	v_xor_b32_e32 v11, v15, v16
	v_cndmask_b32_e32 v2, v14, v20, vcc_lo
	v_cmp_le_u32_e32 vcc_lo, s75, v6
	v_sub_nc_u32_e32 v12, v5, v12
	v_mul_lo_u32 v6, v10, s33
	v_mul_lo_u32 v14, v18, s66
	v_xor_b32_e32 v2, v2, v17
	v_cndmask_b32_e32 v3, v23, v24, vcc_lo
	v_mul_lo_u32 v5, v12, s33
	v_sub_nc_u32_e32 v11, v11, v16
	v_sub_nc_u32_e32 v15, v2, v17
	v_xor_b32_e32 v3, v3, v13
	v_sub_nc_u32_e32 v2, v7, v6
	v_mul_lo_u32 v6, v11, s33
	v_sub_nc_u32_e32 v17, v1, v8
	v_sub_nc_u32_e32 v5, v4, v5
	;; [unrolled: 1-line block ×4, first 2 shown]
	v_mul_lo_u32 v7, v15, s66
	v_add_nc_u32_e32 v2, v0, v2
	v_add_nc_u32_e32 v5, v0, v5
	v_mul_lo_u32 v8, v16, s66
	v_add_nc_u32_e32 v3, v0, v3
	v_sub_nc_u32_e32 v6, v9, v6
	v_mul_lo_u32 v1, v2, s17
	v_sub_nc_u32_e32 v4, v4, v7
	v_mul_lo_u32 v2, v3, s21
	v_mul_lo_u32 v3, v5, s17
	v_sub_nc_u32_e32 v7, v9, v8
	v_add_nc_u32_e32 v6, v0, v6
	v_add_nc_u32_e32 v8, v0, v4
	;; [unrolled: 1-line block ×3, first 2 shown]
	v_mad_u64_u32 v[4:5], null, v10, s16, v[1:2]
	v_mul_lo_u32 v1, v6, s17
	v_mad_u64_u32 v[6:7], null, v18, s20, v[2:3]
	v_mul_lo_u32 v2, v8, s21
	v_ashrrev_i32_e32 v5, 31, v4
	v_mad_u64_u32 v[8:9], null, v12, s16, v[3:4]
	v_mad_u64_u32 v[12:13], null, s88, v17, v[0:1]
	v_mad_u64_u32 v[10:11], null, v11, s16, v[1:2]
	v_lshlrev_b64 v[3:4], 3, v[4:5]
	v_mul_lo_u32 v1, v14, s21
	v_ashrrev_i32_e32 v9, 31, v8
	v_ashrrev_i32_e32 v7, 31, v6
	v_mad_u64_u32 v[13:14], null, v15, s20, v[2:3]
	v_ashrrev_i32_e32 v11, 31, v10
	v_add_co_u32 v2, vcc_lo, s14, v3
	v_add_co_ci_u32_e64 v3, null, s15, v4, vcc_lo
	v_lshlrev_b64 v[4:5], 3, v[10:11]
	v_mul_lo_u32 v10, v12, s23
	v_mad_u64_u32 v[11:12], null, v16, s20, v[1:2]
	v_lshlrev_b64 v[8:9], 3, v[8:9]
	v_ashrrev_i32_e32 v14, 31, v13
	v_lshlrev_b64 v[6:7], 3, v[6:7]
	v_mad_u64_u32 v[15:16], null, v17, s22, v[10:11]
	v_add_co_u32 v8, vcc_lo, s14, v8
	v_lshlrev_b64 v[13:14], 3, v[13:14]
	v_ashrrev_i32_e32 v12, 31, v11
	v_add_co_ci_u32_e64 v9, null, s15, v9, vcc_lo
	v_add_co_u32 v4, vcc_lo, s14, v4
	v_ashrrev_i32_e32 v16, 31, v15
	v_add_co_ci_u32_e64 v5, null, s15, v5, vcc_lo
	v_add_co_u32 v6, vcc_lo, s18, v6
	v_add_co_ci_u32_e64 v7, null, s19, v7, vcc_lo
	v_lshlrev_b64 v[10:11], 3, v[11:12]
	v_add_co_u32 v12, vcc_lo, s18, v13
	v_add_co_ci_u32_e64 v13, null, s19, v14, vcc_lo
	v_lshlrev_b64 v[14:15], 3, v[15:16]
	v_add_co_u32 v21, vcc_lo, s18, v10
	v_add_co_ci_u32_e64 v22, null, s19, v11, vcc_lo
	v_add_co_u32 v14, vcc_lo, s12, v14
	v_add_co_ci_u32_e64 v15, null, s13, v15, vcc_lo
	s_clause 0x2
	global_load_dwordx2 v[17:18], v[2:3], off
	global_load_dwordx2 v[9:10], v[8:9], off
	;; [unrolled: 1-line block ×3, first 2 shown]
	s_clause 0x2
	global_load_dwordx2 v[19:20], v[6:7], off
	global_load_dwordx2 v[11:12], v[12:13], off
	;; [unrolled: 1-line block ×4, first 2 shown]
	s_andn2_b32 vcc_lo, exec_lo, s70
	s_cbranch_vccz .LBB33_2
; %bb.5:                                ;   in Loop: Header=BB33_4 Depth=1
	v_mov_b32_e32 v13, 0
	v_mov_b32_e32 v7, 0
	;; [unrolled: 1-line block ×12, first 2 shown]
	s_branch .LBB33_3
.LBB33_6:
	s_endpgm
	.section	.rodata,"a",@progbits
	.p2align	6, 0x0
	.amdhsa_kernel _ZN2at6native12_GLOBAL__N_16kernel16gru_cell_forwardIddiLi2EEEvNS_4cuda6detail10TensorInfoIT_T1_EES9_S9_S9_S9_S9_S9_S8_S8_
		.amdhsa_group_segment_fixed_size 0
		.amdhsa_private_segment_fixed_size 0
		.amdhsa_kernarg_size 1776
		.amdhsa_user_sgpr_count 6
		.amdhsa_user_sgpr_private_segment_buffer 1
		.amdhsa_user_sgpr_dispatch_ptr 0
		.amdhsa_user_sgpr_queue_ptr 0
		.amdhsa_user_sgpr_kernarg_segment_ptr 1
		.amdhsa_user_sgpr_dispatch_id 0
		.amdhsa_user_sgpr_flat_scratch_init 0
		.amdhsa_user_sgpr_private_segment_size 0
		.amdhsa_wavefront_size32 1
		.amdhsa_uses_dynamic_stack 0
		.amdhsa_system_sgpr_private_segment_wavefront_offset 0
		.amdhsa_system_sgpr_workgroup_id_x 1
		.amdhsa_system_sgpr_workgroup_id_y 0
		.amdhsa_system_sgpr_workgroup_id_z 0
		.amdhsa_system_sgpr_workgroup_info 0
		.amdhsa_system_vgpr_workitem_id 0
		.amdhsa_next_free_vgpr 63
		.amdhsa_next_free_sgpr 90
		.amdhsa_reserve_vcc 1
		.amdhsa_reserve_flat_scratch 0
		.amdhsa_float_round_mode_32 0
		.amdhsa_float_round_mode_16_64 0
		.amdhsa_float_denorm_mode_32 3
		.amdhsa_float_denorm_mode_16_64 3
		.amdhsa_dx10_clamp 1
		.amdhsa_ieee_mode 1
		.amdhsa_fp16_overflow 0
		.amdhsa_workgroup_processor_mode 1
		.amdhsa_memory_ordered 1
		.amdhsa_forward_progress 1
		.amdhsa_shared_vgpr_count 0
		.amdhsa_exception_fp_ieee_invalid_op 0
		.amdhsa_exception_fp_denorm_src 0
		.amdhsa_exception_fp_ieee_div_zero 0
		.amdhsa_exception_fp_ieee_overflow 0
		.amdhsa_exception_fp_ieee_underflow 0
		.amdhsa_exception_fp_ieee_inexact 0
		.amdhsa_exception_int_div_zero 0
	.end_amdhsa_kernel
	.section	.text._ZN2at6native12_GLOBAL__N_16kernel16gru_cell_forwardIddiLi2EEEvNS_4cuda6detail10TensorInfoIT_T1_EES9_S9_S9_S9_S9_S9_S8_S8_,"axG",@progbits,_ZN2at6native12_GLOBAL__N_16kernel16gru_cell_forwardIddiLi2EEEvNS_4cuda6detail10TensorInfoIT_T1_EES9_S9_S9_S9_S9_S9_S8_S8_,comdat
.Lfunc_end33:
	.size	_ZN2at6native12_GLOBAL__N_16kernel16gru_cell_forwardIddiLi2EEEvNS_4cuda6detail10TensorInfoIT_T1_EES9_S9_S9_S9_S9_S9_S8_S8_, .Lfunc_end33-_ZN2at6native12_GLOBAL__N_16kernel16gru_cell_forwardIddiLi2EEEvNS_4cuda6detail10TensorInfoIT_T1_EES9_S9_S9_S9_S9_S9_S8_S8_
                                        ; -- End function
	.set _ZN2at6native12_GLOBAL__N_16kernel16gru_cell_forwardIddiLi2EEEvNS_4cuda6detail10TensorInfoIT_T1_EES9_S9_S9_S9_S9_S9_S8_S8_.num_vgpr, 63
	.set _ZN2at6native12_GLOBAL__N_16kernel16gru_cell_forwardIddiLi2EEEvNS_4cuda6detail10TensorInfoIT_T1_EES9_S9_S9_S9_S9_S9_S8_S8_.num_agpr, 0
	.set _ZN2at6native12_GLOBAL__N_16kernel16gru_cell_forwardIddiLi2EEEvNS_4cuda6detail10TensorInfoIT_T1_EES9_S9_S9_S9_S9_S9_S8_S8_.numbered_sgpr, 90
	.set _ZN2at6native12_GLOBAL__N_16kernel16gru_cell_forwardIddiLi2EEEvNS_4cuda6detail10TensorInfoIT_T1_EES9_S9_S9_S9_S9_S9_S8_S8_.num_named_barrier, 0
	.set _ZN2at6native12_GLOBAL__N_16kernel16gru_cell_forwardIddiLi2EEEvNS_4cuda6detail10TensorInfoIT_T1_EES9_S9_S9_S9_S9_S9_S8_S8_.private_seg_size, 0
	.set _ZN2at6native12_GLOBAL__N_16kernel16gru_cell_forwardIddiLi2EEEvNS_4cuda6detail10TensorInfoIT_T1_EES9_S9_S9_S9_S9_S9_S8_S8_.uses_vcc, 1
	.set _ZN2at6native12_GLOBAL__N_16kernel16gru_cell_forwardIddiLi2EEEvNS_4cuda6detail10TensorInfoIT_T1_EES9_S9_S9_S9_S9_S9_S8_S8_.uses_flat_scratch, 0
	.set _ZN2at6native12_GLOBAL__N_16kernel16gru_cell_forwardIddiLi2EEEvNS_4cuda6detail10TensorInfoIT_T1_EES9_S9_S9_S9_S9_S9_S8_S8_.has_dyn_sized_stack, 0
	.set _ZN2at6native12_GLOBAL__N_16kernel16gru_cell_forwardIddiLi2EEEvNS_4cuda6detail10TensorInfoIT_T1_EES9_S9_S9_S9_S9_S9_S8_S8_.has_recursion, 0
	.set _ZN2at6native12_GLOBAL__N_16kernel16gru_cell_forwardIddiLi2EEEvNS_4cuda6detail10TensorInfoIT_T1_EES9_S9_S9_S9_S9_S9_S8_S8_.has_indirect_call, 0
	.section	.AMDGPU.csdata,"",@progbits
; Kernel info:
; codeLenInByte = 5220
; TotalNumSgprs: 92
; NumVgprs: 63
; ScratchSize: 0
; MemoryBound: 0
; FloatMode: 240
; IeeeMode: 1
; LDSByteSize: 0 bytes/workgroup (compile time only)
; SGPRBlocks: 0
; VGPRBlocks: 7
; NumSGPRsForWavesPerEU: 92
; NumVGPRsForWavesPerEU: 63
; Occupancy: 16
; WaveLimiterHint : 1
; COMPUTE_PGM_RSRC2:SCRATCH_EN: 0
; COMPUTE_PGM_RSRC2:USER_SGPR: 6
; COMPUTE_PGM_RSRC2:TRAP_HANDLER: 0
; COMPUTE_PGM_RSRC2:TGID_X_EN: 1
; COMPUTE_PGM_RSRC2:TGID_Y_EN: 0
; COMPUTE_PGM_RSRC2:TGID_Z_EN: 0
; COMPUTE_PGM_RSRC2:TIDIG_COMP_CNT: 0
	.section	.text._ZN2at6native12_GLOBAL__N_16kernel16gru_cell_forwardIddlLi1EEEvNS_4cuda6detail10TensorInfoIT_T1_EES9_S9_S9_S9_S9_S9_S8_S8_,"axG",@progbits,_ZN2at6native12_GLOBAL__N_16kernel16gru_cell_forwardIddlLi1EEEvNS_4cuda6detail10TensorInfoIT_T1_EES9_S9_S9_S9_S9_S9_S8_S8_,comdat
	.globl	_ZN2at6native12_GLOBAL__N_16kernel16gru_cell_forwardIddlLi1EEEvNS_4cuda6detail10TensorInfoIT_T1_EES9_S9_S9_S9_S9_S9_S8_S8_ ; -- Begin function _ZN2at6native12_GLOBAL__N_16kernel16gru_cell_forwardIddlLi1EEEvNS_4cuda6detail10TensorInfoIT_T1_EES9_S9_S9_S9_S9_S9_S8_S8_
	.p2align	8
	.type	_ZN2at6native12_GLOBAL__N_16kernel16gru_cell_forwardIddlLi1EEEvNS_4cuda6detail10TensorInfoIT_T1_EES9_S9_S9_S9_S9_S9_S8_S8_,@function
_ZN2at6native12_GLOBAL__N_16kernel16gru_cell_forwardIddlLi1EEEvNS_4cuda6detail10TensorInfoIT_T1_EES9_S9_S9_S9_S9_S9_S8_S8_: ; @_ZN2at6native12_GLOBAL__N_16kernel16gru_cell_forwardIddlLi1EEEvNS_4cuda6detail10TensorInfoIT_T1_EES9_S9_S9_S9_S9_S9_S8_S8_
; %bb.0:
	s_clause 0x1
	s_load_dword s2, s[4:5], 0xb7c
	s_load_dwordx4 s[8:11], s[4:5], 0xb60
	v_mov_b32_e32 v1, 0
	s_add_u32 s0, s4, 0xb70
	s_addc_u32 s1, s5, 0
	s_waitcnt lgkmcnt(0)
	s_and_b32 s26, s2, 0xffff
	s_mov_b32 s2, exec_lo
	v_mad_u64_u32 v[3:4], null, s6, s26, v[0:1]
	v_mov_b32_e32 v4, v1
	v_cmpx_gt_i64_e64 s[10:11], v[3:4]
	s_cbranch_execz .LBB34_10
; %bb.1:
	s_clause 0x1
	s_load_dwordx2 s[30:31], s[4:5], 0x750
	s_load_dwordx2 s[2:3], s[4:5], 0x340
	s_load_dword s27, s[0:1], 0x0
	s_clause 0xb
	s_load_dwordx2 s[0:1], s[4:5], 0x8f0
	s_load_dwordx2 s[34:35], s[4:5], 0x680
	;; [unrolled: 1-line block ×12, first 2 shown]
	s_mov_b32 s40, 0xfefa39ef
	s_mov_b32 s42, 0x3b39803f
	s_mov_b32 s44, 0xfca7ab0c
	s_mov_b32 s46, 0x6a5dcb37
	s_mov_b32 s48, 0x623fde64
	s_waitcnt lgkmcnt(0)
	v_mul_lo_u32 v0, 0, s30
	v_mul_lo_u32 v2, v3, s31
	v_mad_u64_u32 v[5:6], null, v3, s30, 0
	v_mul_lo_u32 v9, 0, s0
	v_mul_lo_u32 v10, v3, s1
	v_mad_u64_u32 v[7:8], null, v3, s0, 0
	s_cmp_lg_u64 s[2:3], 0
	s_mul_i32 s74, s27, s26
	v_add3_u32 v6, v6, v2, v0
	v_cvt_f32_u32_e32 v0, s8
	s_cselect_b32 s75, -1, 0
	s_lshl_b64 s[26:27], s[8:9], 1
	v_add3_u32 v8, v8, v10, v9
	v_lshlrev_b64 v[5:6], 3, v[5:6]
	v_rcp_iflag_f32_e32 v0, v0
	s_lshl_b64 s[28:29], s[8:9], 2
	s_mul_i32 s31, s74, s31
	v_lshlrev_b64 v[7:8], 3, v[7:8]
	s_mul_hi_u32 s38, s74, s30
	v_add_co_u32 v5, vcc_lo, s34, v5
	v_add_co_ci_u32_e64 v6, null, s35, v6, vcc_lo
	v_add_co_u32 v7, vcc_lo, s36, v7
	v_mul_f32_e32 v0, 0x4f7ffffe, v0
	s_mul_i32 s1, s74, s1
	s_mul_hi_u32 s34, s74, s0
	s_sub_u32 s76, 0, s8
	v_add_co_ci_u32_e64 v8, null, s37, v8, vcc_lo
	v_cvt_u32_f32_e32 v0, v0
	s_subb_u32 s77, 0, s9
	s_add_i32 s31, s38, s31
	s_mul_i32 s30, s74, s30
	s_add_i32 s1, s34, s1
	s_mul_i32 s0, s74, s0
	s_mov_b32 s38, 0x652b82fe
	s_mov_b32 s50, 0x7c89e6b0
	;; [unrolled: 1-line block ×11, first 2 shown]
	s_lshl_b64 s[30:31], s[30:31], 3
	s_lshl_b64 s[34:35], s[0:1], 3
	s_ashr_i32 s36, s9, 31
	s_mov_b32 s39, 0xbff71547
	s_mov_b32 s41, 0xbfe62e42
	;; [unrolled: 1-line block ×17, first 2 shown]
	s_branch .LBB34_5
.LBB34_2:                               ;   in Loop: Header=BB34_5 Depth=1
	s_or_b32 exec_lo, exec_lo, s0
	v_lshlrev_b64 v[13:14], 1, v[11:12]
	v_mad_u64_u32 v[9:10], null, s26, v11, v[3:4]
	v_mul_lo_u32 v2, s26, v12
	v_mul_lo_u32 v15, s27, v11
	v_or_b32_e32 v16, 1, v13
	v_mul_lo_u32 v17, s8, v14
	v_add_co_u32 v19, vcc_lo, v13, 2
	v_add_co_ci_u32_e64 v20, null, 0, v14, vcc_lo
	v_add3_u32 v2, v15, v10, v2
	v_mul_lo_u32 v18, s9, v16
	v_mad_u64_u32 v[15:16], null, s8, v16, v[3:4]
	v_mul_lo_u32 v10, v9, s13
	v_mad_u64_u32 v[13:14], null, v9, s12, 0
	v_mul_lo_u32 v21, v2, s12
	v_mul_lo_u32 v20, s8, v20
	;; [unrolled: 1-line block ×3, first 2 shown]
	v_add3_u32 v22, v18, v16, v17
	v_mad_u64_u32 v[16:17], null, s8, v19, v[3:4]
	v_mad_u64_u32 v[18:19], null, v15, s12, 0
	v_add3_u32 v14, v14, v10, v21
	v_mul_lo_u32 v10, v22, s12
	v_mul_lo_u32 v21, v15, s13
	;; [unrolled: 1-line block ×3, first 2 shown]
	v_add3_u32 v23, v23, v17, v20
	v_mul_lo_u32 v2, v2, s16
	v_mul_lo_u32 v26, v15, s17
	v_lshlrev_b64 v[13:14], 3, v[13:14]
	v_mul_lo_u32 v24, v23, s12
	v_add3_u32 v19, v19, v21, v10
	v_mul_lo_u32 v21, v16, s13
	v_mad_u64_u32 v[9:10], null, v9, s16, 0
	v_add_co_u32 v13, vcc_lo, s6, v13
	v_lshlrev_b64 v[17:18], 3, v[18:19]
	v_mad_u64_u32 v[19:20], null, v16, s12, 0
	v_add_co_ci_u32_e64 v14, null, s7, v14, vcc_lo
	v_add3_u32 v10, v10, v25, v2
	v_mul_lo_u32 v2, v23, s16
	v_mul_lo_u32 v23, v16, s17
	v_add_co_u32 v17, vcc_lo, s6, v17
	v_add3_u32 v20, v20, v21, v24
	v_mul_lo_u32 v24, v22, s16
	v_mad_u64_u32 v[21:22], null, v15, s16, 0
	v_mad_u64_u32 v[15:16], null, v16, s16, 0
	v_lshlrev_b64 v[19:20], 3, v[19:20]
	v_lshlrev_b64 v[9:10], 3, v[9:10]
	v_add_co_ci_u32_e64 v18, null, s7, v18, vcc_lo
	v_add3_u32 v22, v22, v26, v24
	v_add3_u32 v16, v16, v23, v2
	v_add_co_u32 v19, vcc_lo, s6, v19
	v_lshlrev_b64 v[21:22], 3, v[21:22]
	v_add_co_ci_u32_e64 v20, null, s7, v20, vcc_lo
	v_lshlrev_b64 v[15:16], 3, v[15:16]
	v_add_co_u32 v9, vcc_lo, s14, v9
	v_add_co_ci_u32_e64 v10, null, s15, v10, vcc_lo
	v_add_co_u32 v23, vcc_lo, s14, v21
	v_add_co_ci_u32_e64 v24, null, s15, v22, vcc_lo
	v_add_co_u32 v29, vcc_lo, s14, v15
	v_add_co_ci_u32_e64 v30, null, s15, v16, vcc_lo
	s_clause 0x2
	global_load_dwordx2 v[25:26], v[13:14], off
	global_load_dwordx2 v[13:14], v[17:18], off
	;; [unrolled: 1-line block ×3, first 2 shown]
	s_clause 0x2
	global_load_dwordx2 v[27:28], v[9:10], off
	global_load_dwordx2 v[15:16], v[23:24], off
	;; [unrolled: 1-line block ×4, first 2 shown]
	s_andn2_b32 vcc_lo, exec_lo, s75
	s_cbranch_vccnz .LBB34_9
; %bb.3:                                ;   in Loop: Header=BB34_5 Depth=1
	v_mad_u64_u32 v[17:18], null, s76, v11, v[3:4]
	v_mul_lo_u32 v2, s76, v12
	v_mul_lo_u32 v19, s77, v11
	v_sub_co_u32 v20, vcc_lo, 1, v11
	v_sub_co_ci_u32_e64 v29, null, 0, v12, vcc_lo
	v_mul_lo_u32 v31, v17, s19
	v_mul_lo_u32 v33, s9, v20
	v_mul_lo_u32 v40, v17, s23
	v_add3_u32 v2, v19, v18, v2
	v_mad_u64_u32 v[18:19], null, v17, s18, 0
	v_mul_lo_u32 v32, s8, v29
	v_mad_u64_u32 v[29:30], null, s8, v20, v[3:4]
	v_mul_lo_u32 v20, v2, s18
	v_mul_lo_u32 v2, v2, s22
	v_add3_u32 v37, v33, v30, v32
	v_mul_lo_u32 v35, v29, s19
	v_add3_u32 v19, v19, v31, v20
	v_sub_co_u32 v20, vcc_lo, 2, v11
	v_sub_co_ci_u32_e64 v32, null, 0, v12, vcc_lo
	v_mul_lo_u32 v34, v37, s18
	v_mul_lo_u32 v38, s9, v20
	v_mad_u64_u32 v[30:31], null, v29, s18, 0
	v_mul_lo_u32 v36, s8, v32
	v_mad_u64_u32 v[32:33], null, s8, v20, v[3:4]
	v_mul_lo_u32 v41, v29, s23
	v_lshlrev_b64 v[18:19], 3, v[18:19]
	v_add3_u32 v31, v31, v35, v34
	v_add3_u32 v20, v38, v33, v36
	v_mul_lo_u32 v39, v32, s19
	v_mad_u64_u32 v[33:34], null, v32, s18, 0
	v_mad_u64_u32 v[35:36], null, v17, s22, 0
	v_mul_lo_u32 v38, v20, s18
	v_mul_lo_u32 v17, v37, s22
	v_lshlrev_b64 v[30:31], 3, v[30:31]
	v_add_co_u32 v18, vcc_lo, s2, v18
	v_add_co_ci_u32_e64 v19, null, s3, v19, vcc_lo
	v_add3_u32 v36, v36, v40, v2
	v_add3_u32 v34, v34, v39, v38
	v_mad_u64_u32 v[37:38], null, v29, s22, 0
	v_mul_lo_u32 v2, v20, s22
	v_mul_lo_u32 v20, v32, s23
	v_mad_u64_u32 v[39:40], null, v32, s22, 0
	v_lshlrev_b64 v[33:34], 3, v[33:34]
	v_lshlrev_b64 v[35:36], 3, v[35:36]
	v_add3_u32 v38, v38, v41, v17
	v_add_co_u32 v30, vcc_lo, s2, v30
	v_add_co_ci_u32_e64 v31, null, s3, v31, vcc_lo
	v_add3_u32 v40, v40, v20, v2
	v_add_co_u32 v32, vcc_lo, s2, v33
	v_lshlrev_b64 v[37:38], 3, v[37:38]
	v_add_co_ci_u32_e64 v33, null, s3, v34, vcc_lo
	v_add_co_u32 v41, vcc_lo, s20, v35
	v_lshlrev_b64 v[34:35], 3, v[39:40]
	v_add_co_ci_u32_e64 v42, null, s21, v36, vcc_lo
	v_add_co_u32 v37, vcc_lo, s20, v37
	v_add_co_ci_u32_e64 v38, null, s21, v38, vcc_lo
	v_add_co_u32 v39, vcc_lo, s20, v34
	v_add_co_ci_u32_e64 v40, null, s21, v35, vcc_lo
	s_clause 0x2
	global_load_dwordx2 v[35:36], v[18:19], off
	global_load_dwordx2 v[17:18], v[30:31], off
	;; [unrolled: 1-line block ×3, first 2 shown]
	s_clause 0x2
	global_load_dwordx2 v[33:34], v[41:42], off
	global_load_dwordx2 v[19:20], v[37:38], off
	;; [unrolled: 1-line block ×3, first 2 shown]
.LBB34_4:                               ;   in Loop: Header=BB34_5 Depth=1
	s_waitcnt vmcnt(3)
	v_add_f64 v[25:26], v[25:26], v[27:28]
	v_add_f64 v[21:22], v[21:22], v[29:30]
	s_waitcnt vmcnt(0)
	v_add_f64 v[23:24], v[23:24], v[31:32]
	s_mov_b32 s64, s38
	s_mov_b32 s67, s41
	v_add_f64 v[13:14], v[13:14], v[15:16]
	v_add_co_u32 v5, s1, v5, s30
	v_add_co_ci_u32_e64 v6, null, s31, v6, s1
	v_add_f64 v[25:26], v[25:26], v[35:36]
	v_add_f64 v[13:14], v[13:14], v[17:18]
	;; [unrolled: 1-line block ×4, first 2 shown]
	v_mul_f64 v[27:28], v[25:26], s[38:39]
	v_cmp_nlt_f64_e64 s0, 0x4090cc00, v[25:26]
	v_cmp_nlt_f64_e64 s1, 0x4090cc00, v[13:14]
	v_rndne_f64_e32 v[27:28], v[27:28]
	v_fma_f64 v[33:34], v[27:28], s[40:41], -v[25:26]
	v_cvt_i32_f64_e32 v2, v[27:28]
	v_fma_f64 v[33:34], v[27:28], s[42:43], v[33:34]
	v_fma_f64 v[35:36], v[33:34], s[46:47], s[44:45]
	;; [unrolled: 1-line block ×10, first 2 shown]
	v_fma_f64 v[35:36], v[33:34], v[35:36], 1.0
	v_fma_f64 v[27:28], v[33:34], v[35:36], 1.0
	v_ldexp_f64 v[27:28], v[27:28], v2
	v_add_f64 v[27:28], v[27:28], 1.0
	v_div_scale_f64 v[33:34], null, v[27:28], v[27:28], 1.0
	v_div_scale_f64 v[39:40], vcc_lo, 1.0, v[27:28], 1.0
	v_rcp_f64_e32 v[35:36], v[33:34]
	v_fma_f64 v[37:38], -v[33:34], v[35:36], 1.0
	v_fma_f64 v[35:36], v[35:36], v[37:38], v[35:36]
	v_fma_f64 v[37:38], -v[33:34], v[35:36], 1.0
	v_fma_f64 v[35:36], v[35:36], v[37:38], v[35:36]
	v_mul_f64 v[37:38], v[39:40], v[35:36]
	v_fma_f64 v[33:34], -v[33:34], v[37:38], v[39:40]
	v_div_fmas_f64 v[33:34], v[33:34], v[35:36], v[37:38]
	v_cmp_ngt_f64_e32 vcc_lo, 0xc0900000, v[25:26]
	v_div_fixup_f64 v[27:28], v[33:34], v[27:28], 1.0
	v_cndmask_b32_e32 v2, 0, v28, vcc_lo
	s_and_b32 vcc_lo, s0, vcc_lo
	v_cndmask_b32_e32 v25, 0, v27, vcc_lo
	v_cndmask_b32_e64 v26, 0x3ff00000, v2, s0
	v_fma_f64 v[21:22], v[23:24], v[25:26], v[21:22]
	v_mul_f64 v[27:28], |v[21:22]|, s[64:65]
	v_cmp_nlt_f64_e64 s0, 0x40331000, |v[21:22]|
	v_rndne_f64_e32 v[27:28], v[27:28]
	v_fma_f64 v[29:30], v[27:28], s[66:67], |v[21:22]|
	v_mul_f64 v[31:32], v[27:28], s[68:69]
	v_cvt_i32_f64_e32 v2, v[27:28]
	v_add_f64 v[33:34], v[29:30], 0
	v_add_f64 v[35:36], v[33:34], v[31:32]
	v_add_f64 v[29:30], v[29:30], -v[33:34]
	v_add_f64 v[33:34], v[33:34], -v[35:36]
	v_add_f64 v[29:30], v[29:30], 0
	v_add_f64 v[31:32], v[33:34], v[31:32]
	;; [unrolled: 1-line block ×3, first 2 shown]
	v_mul_f64 v[31:32], v[27:28], s[70:71]
	v_add_f64 v[33:34], v[35:36], v[29:30]
	v_add_f64 v[37:38], v[33:34], v[31:32]
	v_add_f64 v[35:36], v[35:36], -v[33:34]
	v_add_f64 v[33:34], v[33:34], -v[37:38]
	v_add_f64 v[29:30], v[29:30], v[35:36]
	v_add_f64 v[31:32], v[33:34], v[31:32]
	;; [unrolled: 1-line block ×4, first 2 shown]
	v_fma_f64 v[33:34], v[31:32], s[46:47], s[44:45]
	v_add_f64 v[35:36], v[37:38], -v[31:32]
	v_mul_f64 v[37:38], v[31:32], v[31:32]
	v_fma_f64 v[33:34], v[31:32], v[33:34], s[48:49]
	v_add_f64 v[29:30], v[29:30], v[35:36]
	v_fma_f64 v[35:36], v[31:32], v[31:32], -v[37:38]
	v_fma_f64 v[33:34], v[31:32], v[33:34], s[50:51]
	v_add_f64 v[39:40], v[29:30], v[29:30]
	v_fma_f64 v[33:34], v[31:32], v[33:34], s[52:53]
	v_fma_f64 v[35:36], v[31:32], v[39:40], v[35:36]
	;; [unrolled: 1-line block ×3, first 2 shown]
	v_add_f64 v[39:40], v[37:38], v[35:36]
	v_fma_f64 v[33:34], v[31:32], v[33:34], s[56:57]
	v_add_f64 v[37:38], v[39:40], -v[37:38]
	v_fma_f64 v[33:34], v[31:32], v[33:34], s[58:59]
	v_add_f64 v[35:36], v[35:36], -v[37:38]
	v_fma_f64 v[33:34], v[31:32], v[33:34], s[60:61]
	v_fma_f64 v[33:34], v[31:32], v[33:34], s[62:63]
	v_mul_f64 v[41:42], v[39:40], v[33:34]
	v_fma_f64 v[37:38], v[39:40], v[33:34], -v[41:42]
	v_fma_f64 v[33:34], v[35:36], v[33:34], v[37:38]
	v_add_f64 v[35:36], v[41:42], v[33:34]
	v_add_f64 v[37:38], v[31:32], v[35:36]
	v_add_f64 v[39:40], v[35:36], -v[41:42]
	v_add_f64 v[31:32], v[37:38], -v[31:32]
	;; [unrolled: 1-line block ×4, first 2 shown]
	v_add_f64 v[29:30], v[29:30], v[33:34]
	v_add_f64 v[29:30], v[29:30], v[31:32]
	;; [unrolled: 1-line block ×3, first 2 shown]
	v_add_f64 v[33:34], v[31:32], 1.0
	v_add_f64 v[35:36], v[31:32], -v[37:38]
	v_add_f64 v[37:38], v[33:34], -1.0
	v_add_f64 v[29:30], v[29:30], -v[35:36]
	v_add_f64 v[31:32], v[31:32], -v[37:38]
	v_add_f64 v[29:30], v[29:30], v[31:32]
	v_add_f64 v[27:28], v[33:34], v[29:30]
	v_ldexp_f64 v[31:32], v[27:28], v2
	v_add_f64 v[27:28], v[27:28], -v[33:34]
	v_rcp_f64_e32 v[35:36], v[31:32]
	v_add_f64 v[27:28], v[29:30], -v[27:28]
	v_ldexp_f64 v[27:28], v[27:28], v2
	v_fma_f64 v[37:38], -v[31:32], v[35:36], 1.0
	v_fma_f64 v[35:36], v[37:38], v[35:36], v[35:36]
	v_fma_f64 v[37:38], -v[31:32], v[35:36], 1.0
	v_fma_f64 v[33:34], v[37:38], v[35:36], v[35:36]
	v_mul_f64 v[29:30], v[31:32], v[33:34]
	v_fma_f64 v[35:36], v[33:34], v[31:32], -v[29:30]
	v_fma_f64 v[35:36], v[33:34], v[27:28], v[35:36]
	v_add_f64 v[37:38], v[29:30], v[35:36]
	v_add_f64 v[39:40], -v[37:38], 1.0
	v_add_f64 v[29:30], v[37:38], -v[29:30]
	v_add_f64 v[41:42], -v[39:40], 1.0
	v_add_f64 v[29:30], v[29:30], -v[35:36]
	v_add_f64 v[35:36], v[41:42], -v[37:38]
	v_add_f64 v[29:30], v[29:30], v[35:36]
	v_add_f64 v[35:36], v[39:40], v[29:30]
	v_mul_f64 v[37:38], v[33:34], v[35:36]
	v_add_f64 v[39:40], v[39:40], -v[35:36]
	v_mul_f64 v[41:42], v[31:32], v[37:38]
	v_add_f64 v[29:30], v[29:30], v[39:40]
	v_add_f64 v[15:16], v[33:34], v[37:38]
	v_fma_f64 v[43:44], v[37:38], v[31:32], -v[41:42]
	v_add_f64 v[17:18], v[15:16], -v[33:34]
	v_fma_f64 v[43:44], v[37:38], v[27:28], v[43:44]
	v_add_f64 v[17:18], v[37:38], -v[17:18]
	v_add_f64 v[45:46], v[41:42], v[43:44]
	v_add_f64 v[47:48], v[35:36], -v[45:46]
	v_add_f64 v[39:40], v[45:46], -v[41:42]
	;; [unrolled: 1-line block ×5, first 2 shown]
	v_add_f64 v[29:30], v[29:30], v[35:36]
	v_add_f64 v[29:30], v[39:40], v[29:30]
	;; [unrolled: 1-line block ×3, first 2 shown]
	v_mul_f64 v[19:20], v[33:34], v[29:30]
	v_mul_f64 v[29:30], v[13:14], s[38:39]
	v_add_f64 v[17:18], v[17:18], v[19:20]
	v_rndne_f64_e32 v[19:20], v[29:30]
	v_add_f64 v[29:30], v[15:16], v[17:18]
	v_fma_f64 v[33:34], v[19:20], s[40:41], -v[13:14]
	v_cvt_i32_f64_e32 v2, v[19:20]
	v_add_f64 v[35:36], v[31:32], v[29:30]
	v_add_f64 v[15:16], v[29:30], -v[15:16]
	v_fma_f64 v[33:34], v[19:20], s[42:43], v[33:34]
	v_add_f64 v[41:42], v[31:32], -v[29:30]
	v_add_f64 v[37:38], v[35:36], -v[31:32]
	;; [unrolled: 1-line block ×3, first 2 shown]
	v_fma_f64 v[17:18], v[33:34], s[46:47], s[44:45]
	v_add_f64 v[31:32], v[31:32], -v[41:42]
	v_add_f64 v[37:38], v[29:30], -v[37:38]
	v_add_f64 v[39:40], v[27:28], v[15:16]
	v_fma_f64 v[17:18], v[33:34], v[17:18], s[48:49]
	v_add_f64 v[29:30], v[31:32], -v[29:30]
	v_add_f64 v[37:38], v[39:40], v[37:38]
	v_fma_f64 v[17:18], v[33:34], v[17:18], s[50:51]
	v_add_f64 v[27:28], v[27:28], v[29:30]
	v_add_f64 v[39:40], v[35:36], v[37:38]
	v_fma_f64 v[17:18], v[33:34], v[17:18], s[52:53]
	v_add_f64 v[15:16], v[27:28], -v[15:16]
	v_rcp_f64_e32 v[43:44], v[39:40]
	v_fma_f64 v[17:18], v[33:34], v[17:18], s[54:55]
	v_add_f64 v[35:36], v[39:40], -v[35:36]
	v_fma_f64 v[17:18], v[33:34], v[17:18], s[56:57]
	v_fma_f64 v[31:32], -v[39:40], v[43:44], 1.0
	v_add_f64 v[19:20], v[37:38], -v[35:36]
	v_fma_f64 v[17:18], v[33:34], v[17:18], s[58:59]
	v_fma_f64 v[29:30], v[31:32], v[43:44], v[43:44]
	v_add_f64 v[31:32], v[41:42], v[15:16]
	v_fma_f64 v[17:18], v[33:34], v[17:18], s[60:61]
	v_fma_f64 v[27:28], -v[39:40], v[29:30], 1.0
	v_fma_f64 v[17:18], v[33:34], v[17:18], s[62:63]
	v_fma_f64 v[27:28], v[27:28], v[29:30], v[29:30]
	v_fma_f64 v[17:18], v[33:34], v[17:18], 1.0
	v_mul_f64 v[29:30], v[31:32], v[27:28]
	v_fma_f64 v[17:18], v[33:34], v[17:18], 1.0
	v_mul_f64 v[43:44], v[39:40], v[29:30]
	v_ldexp_f64 v[17:18], v[17:18], v2
	v_fma_f64 v[33:34], v[29:30], v[39:40], -v[43:44]
	v_mul_lo_u32 v2, s28, v12
	v_add_f64 v[17:18], v[17:18], 1.0
	v_fma_f64 v[19:20], v[29:30], v[19:20], v[33:34]
	v_div_scale_f64 v[35:36], null, v[17:18], v[17:18], 1.0
	v_add_f64 v[33:34], v[43:44], v[19:20]
	v_rcp_f64_e32 v[39:40], v[35:36]
	v_add_f64 v[37:38], v[31:32], -v[33:34]
	v_add_f64 v[43:44], v[33:34], -v[43:44]
	;; [unrolled: 1-line block ×3, first 2 shown]
	v_fma_f64 v[47:48], -v[35:36], v[39:40], 1.0
	v_add_f64 v[31:32], v[31:32], -v[41:42]
	v_add_f64 v[19:20], v[19:20], -v[43:44]
	v_add_f64 v[33:34], v[45:46], -v[33:34]
	v_fma_f64 v[39:40], v[39:40], v[47:48], v[39:40]
	v_add_f64 v[15:16], v[15:16], -v[31:32]
	v_add_f64 v[19:20], v[33:34], -v[19:20]
	v_fma_f64 v[31:32], -v[35:36], v[39:40], 1.0
	v_add_f64 v[15:16], v[15:16], v[19:20]
	v_div_scale_f64 v[19:20], vcc_lo, 1.0, v[17:18], 1.0
	v_fma_f64 v[31:32], v[39:40], v[31:32], v[39:40]
	v_and_b32_e32 v40, 0x7fffffff, v22
	v_add_f64 v[15:16], v[37:38], v[15:16]
	v_mul_f64 v[33:34], v[19:20], v[31:32]
	v_mul_f64 v[15:16], v[27:28], v[15:16]
	v_mad_u64_u32 v[27:28], null, s28, v11, v[3:4]
	v_fma_f64 v[19:20], -v[35:36], v[33:34], v[19:20]
	v_mul_lo_u32 v35, s29, v11
	v_lshlrev_b64 v[11:12], 2, v[11:12]
	v_add3_u32 v2, v35, v28, v2
	v_mul_lo_u32 v35, v27, s5
	v_mul_lo_u32 v2, v2, s4
	v_add_f64 v[15:16], v[29:30], v[15:16]
	v_or_b32_e32 v30, 2, v11
	v_or_b32_e32 v29, 1, v11
	v_div_fmas_f64 v[19:20], v[19:20], v[31:32], v[33:34]
	v_add_co_u32 v33, vcc_lo, v11, 4
	v_add_co_ci_u32_e64 v34, null, 0, v12, vcc_lo
	v_cmp_gt_f64_e64 vcc_lo, 0x3e400000, |v[21:22]|
	v_mul_lo_u32 v31, s8, v12
	v_mul_lo_u32 v37, s9, v30
	v_or_b32_e32 v32, 3, v11
	v_mad_u64_u32 v[11:12], null, v27, s4, 0
	v_mul_lo_u32 v36, s9, v29
	v_mad_u64_u32 v[27:28], null, s8, v29, v[3:4]
	v_mul_lo_u32 v34, s8, v34
	v_add3_u32 v12, v12, v35, v2
	v_cndmask_b32_e64 v38, 0x3ff00000, v16, s0
	v_cndmask_b32_e64 v39, 0, v15, s0
	v_mad_u64_u32 v[15:16], null, s8, v30, v[3:4]
	v_div_fixup_f64 v[17:18], v[19:20], v[17:18], 1.0
	v_mad_u64_u32 v[19:20], null, s8, v32, v[3:4]
	v_mul_lo_u32 v32, s9, v32
	v_cndmask_b32_e32 v21, v39, v21, vcc_lo
	v_cndmask_b32_e32 v38, v38, v40, vcc_lo
	v_cmp_ngt_f64_e32 vcc_lo, 0xc0900000, v[13:14]
	v_add3_u32 v37, v37, v16, v31
	v_mad_u64_u32 v[13:14], null, v15, s4, 0
	v_bfi_b32 v22, 0x7fffffff, v38, v22
	v_mul_lo_u32 v38, v15, s5
	v_mad_u64_u32 v[29:30], null, s8, v33, v[3:4]
	v_mul_lo_u32 v33, s9, v33
	v_add_f64 v[15:16], v[9:10], -v[21:22]
	v_add3_u32 v36, v36, v28, v31
	v_mul_lo_u32 v41, v27, s5
	v_mad_u64_u32 v[27:28], null, v27, s4, 0
	v_add3_u32 v20, v32, v20, v31
	v_mul_lo_u32 v32, v36, s4
	v_add3_u32 v31, v33, v30, v34
	v_mul_lo_u32 v2, v37, s4
	v_mul_lo_u32 v40, v19, s5
	;; [unrolled: 1-line block ×5, first 2 shown]
	v_cndmask_b32_e32 v39, 0, v18, vcc_lo
	s_and_b32 vcc_lo, s1, vcc_lo
	v_add3_u32 v28, v28, v41, v32
	v_cndmask_b32_e32 v31, 0, v17, vcc_lo
	v_mad_u64_u32 v[18:19], null, v19, s4, 0
	v_cndmask_b32_e64 v32, 0x3ff00000, v39, s1
	v_mad_u64_u32 v[29:30], null, v29, s4, 0
	v_add3_u32 v14, v14, v38, v2
	v_lshlrev_b64 v[11:12], 3, v[11:12]
	v_fma_f64 v[15:16], v[31:32], v[15:16], v[21:22]
	v_add3_u32 v19, v19, v40, v20
	v_lshlrev_b64 v[27:28], 3, v[27:28]
	v_lshlrev_b64 v[13:14], 3, v[13:14]
	v_add3_u32 v30, v30, v33, v34
	v_add_co_u32 v11, vcc_lo, s24, v11
	v_lshlrev_b64 v[17:18], 3, v[18:19]
	v_add_co_u32 v3, s0, v3, s74
	v_add_co_ci_u32_e64 v12, null, s25, v12, vcc_lo
	v_lshlrev_b64 v[19:20], 3, v[29:30]
	v_add_co_u32 v27, vcc_lo, s24, v27
	v_add_co_ci_u32_e64 v4, null, 0, v4, s0
	v_add_co_ci_u32_e64 v28, null, s25, v28, vcc_lo
	v_add_co_u32 v13, vcc_lo, s24, v13
	v_add_co_ci_u32_e64 v14, null, s25, v14, vcc_lo
	v_add_co_u32 v17, vcc_lo, s24, v17
	;; [unrolled: 2-line block ×3, first 2 shown]
	v_cmp_le_i64_e64 s0, s[10:11], v[3:4]
	v_add_co_ci_u32_e64 v20, null, s25, v20, vcc_lo
	global_store_dwordx2 v[7:8], v[15:16], off
	global_store_dwordx2 v[11:12], v[25:26], off
	global_store_dwordx2 v[27:28], v[31:32], off
	v_add_co_u32 v7, vcc_lo, v7, s34
	v_add_co_ci_u32_e64 v8, null, s35, v8, vcc_lo
	s_or_b32 s33, s0, s33
	global_store_dwordx2 v[13:14], v[21:22], off
	global_store_dwordx2 v[17:18], v[9:10], off
	;; [unrolled: 1-line block ×3, first 2 shown]
	s_andn2_b32 exec_lo, exec_lo, s33
	s_cbranch_execz .LBB34_10
.LBB34_5:                               ; =>This Inner Loop Header: Depth=1
	v_or_b32_e32 v2, s9, v4
                                        ; implicit-def: $vgpr11_vgpr12
	s_mov_b32 s0, exec_lo
	v_cmpx_ne_u64_e32 0, v[1:2]
	s_xor_b32 s1, exec_lo, s0
	s_cbranch_execz .LBB34_7
; %bb.6:                                ;   in Loop: Header=BB34_5 Depth=1
	s_add_u32 s72, s8, s36
	s_mov_b32 s37, s36
	s_addc_u32 s73, s9, s36
	v_ashrrev_i32_e32 v15, 31, v4
	s_xor_b64 s[72:73], s[72:73], s[36:37]
	v_cvt_f32_u32_e32 v2, s72
	v_cvt_f32_u32_e32 v9, s73
	s_sub_u32 s0, 0, s72
	s_subb_u32 s67, 0, s73
	v_add_co_u32 v10, vcc_lo, v3, v15
	v_fmac_f32_e32 v2, 0x4f800000, v9
	v_xor_b32_e32 v16, v10, v15
	v_rcp_f32_e32 v2, v2
	v_mul_f32_e32 v2, 0x5f7ffffc, v2
	v_mul_f32_e32 v9, 0x2f800000, v2
	v_trunc_f32_e32 v9, v9
	v_fmac_f32_e32 v2, 0xcf800000, v9
	v_cvt_u32_f32_e32 v9, v9
	v_cvt_u32_f32_e32 v2, v2
	v_readfirstlane_b32 s37, v9
	v_readfirstlane_b32 s64, v2
	s_mul_i32 s78, s0, s37
	v_add_co_ci_u32_e64 v2, null, v4, v15, vcc_lo
	s_mul_hi_u32 s80, s0, s64
	s_mul_i32 s79, s67, s64
	s_add_i32 s78, s80, s78
	s_mul_i32 s81, s0, s64
	s_add_i32 s78, s78, s79
	s_mul_hi_u32 s80, s64, s81
	s_mul_i32 s83, s64, s78
	s_mul_hi_u32 s82, s37, s81
	s_mul_i32 s79, s37, s81
	s_mul_hi_u32 s81, s64, s78
	s_add_u32 s80, s80, s83
	s_addc_u32 s81, 0, s81
	s_mul_hi_u32 s84, s37, s78
	s_add_u32 s79, s80, s79
	s_mul_i32 s78, s37, s78
	s_addc_u32 s79, s81, s82
	s_addc_u32 s80, s84, 0
	s_add_u32 s78, s79, s78
	s_addc_u32 s79, 0, s80
	s_add_u32 s64, s64, s78
	s_cselect_b32 s78, -1, 0
	s_mul_hi_u32 s80, s0, s64
	s_cmp_lg_u32 s78, 0
	s_mul_i32 s78, s0, s64
	s_addc_u32 s37, s37, s79
	s_mul_i32 s67, s67, s64
	s_mul_i32 s0, s0, s37
	s_mul_hi_u32 s79, s64, s78
	s_add_i32 s0, s80, s0
	s_mul_hi_u32 s80, s37, s78
	s_add_i32 s0, s0, s67
	s_mul_i32 s67, s37, s78
	s_mul_i32 s82, s64, s0
	s_mul_hi_u32 s81, s64, s0
	s_add_u32 s79, s79, s82
	s_addc_u32 s81, 0, s81
	s_mul_hi_u32 s78, s37, s0
	s_add_u32 s67, s79, s67
	s_mul_i32 s0, s37, s0
	s_addc_u32 s67, s81, s80
	s_addc_u32 s78, s78, 0
	s_add_u32 s0, s67, s0
	s_addc_u32 s67, 0, s78
	s_add_u32 s0, s64, s0
	s_cselect_b32 s64, -1, 0
	v_xor_b32_e32 v2, v2, v15
	s_cmp_lg_u32 s64, 0
	v_mul_hi_u32 v17, v16, s0
	s_addc_u32 s37, s37, s67
	v_mad_u64_u32 v[9:10], null, v16, s37, 0
	v_mad_u64_u32 v[11:12], null, v2, s0, 0
	;; [unrolled: 1-line block ×3, first 2 shown]
	v_add_co_u32 v9, vcc_lo, v17, v9
	v_add_co_ci_u32_e64 v10, null, 0, v10, vcc_lo
	v_add_co_u32 v9, vcc_lo, v9, v11
	v_add_co_ci_u32_e32 v9, vcc_lo, v10, v12, vcc_lo
	v_add_co_ci_u32_e32 v10, vcc_lo, 0, v14, vcc_lo
	v_add_co_u32 v11, vcc_lo, v9, v13
	v_add_co_ci_u32_e64 v12, null, 0, v10, vcc_lo
	v_mul_lo_u32 v13, s73, v11
	v_mad_u64_u32 v[9:10], null, s72, v11, 0
	v_mul_lo_u32 v14, s72, v12
	v_sub_co_u32 v9, vcc_lo, v16, v9
	v_add3_u32 v10, v10, v14, v13
	v_add_co_u32 v14, s0, v11, 2
	v_add_co_ci_u32_e64 v16, null, 0, v12, s0
	v_sub_nc_u32_e32 v13, v2, v10
	v_sub_co_u32 v17, s0, v9, s72
	v_sub_co_ci_u32_e64 v2, null, v2, v10, vcc_lo
	v_subrev_co_ci_u32_e64 v13, null, s73, v13, vcc_lo
	v_cmp_le_u32_e32 vcc_lo, s72, v17
	v_subrev_co_ci_u32_e64 v13, null, 0, v13, s0
	v_cndmask_b32_e64 v10, 0, -1, vcc_lo
	v_cmp_le_u32_e32 vcc_lo, s73, v13
	v_cndmask_b32_e64 v17, 0, -1, vcc_lo
	v_cmp_le_u32_e32 vcc_lo, s72, v9
	;; [unrolled: 2-line block ×3, first 2 shown]
	v_cndmask_b32_e64 v18, 0, -1, vcc_lo
	v_cmp_eq_u32_e32 vcc_lo, s73, v13
	v_cndmask_b32_e32 v10, v17, v10, vcc_lo
	v_add_co_u32 v13, vcc_lo, v11, 1
	v_add_co_ci_u32_e64 v17, null, 0, v12, vcc_lo
	v_cmp_eq_u32_e32 vcc_lo, s73, v2
	v_cndmask_b32_e32 v2, v18, v9, vcc_lo
	v_cmp_ne_u32_e32 vcc_lo, 0, v10
	v_xor_b32_e32 v10, s36, v15
	v_cmp_ne_u32_e64 s0, 0, v2
	v_cndmask_b32_e32 v2, v13, v14, vcc_lo
	v_cndmask_b32_e32 v9, v17, v16, vcc_lo
	v_cndmask_b32_e64 v2, v11, v2, s0
	v_cndmask_b32_e64 v9, v12, v9, s0
	v_xor_b32_e32 v2, v2, v10
	v_xor_b32_e32 v9, v9, v10
	v_sub_co_u32 v11, vcc_lo, v2, v10
	v_sub_co_ci_u32_e64 v12, null, v9, v10, vcc_lo
.LBB34_7:                               ;   in Loop: Header=BB34_5 Depth=1
	s_andn2_saveexec_b32 s0, s1
	s_cbranch_execz .LBB34_2
; %bb.8:                                ;   in Loop: Header=BB34_5 Depth=1
	s_sub_i32 s1, 0, s8
	v_mov_b32_e32 v12, v1
	v_mul_lo_u32 v2, s1, v0
	v_mul_hi_u32 v2, v0, v2
	v_add_nc_u32_e32 v2, v0, v2
	v_mul_hi_u32 v2, v3, v2
	v_mul_lo_u32 v9, v2, s8
	v_add_nc_u32_e32 v10, 1, v2
	v_sub_nc_u32_e32 v9, v3, v9
	v_subrev_nc_u32_e32 v11, s8, v9
	v_cmp_le_u32_e32 vcc_lo, s8, v9
	v_cndmask_b32_e32 v9, v9, v11, vcc_lo
	v_cndmask_b32_e32 v2, v2, v10, vcc_lo
	v_cmp_le_u32_e32 vcc_lo, s8, v9
	v_add_nc_u32_e32 v10, 1, v2
	v_cndmask_b32_e32 v11, v2, v10, vcc_lo
	s_branch .LBB34_2
.LBB34_9:                               ;   in Loop: Header=BB34_5 Depth=1
	v_mov_b32_e32 v17, 0
	v_mov_b32_e32 v29, 0
	v_mov_b32_e32 v33, 0
	v_mov_b32_e32 v19, 0
	v_mov_b32_e32 v31, 0
	v_mov_b32_e32 v35, 0
	v_mov_b32_e32 v18, 0
	v_mov_b32_e32 v30, 0
	v_mov_b32_e32 v34, 0
	v_mov_b32_e32 v20, 0
	v_mov_b32_e32 v32, 0
	v_mov_b32_e32 v36, 0
	s_branch .LBB34_4
.LBB34_10:
	s_endpgm
	.section	.rodata,"a",@progbits
	.p2align	6, 0x0
	.amdhsa_kernel _ZN2at6native12_GLOBAL__N_16kernel16gru_cell_forwardIddlLi1EEEvNS_4cuda6detail10TensorInfoIT_T1_EES9_S9_S9_S9_S9_S9_S8_S8_
		.amdhsa_group_segment_fixed_size 0
		.amdhsa_private_segment_fixed_size 0
		.amdhsa_kernarg_size 3184
		.amdhsa_user_sgpr_count 6
		.amdhsa_user_sgpr_private_segment_buffer 1
		.amdhsa_user_sgpr_dispatch_ptr 0
		.amdhsa_user_sgpr_queue_ptr 0
		.amdhsa_user_sgpr_kernarg_segment_ptr 1
		.amdhsa_user_sgpr_dispatch_id 0
		.amdhsa_user_sgpr_flat_scratch_init 0
		.amdhsa_user_sgpr_private_segment_size 0
		.amdhsa_wavefront_size32 1
		.amdhsa_uses_dynamic_stack 0
		.amdhsa_system_sgpr_private_segment_wavefront_offset 0
		.amdhsa_system_sgpr_workgroup_id_x 1
		.amdhsa_system_sgpr_workgroup_id_y 0
		.amdhsa_system_sgpr_workgroup_id_z 0
		.amdhsa_system_sgpr_workgroup_info 0
		.amdhsa_system_vgpr_workitem_id 0
		.amdhsa_next_free_vgpr 49
		.amdhsa_next_free_sgpr 85
		.amdhsa_reserve_vcc 1
		.amdhsa_reserve_flat_scratch 0
		.amdhsa_float_round_mode_32 0
		.amdhsa_float_round_mode_16_64 0
		.amdhsa_float_denorm_mode_32 3
		.amdhsa_float_denorm_mode_16_64 3
		.amdhsa_dx10_clamp 1
		.amdhsa_ieee_mode 1
		.amdhsa_fp16_overflow 0
		.amdhsa_workgroup_processor_mode 1
		.amdhsa_memory_ordered 1
		.amdhsa_forward_progress 1
		.amdhsa_shared_vgpr_count 0
		.amdhsa_exception_fp_ieee_invalid_op 0
		.amdhsa_exception_fp_denorm_src 0
		.amdhsa_exception_fp_ieee_div_zero 0
		.amdhsa_exception_fp_ieee_overflow 0
		.amdhsa_exception_fp_ieee_underflow 0
		.amdhsa_exception_fp_ieee_inexact 0
		.amdhsa_exception_int_div_zero 0
	.end_amdhsa_kernel
	.section	.text._ZN2at6native12_GLOBAL__N_16kernel16gru_cell_forwardIddlLi1EEEvNS_4cuda6detail10TensorInfoIT_T1_EES9_S9_S9_S9_S9_S9_S8_S8_,"axG",@progbits,_ZN2at6native12_GLOBAL__N_16kernel16gru_cell_forwardIddlLi1EEEvNS_4cuda6detail10TensorInfoIT_T1_EES9_S9_S9_S9_S9_S9_S8_S8_,comdat
.Lfunc_end34:
	.size	_ZN2at6native12_GLOBAL__N_16kernel16gru_cell_forwardIddlLi1EEEvNS_4cuda6detail10TensorInfoIT_T1_EES9_S9_S9_S9_S9_S9_S8_S8_, .Lfunc_end34-_ZN2at6native12_GLOBAL__N_16kernel16gru_cell_forwardIddlLi1EEEvNS_4cuda6detail10TensorInfoIT_T1_EES9_S9_S9_S9_S9_S9_S8_S8_
                                        ; -- End function
	.set _ZN2at6native12_GLOBAL__N_16kernel16gru_cell_forwardIddlLi1EEEvNS_4cuda6detail10TensorInfoIT_T1_EES9_S9_S9_S9_S9_S9_S8_S8_.num_vgpr, 49
	.set _ZN2at6native12_GLOBAL__N_16kernel16gru_cell_forwardIddlLi1EEEvNS_4cuda6detail10TensorInfoIT_T1_EES9_S9_S9_S9_S9_S9_S8_S8_.num_agpr, 0
	.set _ZN2at6native12_GLOBAL__N_16kernel16gru_cell_forwardIddlLi1EEEvNS_4cuda6detail10TensorInfoIT_T1_EES9_S9_S9_S9_S9_S9_S8_S8_.numbered_sgpr, 85
	.set _ZN2at6native12_GLOBAL__N_16kernel16gru_cell_forwardIddlLi1EEEvNS_4cuda6detail10TensorInfoIT_T1_EES9_S9_S9_S9_S9_S9_S8_S8_.num_named_barrier, 0
	.set _ZN2at6native12_GLOBAL__N_16kernel16gru_cell_forwardIddlLi1EEEvNS_4cuda6detail10TensorInfoIT_T1_EES9_S9_S9_S9_S9_S9_S8_S8_.private_seg_size, 0
	.set _ZN2at6native12_GLOBAL__N_16kernel16gru_cell_forwardIddlLi1EEEvNS_4cuda6detail10TensorInfoIT_T1_EES9_S9_S9_S9_S9_S9_S8_S8_.uses_vcc, 1
	.set _ZN2at6native12_GLOBAL__N_16kernel16gru_cell_forwardIddlLi1EEEvNS_4cuda6detail10TensorInfoIT_T1_EES9_S9_S9_S9_S9_S9_S8_S8_.uses_flat_scratch, 0
	.set _ZN2at6native12_GLOBAL__N_16kernel16gru_cell_forwardIddlLi1EEEvNS_4cuda6detail10TensorInfoIT_T1_EES9_S9_S9_S9_S9_S9_S8_S8_.has_dyn_sized_stack, 0
	.set _ZN2at6native12_GLOBAL__N_16kernel16gru_cell_forwardIddlLi1EEEvNS_4cuda6detail10TensorInfoIT_T1_EES9_S9_S9_S9_S9_S9_S8_S8_.has_recursion, 0
	.set _ZN2at6native12_GLOBAL__N_16kernel16gru_cell_forwardIddlLi1EEEvNS_4cuda6detail10TensorInfoIT_T1_EES9_S9_S9_S9_S9_S9_S8_S8_.has_indirect_call, 0
	.section	.AMDGPU.csdata,"",@progbits
; Kernel info:
; codeLenInByte = 4880
; TotalNumSgprs: 87
; NumVgprs: 49
; ScratchSize: 0
; MemoryBound: 0
; FloatMode: 240
; IeeeMode: 1
; LDSByteSize: 0 bytes/workgroup (compile time only)
; SGPRBlocks: 0
; VGPRBlocks: 6
; NumSGPRsForWavesPerEU: 87
; NumVGPRsForWavesPerEU: 49
; Occupancy: 16
; WaveLimiterHint : 1
; COMPUTE_PGM_RSRC2:SCRATCH_EN: 0
; COMPUTE_PGM_RSRC2:USER_SGPR: 6
; COMPUTE_PGM_RSRC2:TRAP_HANDLER: 0
; COMPUTE_PGM_RSRC2:TGID_X_EN: 1
; COMPUTE_PGM_RSRC2:TGID_Y_EN: 0
; COMPUTE_PGM_RSRC2:TGID_Z_EN: 0
; COMPUTE_PGM_RSRC2:TIDIG_COMP_CNT: 0
	.section	.text._ZN2at6native12_GLOBAL__N_16kernel16gru_cell_forwardIddlLi2EEEvNS_4cuda6detail10TensorInfoIT_T1_EES9_S9_S9_S9_S9_S9_S8_S8_,"axG",@progbits,_ZN2at6native12_GLOBAL__N_16kernel16gru_cell_forwardIddlLi2EEEvNS_4cuda6detail10TensorInfoIT_T1_EES9_S9_S9_S9_S9_S9_S8_S8_,comdat
	.globl	_ZN2at6native12_GLOBAL__N_16kernel16gru_cell_forwardIddlLi2EEEvNS_4cuda6detail10TensorInfoIT_T1_EES9_S9_S9_S9_S9_S9_S8_S8_ ; -- Begin function _ZN2at6native12_GLOBAL__N_16kernel16gru_cell_forwardIddlLi2EEEvNS_4cuda6detail10TensorInfoIT_T1_EES9_S9_S9_S9_S9_S9_S8_S8_
	.p2align	8
	.type	_ZN2at6native12_GLOBAL__N_16kernel16gru_cell_forwardIddlLi2EEEvNS_4cuda6detail10TensorInfoIT_T1_EES9_S9_S9_S9_S9_S9_S8_S8_,@function
_ZN2at6native12_GLOBAL__N_16kernel16gru_cell_forwardIddlLi2EEEvNS_4cuda6detail10TensorInfoIT_T1_EES9_S9_S9_S9_S9_S9_S8_S8_: ; @_ZN2at6native12_GLOBAL__N_16kernel16gru_cell_forwardIddlLi2EEEvNS_4cuda6detail10TensorInfoIT_T1_EES9_S9_S9_S9_S9_S9_S8_S8_
; %bb.0:
	s_clause 0x1
	s_load_dword s2, s[4:5], 0xb7c
	s_load_dwordx4 s[8:11], s[4:5], 0xb60
	v_mov_b32_e32 v1, 0
	s_add_u32 s0, s4, 0xb70
	s_addc_u32 s1, s5, 0
	s_mov_b32 s3, exec_lo
	s_waitcnt lgkmcnt(0)
	s_and_b32 s2, s2, 0xffff
	v_mad_u64_u32 v[3:4], null, s6, s2, v[0:1]
	v_mov_b32_e32 v4, v1
	v_cmpx_gt_i64_e64 s[10:11], v[3:4]
	s_cbranch_execz .LBB35_62
; %bb.1:
	v_cvt_f32_u32_e32 v0, s8
	s_load_dwordx2 s[6:7], s[4:5], 0x340
	s_load_dword s0, s[0:1], 0x0
	s_clause 0x11
	s_load_dwordx2 s[34:35], s[4:5], 0x0
	s_load_dwordx2 s[36:37], s[4:5], 0x10
	s_load_dwordx4 s[12:15], s[4:5], 0xd0
	s_load_dwordx2 s[38:39], s[4:5], 0x1a0
	s_load_dwordx2 s[40:41], s[4:5], 0x680
	;; [unrolled: 1-line block ×4, first 2 shown]
	s_load_dwordx4 s[16:19], s[4:5], 0x270
	s_load_dwordx2 s[46:47], s[4:5], 0x830
	s_load_dwordx2 s[48:49], s[4:5], 0x410
	;; [unrolled: 1-line block ×4, first 2 shown]
	s_load_dwordx4 s[20:23], s[4:5], 0x750
	s_load_dwordx2 s[54:55], s[4:5], 0x820
	s_load_dwordx4 s[24:27], s[4:5], 0x8f0
	s_load_dwordx2 s[56:57], s[4:5], 0x9c0
	s_load_dwordx2 s[58:59], s[4:5], 0x9d0
	s_load_dwordx4 s[28:31], s[4:5], 0xa90
                                        ; implicit-def: $vgpr47 : SGPR spill to VGPR lane
	s_waitcnt lgkmcnt(0)
	s_cmp_lg_u64 s[6:7], 0
	s_mul_i32 s0, s0, s2
	s_mov_b32 s64, 0x652b82fe
	v_writelane_b32 v47, s0, 0
	v_rcp_iflag_f32_e32 v0, v0
	s_cselect_b32 s0, -1, 0
	s_lshl_b64 s[60:61], s[8:9], 1
	s_lshl_b64 s[62:63], s[8:9], 2
	v_writelane_b32 v47, s0, 1
	s_sub_u32 s90, 0, s8
	s_subb_u32 s0, 0, s9
	s_sub_u32 s92, 0, s42
	s_mov_b32 s66, 0xfefa39ef
	v_writelane_b32 v47, s0, 2
	v_mul_f32_e32 v0, 0x4f7ffffe, v0
	s_subb_u32 s0, 0, s43
	s_sub_u32 s91, 0, s46
	s_mov_b32 s70, 0xfca7ab0c
	v_writelane_b32 v47, s0, 3
	v_cvt_u32_f32_e32 v0, v0
	s_mov_b32 s72, 0x6a5dcb37
	s_mov_b32 s74, 0x623fde64
	;; [unrolled: 1-line block ×9, first 2 shown]
	s_mov_b32 vcc_hi, 0
	s_subb_u32 s0, 0, s47
	s_mov_b32 s65, 0xbff71547
	s_mov_b32 s67, 0xbfe62e42
	;; [unrolled: 1-line block ×14, first 2 shown]
	v_writelane_b32 v47, s0, 4
	s_branch .LBB35_3
.LBB35_2:                               ;   in Loop: Header=BB35_3 Depth=1
	s_or_b32 exec_lo, exec_lo, s0
	v_mul_lo_u32 v2, v10, s58
	v_mul_lo_u32 v13, v9, s59
	v_mad_u64_u32 v[11:12], null, v9, s58, 0
	v_mul_lo_u32 v14, v10, s28
	v_readlane_b32 s0, v47, 0
	v_add3_u32 v2, v12, v13, v2
	v_sub_co_u32 v5, vcc_lo, v5, v11
	v_mul_lo_u32 v11, v9, s29
	v_sub_co_ci_u32_e64 v2, null, v6, v2, vcc_lo
	v_add_co_u32 v10, vcc_lo, v3, v5
	v_mad_u64_u32 v[5:6], null, v9, s28, 0
	v_add_co_ci_u32_e64 v2, null, v4, v2, vcc_lo
	v_mul_lo_u32 v12, v10, s31
	v_mad_u64_u32 v[9:10], null, v10, s30, 0
	v_mul_lo_u32 v2, v2, s30
	v_add3_u32 v6, v6, v11, v14
	v_add_co_u32 v3, vcc_lo, v3, s0
	v_add_co_ci_u32_e64 v4, null, 0, v4, vcc_lo
	v_lshlrev_b64 v[5:6], 3, v[5:6]
	v_add3_u32 v10, v10, v12, v2
	v_add_co_u32 v2, vcc_lo, s56, v5
	v_lshlrev_b64 v[9:10], 3, v[9:10]
	v_add_co_ci_u32_e64 v6, null, s57, v6, vcc_lo
	v_cmp_le_i64_e32 vcc_lo, s[10:11], v[3:4]
	v_add_co_u32 v5, s0, v2, v9
	v_add_co_ci_u32_e64 v6, null, v6, v10, s0
	s_or_b32 vcc_hi, vcc_lo, vcc_hi
	global_store_dwordx2 v[5:6], v[7:8], off
	s_andn2_b32 exec_lo, exec_lo, vcc_hi
	s_cbranch_execz .LBB35_62
.LBB35_3:                               ; =>This Inner Loop Header: Depth=1
	v_or_b32_e32 v2, s9, v4
	v_ashrrev_i32_e32 v23, 31, v4
                                        ; implicit-def: $vgpr5_vgpr6
	s_mov_b32 s0, exec_lo
	v_cmpx_ne_u64_e32 0, v[1:2]
	s_xor_b32 s69, exec_lo, s0
	s_cbranch_execz .LBB35_5
; %bb.4:                                ;   in Loop: Header=BB35_3 Depth=1
	s_ashr_i32 s96, s9, 31
	s_add_u32 s0, s8, s96
	s_mov_b32 s97, s96
	s_addc_u32 s1, s9, s96
	s_xor_b64 s[98:99], s[0:1], s[96:97]
	v_cvt_f32_u32_e32 v2, s98
	v_cvt_f32_u32_e32 v5, s99
	s_sub_u32 s2, 0, s98
	s_subb_u32 s3, 0, s99
	v_fmac_f32_e32 v2, 0x4f800000, v5
	v_rcp_f32_e32 v2, v2
	v_mul_f32_e32 v2, 0x5f7ffffc, v2
	v_mul_f32_e32 v5, 0x2f800000, v2
	v_trunc_f32_e32 v5, v5
	v_fmac_f32_e32 v2, 0xcf800000, v5
	v_cvt_u32_f32_e32 v5, v5
	v_cvt_u32_f32_e32 v2, v2
	v_readfirstlane_b32 s0, v5
	v_add_co_u32 v5, vcc_lo, v3, v23
	v_readfirstlane_b32 s1, v2
	s_mul_i32 s4, s2, s0
	v_xor_b32_e32 v2, v5, v23
	s_mul_hi_u32 s97, s2, s1
	s_mul_i32 s95, s3, s1
	s_add_i32 s4, s97, s4
	s_mul_i32 s33, s2, s1
	s_add_i32 s4, s4, s95
	s_mul_hi_u32 s97, s1, s33
	s_mul_i32 s93, s1, s4
	s_mul_hi_u32 s95, s1, s4
	s_mul_hi_u32 s104, s0, s33
	s_mul_i32 s33, s0, s33
	s_add_u32 s93, s97, s93
	s_addc_u32 s95, 0, s95
	s_mul_hi_u32 s68, s0, s4
	s_add_u32 s33, s93, s33
	s_mul_i32 s4, s0, s4
	s_addc_u32 s33, s95, s104
	s_addc_u32 s68, s68, 0
	s_add_u32 s4, s33, s4
	s_addc_u32 s33, 0, s68
	s_add_u32 s1, s1, s4
	s_cselect_b32 s4, -1, 0
	s_mul_hi_u32 s68, s2, s1
	s_cmp_lg_u32 s4, 0
	s_mul_i32 s4, s2, s1
	s_addc_u32 s0, s0, s33
	s_mul_i32 s3, s3, s1
	s_mul_i32 s2, s2, s0
	s_mul_hi_u32 s33, s1, s4
	s_add_i32 s2, s68, s2
	s_mul_hi_u32 s68, s0, s4
	s_add_i32 s2, s2, s3
	s_mul_i32 s3, s0, s4
	s_mul_i32 s95, s1, s2
	s_mul_hi_u32 s93, s1, s2
	s_add_u32 s33, s33, s95
	s_addc_u32 s93, 0, s93
	s_mul_hi_u32 s4, s0, s2
	s_add_u32 s3, s33, s3
	s_mul_i32 s2, s0, s2
	s_addc_u32 s3, s93, s68
	s_addc_u32 s4, s4, 0
	s_add_u32 s2, s3, s2
	s_addc_u32 s3, 0, s4
	s_add_u32 s1, s1, s2
	s_cselect_b32 s2, -1, 0
	v_mul_hi_u32 v7, v2, s1
	s_cmp_lg_u32 s2, 0
	s_addc_u32 s2, s0, s3
	v_mad_u64_u32 v[5:6], null, v2, s2, 0
	v_add_co_u32 v7, s0, v7, v5
	v_add_co_ci_u32_e64 v5, null, v4, v23, vcc_lo
	v_add_co_ci_u32_e64 v8, null, 0, v6, s0
	v_xor_b32_e32 v9, v5, v23
	v_mad_u64_u32 v[5:6], null, v9, s1, 0
	v_add_co_u32 v5, vcc_lo, v7, v5
	v_add_co_ci_u32_e32 v7, vcc_lo, v8, v6, vcc_lo
	v_mad_u64_u32 v[5:6], null, v9, s2, 0
	v_add_co_u32 v7, s0, v7, v5
	v_add_co_ci_u32_e32 v5, vcc_lo, 0, v6, vcc_lo
	v_mul_lo_u32 v10, s99, v7
	v_add_co_ci_u32_e64 v8, null, 0, v5, s0
	v_mad_u64_u32 v[5:6], null, s98, v7, 0
	v_mul_lo_u32 v11, s98, v8
	v_sub_co_u32 v2, vcc_lo, v2, v5
	v_add3_u32 v6, v6, v11, v10
	v_cmp_le_u32_e64 s0, s98, v2
	v_sub_co_u32 v2, s1, v2, s98
	v_sub_nc_u32_e32 v5, v9, v6
	v_sub_co_ci_u32_e64 v6, null, v9, v6, vcc_lo
	v_cmp_le_u32_e64 s2, s98, v2
	v_subrev_co_ci_u32_e64 v2, null, s99, v5, vcc_lo
	v_cmp_le_u32_e64 s3, s99, v6
	v_cmp_eq_u32_e64 s4, s99, v6
	v_subrev_co_ci_u32_e64 v2, null, 0, v2, s1
	v_cndmask_b32_e64 v5, 0, -1, s3
	v_cmp_le_u32_e32 vcc_lo, s99, v2
	v_cmp_eq_u32_e64 s1, s99, v2
	v_cndmask_b32_e64 v2, 0, -1, s0
	v_cndmask_b32_e64 v6, 0, -1, vcc_lo
	v_cndmask_b32_e64 v2, v5, v2, s4
	v_cndmask_b32_e64 v5, 0, -1, s2
	v_cmp_ne_u32_e32 vcc_lo, 0, v2
	v_cndmask_b32_e64 v5, v6, v5, s1
	v_add_co_u32 v2, s1, v7, 2
	v_add_co_ci_u32_e64 v6, null, 0, v8, s1
	v_cmp_ne_u32_e64 s0, 0, v5
	v_add_co_u32 v5, s2, v7, 1
	v_add_co_ci_u32_e64 v9, null, 0, v8, s2
	v_cndmask_b32_e64 v2, v5, v2, s0
	v_cndmask_b32_e64 v6, v9, v6, s0
	v_cndmask_b32_e32 v2, v7, v2, vcc_lo
	v_cndmask_b32_e32 v5, v8, v6, vcc_lo
	v_xor_b32_e32 v6, s96, v23
	v_xor_b32_e32 v2, v2, v6
	;; [unrolled: 1-line block ×3, first 2 shown]
	v_sub_co_u32 v5, vcc_lo, v2, v6
	v_sub_co_ci_u32_e64 v6, null, v7, v6, vcc_lo
.LBB35_5:                               ;   in Loop: Header=BB35_3 Depth=1
	s_andn2_saveexec_b32 s0, s69
	s_cbranch_execz .LBB35_7
; %bb.6:                                ;   in Loop: Header=BB35_3 Depth=1
	s_sub_i32 s1, 0, s8
	v_mul_lo_u32 v2, s1, v0
	v_mul_hi_u32 v2, v0, v2
	v_add_nc_u32_e32 v2, v0, v2
	v_mul_hi_u32 v2, v3, v2
	v_mul_lo_u32 v5, v2, s8
	v_add_nc_u32_e32 v6, 1, v2
	v_sub_nc_u32_e32 v5, v3, v5
	v_subrev_nc_u32_e32 v7, s8, v5
	v_cmp_le_u32_e32 vcc_lo, s8, v5
	v_cndmask_b32_e32 v5, v5, v7, vcc_lo
	v_cndmask_b32_e32 v2, v2, v6, vcc_lo
	v_cmp_le_u32_e32 vcc_lo, s8, v5
	v_add_nc_u32_e32 v6, 1, v2
	v_cndmask_b32_e32 v5, v2, v6, vcc_lo
	v_mov_b32_e32 v6, v1
.LBB35_7:                               ;   in Loop: Header=BB35_3 Depth=1
	s_or_b32 exec_lo, exec_lo, s0
	v_mul_lo_u32 v2, s61, v5
	v_mul_lo_u32 v7, s60, v6
	v_mad_u64_u32 v[11:12], null, s60, v5, 0
	s_mov_b32 s0, exec_lo
	v_add3_u32 v12, v12, v7, v2
	v_add_co_u32 v28, vcc_lo, v3, v11
                                        ; implicit-def: $vgpr7_vgpr8
	v_add_co_ci_u32_e64 v25, null, v4, v12, vcc_lo
	v_or_b32_e32 v2, s37, v25
	v_ashrrev_i32_e32 v21, 31, v25
	v_cmpx_ne_u64_e32 0, v[1:2]
	s_xor_b32 s69, exec_lo, s0
	s_cbranch_execz .LBB35_9
; %bb.8:                                ;   in Loop: Header=BB35_3 Depth=1
	s_ashr_i32 s96, s37, 31
	s_add_u32 s0, s36, s96
	s_mov_b32 s97, s96
	s_addc_u32 s1, s37, s96
	s_xor_b64 s[98:99], s[0:1], s[96:97]
	v_cvt_f32_u32_e32 v2, s98
	v_cvt_f32_u32_e32 v7, s99
	s_sub_u32 s2, 0, s98
	s_subb_u32 s3, 0, s99
	v_fmac_f32_e32 v2, 0x4f800000, v7
	v_rcp_f32_e32 v2, v2
	v_mul_f32_e32 v2, 0x5f7ffffc, v2
	v_mul_f32_e32 v7, 0x2f800000, v2
	v_trunc_f32_e32 v7, v7
	v_fmac_f32_e32 v2, 0xcf800000, v7
	v_cvt_u32_f32_e32 v7, v7
	v_cvt_u32_f32_e32 v2, v2
	v_readfirstlane_b32 s0, v7
	v_add_co_u32 v7, vcc_lo, v28, v21
	v_readfirstlane_b32 s1, v2
	s_mul_i32 s4, s2, s0
	v_xor_b32_e32 v2, v7, v21
	s_mul_hi_u32 s68, s2, s1
	s_mul_i32 s33, s3, s1
	s_add_i32 s4, s68, s4
	s_mul_i32 s93, s2, s1
	s_add_i32 s4, s4, s33
	s_mul_hi_u32 s68, s1, s93
	s_mul_i32 s97, s1, s4
	s_mul_hi_u32 s95, s0, s93
	s_mul_i32 s33, s0, s93
	s_mul_hi_u32 s93, s1, s4
	s_add_u32 s68, s68, s97
	s_addc_u32 s93, 0, s93
	s_mul_hi_u32 s104, s0, s4
	s_add_u32 s33, s68, s33
	s_mul_i32 s4, s0, s4
	s_addc_u32 s33, s93, s95
	s_addc_u32 s68, s104, 0
	s_add_u32 s4, s33, s4
	s_addc_u32 s33, 0, s68
	s_add_u32 s1, s1, s4
	s_cselect_b32 s4, -1, 0
	s_mul_hi_u32 s68, s2, s1
	s_cmp_lg_u32 s4, 0
	s_mul_i32 s4, s2, s1
	s_addc_u32 s0, s0, s33
	s_mul_i32 s3, s3, s1
	s_mul_i32 s2, s2, s0
	s_mul_hi_u32 s33, s1, s4
	s_add_i32 s2, s68, s2
	s_mul_hi_u32 s68, s0, s4
	s_add_i32 s2, s2, s3
	s_mul_i32 s3, s0, s4
	s_mul_i32 s95, s1, s2
	s_mul_hi_u32 s93, s1, s2
	s_add_u32 s33, s33, s95
	s_addc_u32 s93, 0, s93
	s_mul_hi_u32 s4, s0, s2
	s_add_u32 s3, s33, s3
	s_mul_i32 s2, s0, s2
	s_addc_u32 s3, s93, s68
	s_addc_u32 s4, s4, 0
	s_add_u32 s2, s3, s2
	s_addc_u32 s3, 0, s4
	s_add_u32 s1, s1, s2
	s_cselect_b32 s2, -1, 0
	v_mul_hi_u32 v9, v2, s1
	s_cmp_lg_u32 s2, 0
	s_addc_u32 s2, s0, s3
	v_mad_u64_u32 v[7:8], null, v2, s2, 0
	v_add_co_u32 v9, s0, v9, v7
	v_add_co_ci_u32_e64 v7, null, v25, v21, vcc_lo
	v_add_co_ci_u32_e64 v10, null, 0, v8, s0
	v_xor_b32_e32 v13, v7, v21
	v_mad_u64_u32 v[7:8], null, v13, s1, 0
	v_add_co_u32 v7, vcc_lo, v9, v7
	v_add_co_ci_u32_e32 v9, vcc_lo, v10, v8, vcc_lo
	v_mad_u64_u32 v[7:8], null, v13, s2, 0
	v_add_co_u32 v9, s0, v9, v7
	v_add_co_ci_u32_e32 v7, vcc_lo, 0, v8, vcc_lo
	v_mul_lo_u32 v14, s99, v9
	v_add_co_ci_u32_e64 v10, null, 0, v7, s0
	v_mad_u64_u32 v[7:8], null, s98, v9, 0
	v_mul_lo_u32 v15, s98, v10
	v_sub_co_u32 v2, vcc_lo, v2, v7
	v_add3_u32 v8, v8, v15, v14
	v_cmp_le_u32_e64 s0, s98, v2
	v_sub_co_u32 v2, s1, v2, s98
	v_sub_nc_u32_e32 v7, v13, v8
	v_sub_co_ci_u32_e64 v8, null, v13, v8, vcc_lo
	v_cmp_le_u32_e64 s2, s98, v2
	v_subrev_co_ci_u32_e64 v2, null, s99, v7, vcc_lo
	v_cmp_le_u32_e64 s3, s99, v8
	v_cmp_eq_u32_e64 s4, s99, v8
	v_subrev_co_ci_u32_e64 v2, null, 0, v2, s1
	v_cndmask_b32_e64 v7, 0, -1, s3
	v_cmp_le_u32_e32 vcc_lo, s99, v2
	v_cmp_eq_u32_e64 s1, s99, v2
	v_cndmask_b32_e64 v2, 0, -1, s0
	v_cndmask_b32_e64 v8, 0, -1, vcc_lo
	v_cndmask_b32_e64 v2, v7, v2, s4
	v_cndmask_b32_e64 v7, 0, -1, s2
	v_cmp_ne_u32_e32 vcc_lo, 0, v2
	v_cndmask_b32_e64 v7, v8, v7, s1
	v_add_co_u32 v2, s1, v9, 2
	v_add_co_ci_u32_e64 v8, null, 0, v10, s1
	v_cmp_ne_u32_e64 s0, 0, v7
	v_add_co_u32 v7, s2, v9, 1
	v_add_co_ci_u32_e64 v13, null, 0, v10, s2
	v_cndmask_b32_e64 v2, v7, v2, s0
	v_cndmask_b32_e64 v8, v13, v8, s0
	v_cndmask_b32_e32 v2, v9, v2, vcc_lo
	v_cndmask_b32_e32 v7, v10, v8, vcc_lo
	v_xor_b32_e32 v8, s96, v21
	v_xor_b32_e32 v2, v2, v8
	v_xor_b32_e32 v9, v7, v8
	v_sub_co_u32 v7, vcc_lo, v2, v8
	v_sub_co_ci_u32_e64 v8, null, v9, v8, vcc_lo
.LBB35_9:                               ;   in Loop: Header=BB35_3 Depth=1
	s_or_saveexec_b32 s0, s69
	v_cvt_f32_u32_e32 v15, s36
	s_xor_b32 exec_lo, exec_lo, s0
	s_cbranch_execz .LBB35_11
; %bb.10:                               ;   in Loop: Header=BB35_3 Depth=1
	v_rcp_iflag_f32_e32 v2, v15
	s_sub_i32 s1, 0, s36
	v_mul_f32_e32 v2, 0x4f7ffffe, v2
	v_cvt_u32_f32_e32 v2, v2
	v_mul_lo_u32 v7, s1, v2
	v_mul_hi_u32 v7, v2, v7
	v_add_nc_u32_e32 v2, v2, v7
	v_mul_hi_u32 v2, v28, v2
	v_mul_lo_u32 v7, v2, s36
	v_add_nc_u32_e32 v8, 1, v2
	v_sub_nc_u32_e32 v7, v28, v7
	v_subrev_nc_u32_e32 v9, s36, v7
	v_cmp_le_u32_e32 vcc_lo, s36, v7
	v_cndmask_b32_e32 v7, v7, v9, vcc_lo
	v_cndmask_b32_e32 v2, v2, v8, vcc_lo
	v_cmp_le_u32_e32 vcc_lo, s36, v7
	v_add_nc_u32_e32 v8, 1, v2
	v_cndmask_b32_e32 v7, v2, v8, vcc_lo
	v_mov_b32_e32 v8, v1
.LBB35_11:                              ;   in Loop: Header=BB35_3 Depth=1
	s_or_b32 exec_lo, exec_lo, s0
	v_mul_lo_u32 v2, v8, s36
	v_mul_lo_u32 v13, v7, s37
	v_mad_u64_u32 v[9:10], null, v7, s36, 0
	v_mul_lo_u32 v14, v7, s13
	s_mov_b32 s0, exec_lo
	v_add3_u32 v2, v10, v13, v2
	v_mul_lo_u32 v13, v8, s12
	v_sub_co_u32 v8, vcc_lo, v11, v9
	v_sub_co_ci_u32_e64 v2, null, v12, v2, vcc_lo
	v_add_co_u32 v9, vcc_lo, v3, v8
	v_mad_u64_u32 v[7:8], null, v7, s12, 0
	v_add_co_ci_u32_e64 v2, null, v4, v2, vcc_lo
	v_mul_lo_u32 v16, v9, s15
	v_mad_u64_u32 v[9:10], null, v9, s14, 0
	v_mul_lo_u32 v2, v2, s14
	v_add3_u32 v8, v8, v14, v13
	v_lshlrev_b64 v[13:14], 1, v[5:6]
	v_lshlrev_b64 v[7:8], 3, v[7:8]
	v_add3_u32 v10, v10, v16, v2
	v_mad_u64_u32 v[17:18], null, s8, v13, s[8:9]
	v_add_co_u32 v2, vcc_lo, s34, v7
	v_lshlrev_b64 v[9:10], 3, v[9:10]
	v_add_co_ci_u32_e64 v8, null, s35, v8, vcc_lo
	v_add_co_u32 v7, vcc_lo, v2, v9
	v_add_co_ci_u32_e64 v8, null, v8, v10, vcc_lo
	v_alignbit_b32 v2, v6, v5, 31
	v_mul_lo_u32 v9, s9, v13
	v_add_co_u32 v29, vcc_lo, v3, v17
	global_load_dwordx2 v[7:8], v[7:8], off
	v_mul_lo_u32 v2, s8, v2
	v_add3_u32 v18, v9, v18, v2
                                        ; implicit-def: $vgpr9_vgpr10
	v_add_co_ci_u32_e64 v26, null, v4, v18, vcc_lo
	v_or_b32_e32 v2, s37, v26
	v_ashrrev_i32_e32 v22, 31, v26
	v_cmpx_ne_u64_e32 0, v[1:2]
	s_xor_b32 s69, exec_lo, s0
	s_cbranch_execz .LBB35_13
; %bb.12:                               ;   in Loop: Header=BB35_3 Depth=1
	s_ashr_i32 s96, s37, 31
	s_add_u32 s0, s36, s96
	s_mov_b32 s97, s96
	s_addc_u32 s1, s37, s96
	s_xor_b64 s[98:99], s[0:1], s[96:97]
	v_cvt_f32_u32_e32 v2, s98
	v_cvt_f32_u32_e32 v9, s99
	s_sub_u32 s2, 0, s98
	s_subb_u32 s3, 0, s99
	v_fmac_f32_e32 v2, 0x4f800000, v9
	v_rcp_f32_e32 v2, v2
	v_mul_f32_e32 v2, 0x5f7ffffc, v2
	v_mul_f32_e32 v9, 0x2f800000, v2
	v_trunc_f32_e32 v9, v9
	v_fmac_f32_e32 v2, 0xcf800000, v9
	v_cvt_u32_f32_e32 v9, v9
	v_cvt_u32_f32_e32 v2, v2
	v_readfirstlane_b32 s0, v9
	v_add_co_u32 v9, vcc_lo, v29, v22
	v_readfirstlane_b32 s1, v2
	s_mul_i32 s4, s2, s0
	v_xor_b32_e32 v2, v9, v22
	s_mul_hi_u32 s68, s2, s1
	s_mul_i32 s33, s3, s1
	s_add_i32 s4, s68, s4
	s_mul_i32 s93, s2, s1
	s_add_i32 s4, s4, s33
	s_mul_hi_u32 s68, s1, s93
	s_mul_i32 s97, s1, s4
	s_mul_hi_u32 s95, s0, s93
	s_mul_i32 s33, s0, s93
	s_mul_hi_u32 s93, s1, s4
	s_add_u32 s68, s68, s97
	s_addc_u32 s93, 0, s93
	s_mul_hi_u32 s104, s0, s4
	s_add_u32 s33, s68, s33
	s_mul_i32 s4, s0, s4
	s_addc_u32 s33, s93, s95
	s_addc_u32 s68, s104, 0
	s_add_u32 s4, s33, s4
	s_addc_u32 s33, 0, s68
	s_add_u32 s1, s1, s4
	s_cselect_b32 s4, -1, 0
	s_mul_hi_u32 s68, s2, s1
	s_cmp_lg_u32 s4, 0
	s_mul_i32 s4, s2, s1
	s_addc_u32 s0, s0, s33
	s_mul_i32 s3, s3, s1
	s_mul_i32 s2, s2, s0
	s_mul_hi_u32 s33, s1, s4
	s_add_i32 s2, s68, s2
	s_mul_hi_u32 s68, s0, s4
	s_add_i32 s2, s2, s3
	s_mul_i32 s3, s0, s4
	s_mul_i32 s95, s1, s2
	s_mul_hi_u32 s93, s1, s2
	s_add_u32 s33, s33, s95
	s_addc_u32 s93, 0, s93
	s_mul_hi_u32 s4, s0, s2
	s_add_u32 s3, s33, s3
	s_mul_i32 s2, s0, s2
	s_addc_u32 s3, s93, s68
	s_addc_u32 s4, s4, 0
	s_add_u32 s2, s3, s2
	s_addc_u32 s3, 0, s4
	s_add_u32 s1, s1, s2
	s_cselect_b32 s2, -1, 0
	v_mul_hi_u32 v16, v2, s1
	s_cmp_lg_u32 s2, 0
	s_addc_u32 s2, s0, s3
	v_mad_u64_u32 v[9:10], null, v2, s2, 0
	v_add_co_u32 v16, s0, v16, v9
	v_add_co_ci_u32_e64 v9, null, v26, v22, vcc_lo
	v_add_co_ci_u32_e64 v19, null, 0, v10, s0
	v_xor_b32_e32 v20, v9, v22
	v_mad_u64_u32 v[9:10], null, v20, s1, 0
	v_add_co_u32 v9, vcc_lo, v16, v9
	v_add_co_ci_u32_e32 v16, vcc_lo, v19, v10, vcc_lo
	v_mad_u64_u32 v[9:10], null, v20, s2, 0
	v_add_co_u32 v16, s0, v16, v9
	v_add_co_ci_u32_e32 v9, vcc_lo, 0, v10, vcc_lo
	v_mul_lo_u32 v24, s99, v16
	v_add_co_ci_u32_e64 v19, null, 0, v9, s0
	v_mad_u64_u32 v[9:10], null, s98, v16, 0
	v_mul_lo_u32 v27, s98, v19
	v_sub_co_u32 v2, vcc_lo, v2, v9
	v_add3_u32 v10, v10, v27, v24
	v_cmp_le_u32_e64 s0, s98, v2
	v_sub_co_u32 v2, s1, v2, s98
	v_sub_nc_u32_e32 v9, v20, v10
	v_sub_co_ci_u32_e64 v10, null, v20, v10, vcc_lo
	v_cmp_le_u32_e64 s2, s98, v2
	v_subrev_co_ci_u32_e64 v2, null, s99, v9, vcc_lo
	v_cmp_le_u32_e64 s3, s99, v10
	v_cmp_eq_u32_e64 s4, s99, v10
	v_subrev_co_ci_u32_e64 v2, null, 0, v2, s1
	v_cndmask_b32_e64 v9, 0, -1, s3
	v_cmp_le_u32_e32 vcc_lo, s99, v2
	v_cmp_eq_u32_e64 s1, s99, v2
	v_cndmask_b32_e64 v2, 0, -1, s0
	v_cndmask_b32_e64 v10, 0, -1, vcc_lo
	v_cndmask_b32_e64 v2, v9, v2, s4
	v_cndmask_b32_e64 v9, 0, -1, s2
	v_cmp_ne_u32_e32 vcc_lo, 0, v2
	v_cndmask_b32_e64 v9, v10, v9, s1
	v_add_co_u32 v2, s1, v16, 2
	v_add_co_ci_u32_e64 v10, null, 0, v19, s1
	v_cmp_ne_u32_e64 s0, 0, v9
	v_add_co_u32 v9, s2, v16, 1
	v_add_co_ci_u32_e64 v20, null, 0, v19, s2
	v_cndmask_b32_e64 v2, v9, v2, s0
	v_cndmask_b32_e64 v10, v20, v10, s0
	v_cndmask_b32_e32 v2, v16, v2, vcc_lo
	v_cndmask_b32_e32 v9, v19, v10, vcc_lo
	v_xor_b32_e32 v10, s96, v22
	v_xor_b32_e32 v2, v2, v10
	;; [unrolled: 1-line block ×3, first 2 shown]
	v_sub_co_u32 v9, vcc_lo, v2, v10
	v_sub_co_ci_u32_e64 v10, null, v16, v10, vcc_lo
.LBB35_13:                              ;   in Loop: Header=BB35_3 Depth=1
	s_andn2_saveexec_b32 s0, s69
	s_cbranch_execz .LBB35_15
; %bb.14:                               ;   in Loop: Header=BB35_3 Depth=1
	v_rcp_iflag_f32_e32 v2, v15
	s_sub_i32 s1, 0, s36
	v_mul_f32_e32 v2, 0x4f7ffffe, v2
	v_cvt_u32_f32_e32 v2, v2
	v_mul_lo_u32 v9, s1, v2
	v_mul_hi_u32 v9, v2, v9
	v_add_nc_u32_e32 v2, v2, v9
	v_mul_hi_u32 v2, v29, v2
	v_mul_lo_u32 v9, v2, s36
	v_add_nc_u32_e32 v10, 1, v2
	v_sub_nc_u32_e32 v9, v29, v9
	v_subrev_nc_u32_e32 v16, s36, v9
	v_cmp_le_u32_e32 vcc_lo, s36, v9
	v_cndmask_b32_e32 v9, v9, v16, vcc_lo
	v_cndmask_b32_e32 v2, v2, v10, vcc_lo
	v_cmp_le_u32_e32 vcc_lo, s36, v9
	v_add_nc_u32_e32 v10, 1, v2
	v_cndmask_b32_e32 v9, v2, v10, vcc_lo
	v_mov_b32_e32 v10, v1
.LBB35_15:                              ;   in Loop: Header=BB35_3 Depth=1
	s_or_b32 exec_lo, exec_lo, s0
	v_mul_lo_u32 v2, v10, s36
	v_mul_lo_u32 v16, v9, s37
	v_mad_u64_u32 v[19:20], null, v9, s36, 0
	v_mul_lo_u32 v24, v9, s13
	s_mov_b32 s0, exec_lo
	v_add3_u32 v2, v20, v16, v2
	v_mul_lo_u32 v16, v10, s12
	v_sub_co_u32 v10, vcc_lo, v17, v19
	v_sub_co_ci_u32_e64 v2, null, v18, v2, vcc_lo
	v_add_co_u32 v19, vcc_lo, v3, v10
	v_mad_u64_u32 v[9:10], null, v9, s12, 0
	v_add_co_ci_u32_e64 v2, null, v4, v2, vcc_lo
	v_mul_lo_u32 v27, v19, s15
	v_mad_u64_u32 v[19:20], null, v19, s14, 0
	v_mul_lo_u32 v2, v2, s14
	v_add3_u32 v10, v10, v24, v16
	v_lshlrev_b64 v[9:10], 3, v[9:10]
	v_add3_u32 v20, v20, v27, v2
	v_add_co_u32 v2, vcc_lo, s34, v9
	v_lshlrev_b64 v[19:20], 3, v[19:20]
	v_add_co_ci_u32_e64 v10, null, s35, v10, vcc_lo
	v_add_co_u32 v9, vcc_lo, v2, v19
	v_add_co_ci_u32_e64 v10, null, v10, v20, vcc_lo
	v_add_co_u32 v2, vcc_lo, v13, 2
	v_add_co_ci_u32_e64 v13, null, 0, v14, vcc_lo
	global_load_dwordx2 v[9:10], v[9:10], off
	v_mul_lo_u32 v14, s9, v2
	v_mad_u64_u32 v[19:20], null, s8, v2, 0
	v_mul_lo_u32 v13, s8, v13
	v_add_co_u32 v30, vcc_lo, v3, v19
	v_add3_u32 v20, v20, v13, v14
                                        ; implicit-def: $vgpr13_vgpr14
	v_add_co_ci_u32_e64 v27, null, v4, v20, vcc_lo
	v_or_b32_e32 v2, s37, v27
	v_ashrrev_i32_e32 v24, 31, v27
	v_cmpx_ne_u64_e32 0, v[1:2]
	s_xor_b32 s69, exec_lo, s0
	s_cbranch_execz .LBB35_17
; %bb.16:                               ;   in Loop: Header=BB35_3 Depth=1
	s_ashr_i32 s96, s37, 31
	s_add_u32 s0, s36, s96
	s_mov_b32 s97, s96
	s_addc_u32 s1, s37, s96
	s_xor_b64 s[98:99], s[0:1], s[96:97]
	v_cvt_f32_u32_e32 v2, s98
	v_cvt_f32_u32_e32 v13, s99
	s_sub_u32 s2, 0, s98
	s_subb_u32 s3, 0, s99
	v_fmac_f32_e32 v2, 0x4f800000, v13
	v_rcp_f32_e32 v2, v2
	v_mul_f32_e32 v2, 0x5f7ffffc, v2
	v_mul_f32_e32 v13, 0x2f800000, v2
	v_trunc_f32_e32 v13, v13
	v_fmac_f32_e32 v2, 0xcf800000, v13
	v_cvt_u32_f32_e32 v13, v13
	v_cvt_u32_f32_e32 v2, v2
	v_readfirstlane_b32 s0, v13
	v_add_co_u32 v13, vcc_lo, v30, v24
	v_readfirstlane_b32 s1, v2
	s_mul_i32 s4, s2, s0
	v_xor_b32_e32 v2, v13, v24
	s_mul_hi_u32 s68, s2, s1
	s_mul_i32 s33, s3, s1
	s_add_i32 s4, s68, s4
	s_mul_i32 s93, s2, s1
	s_add_i32 s4, s4, s33
	s_mul_hi_u32 s68, s1, s93
	s_mul_i32 s97, s1, s4
	s_mul_hi_u32 s95, s0, s93
	s_mul_i32 s33, s0, s93
	s_mul_hi_u32 s93, s1, s4
	s_add_u32 s68, s68, s97
	s_addc_u32 s93, 0, s93
	s_mul_hi_u32 s104, s0, s4
	s_add_u32 s33, s68, s33
	s_mul_i32 s4, s0, s4
	s_addc_u32 s33, s93, s95
	s_addc_u32 s68, s104, 0
	s_add_u32 s4, s33, s4
	s_addc_u32 s33, 0, s68
	s_add_u32 s1, s1, s4
	s_cselect_b32 s4, -1, 0
	s_mul_hi_u32 s68, s2, s1
	s_cmp_lg_u32 s4, 0
	s_mul_i32 s4, s2, s1
	s_addc_u32 s0, s0, s33
	s_mul_i32 s3, s3, s1
	s_mul_i32 s2, s2, s0
	s_mul_hi_u32 s33, s1, s4
	s_add_i32 s2, s68, s2
	s_mul_hi_u32 s68, s0, s4
	s_add_i32 s2, s2, s3
	s_mul_i32 s3, s0, s4
	s_mul_i32 s95, s1, s2
	s_mul_hi_u32 s93, s1, s2
	s_add_u32 s33, s33, s95
	s_addc_u32 s93, 0, s93
	s_mul_hi_u32 s4, s0, s2
	s_add_u32 s3, s33, s3
	s_mul_i32 s2, s0, s2
	s_addc_u32 s3, s93, s68
	s_addc_u32 s4, s4, 0
	s_add_u32 s2, s3, s2
	s_addc_u32 s3, 0, s4
	s_add_u32 s1, s1, s2
	s_cselect_b32 s2, -1, 0
	v_mul_hi_u32 v15, v2, s1
	s_cmp_lg_u32 s2, 0
	s_addc_u32 s2, s0, s3
	v_mad_u64_u32 v[13:14], null, v2, s2, 0
	v_add_co_u32 v15, s0, v15, v13
	v_add_co_ci_u32_e64 v13, null, v27, v24, vcc_lo
	v_add_co_ci_u32_e64 v16, null, 0, v14, s0
	v_xor_b32_e32 v31, v13, v24
	v_mad_u64_u32 v[13:14], null, v31, s1, 0
	v_add_co_u32 v13, vcc_lo, v15, v13
	v_add_co_ci_u32_e32 v15, vcc_lo, v16, v14, vcc_lo
	v_mad_u64_u32 v[13:14], null, v31, s2, 0
	v_add_co_u32 v15, s0, v15, v13
	v_add_co_ci_u32_e32 v13, vcc_lo, 0, v14, vcc_lo
	v_mul_lo_u32 v32, s99, v15
	v_add_co_ci_u32_e64 v16, null, 0, v13, s0
	v_mad_u64_u32 v[13:14], null, s98, v15, 0
	v_mul_lo_u32 v33, s98, v16
	v_sub_co_u32 v2, vcc_lo, v2, v13
	v_add3_u32 v14, v14, v33, v32
	v_cmp_le_u32_e64 s0, s98, v2
	v_sub_co_u32 v2, s1, v2, s98
	v_sub_nc_u32_e32 v13, v31, v14
	v_sub_co_ci_u32_e64 v14, null, v31, v14, vcc_lo
	v_cmp_le_u32_e64 s2, s98, v2
	v_subrev_co_ci_u32_e64 v2, null, s99, v13, vcc_lo
	v_cmp_le_u32_e64 s3, s99, v14
	v_cmp_eq_u32_e64 s4, s99, v14
	v_subrev_co_ci_u32_e64 v2, null, 0, v2, s1
	v_cndmask_b32_e64 v13, 0, -1, s3
	v_cmp_le_u32_e32 vcc_lo, s99, v2
	v_cmp_eq_u32_e64 s1, s99, v2
	v_cndmask_b32_e64 v2, 0, -1, s0
	v_cndmask_b32_e64 v14, 0, -1, vcc_lo
	v_cndmask_b32_e64 v2, v13, v2, s4
	v_cndmask_b32_e64 v13, 0, -1, s2
	v_cmp_ne_u32_e32 vcc_lo, 0, v2
	v_cndmask_b32_e64 v13, v14, v13, s1
	v_add_co_u32 v2, s1, v15, 2
	v_add_co_ci_u32_e64 v14, null, 0, v16, s1
	v_cmp_ne_u32_e64 s0, 0, v13
	v_add_co_u32 v13, s2, v15, 1
	v_add_co_ci_u32_e64 v31, null, 0, v16, s2
	v_cndmask_b32_e64 v2, v13, v2, s0
	v_cndmask_b32_e64 v14, v31, v14, s0
	v_cndmask_b32_e32 v2, v15, v2, vcc_lo
	v_cndmask_b32_e32 v13, v16, v14, vcc_lo
	v_xor_b32_e32 v14, s96, v24
	v_xor_b32_e32 v2, v2, v14
	;; [unrolled: 1-line block ×3, first 2 shown]
	v_sub_co_u32 v13, vcc_lo, v2, v14
	v_sub_co_ci_u32_e64 v14, null, v15, v14, vcc_lo
                                        ; implicit-def: $vgpr15
.LBB35_17:                              ;   in Loop: Header=BB35_3 Depth=1
	s_andn2_saveexec_b32 s0, s69
	s_cbranch_execz .LBB35_19
; %bb.18:                               ;   in Loop: Header=BB35_3 Depth=1
	v_rcp_iflag_f32_e32 v2, v15
	s_sub_i32 s1, 0, s36
	v_mul_f32_e32 v2, 0x4f7ffffe, v2
	v_cvt_u32_f32_e32 v2, v2
	v_mul_lo_u32 v13, s1, v2
	v_mul_hi_u32 v13, v2, v13
	v_add_nc_u32_e32 v2, v2, v13
	v_mul_hi_u32 v2, v30, v2
	v_mul_lo_u32 v13, v2, s36
	v_add_nc_u32_e32 v14, 1, v2
	v_sub_nc_u32_e32 v13, v30, v13
	v_subrev_nc_u32_e32 v15, s36, v13
	v_cmp_le_u32_e32 vcc_lo, s36, v13
	v_cndmask_b32_e32 v13, v13, v15, vcc_lo
	v_cndmask_b32_e32 v2, v2, v14, vcc_lo
	v_cmp_le_u32_e32 vcc_lo, s36, v13
	v_add_nc_u32_e32 v14, 1, v2
	v_cndmask_b32_e32 v13, v2, v14, vcc_lo
	v_mov_b32_e32 v14, v1
.LBB35_19:                              ;   in Loop: Header=BB35_3 Depth=1
	s_or_b32 exec_lo, exec_lo, s0
	v_mul_lo_u32 v2, v14, s36
	v_mul_lo_u32 v31, v13, s37
	v_mad_u64_u32 v[15:16], null, v13, s36, 0
	v_mul_lo_u32 v32, v13, s13
	s_mov_b32 s0, exec_lo
	v_add3_u32 v2, v16, v31, v2
	v_mul_lo_u32 v31, v14, s12
	v_sub_co_u32 v14, vcc_lo, v19, v15
	v_sub_co_ci_u32_e64 v2, null, v20, v2, vcc_lo
	v_add_co_u32 v15, vcc_lo, v3, v14
	v_mad_u64_u32 v[13:14], null, v13, s12, 0
	v_add_co_ci_u32_e64 v2, null, v4, v2, vcc_lo
	v_mul_lo_u32 v33, v15, s15
	v_mad_u64_u32 v[15:16], null, v15, s14, 0
	v_mul_lo_u32 v2, v2, s14
	v_add3_u32 v14, v14, v32, v31
	v_lshlrev_b64 v[13:14], 3, v[13:14]
	v_add3_u32 v16, v16, v33, v2
	v_add_co_u32 v2, vcc_lo, s34, v13
	v_lshlrev_b64 v[15:16], 3, v[15:16]
	v_add_co_ci_u32_e64 v14, null, s35, v14, vcc_lo
	v_add_co_u32 v13, vcc_lo, v2, v15
	v_add_co_ci_u32_e64 v14, null, v14, v16, vcc_lo
	v_or_b32_e32 v2, s45, v25
                                        ; implicit-def: $vgpr15_vgpr16
	global_load_dwordx2 v[13:14], v[13:14], off
	v_cmpx_ne_u64_e32 0, v[1:2]
	s_xor_b32 s4, exec_lo, s0
	s_cbranch_execz .LBB35_21
; %bb.20:                               ;   in Loop: Header=BB35_3 Depth=1
	s_ashr_i32 s96, s45, 31
	v_add_co_u32 v16, vcc_lo, v28, v21
	s_add_u32 s0, s44, s96
	s_mov_b32 s97, s96
	s_addc_u32 s1, s45, s96
	s_xor_b64 s[2:3], s[0:1], s[96:97]
	v_cvt_f32_u32_e32 v2, s2
	v_cvt_f32_u32_e32 v15, s3
	s_sub_u32 s33, 0, s2
	s_subb_u32 s68, 0, s3
	v_fmac_f32_e32 v2, 0x4f800000, v15
	v_rcp_f32_e32 v2, v2
	v_mul_f32_e32 v2, 0x5f7ffffc, v2
	v_mul_f32_e32 v15, 0x2f800000, v2
	v_trunc_f32_e32 v15, v15
	v_fmac_f32_e32 v2, 0xcf800000, v15
	v_cvt_u32_f32_e32 v15, v15
	v_cvt_u32_f32_e32 v2, v2
	v_readfirstlane_b32 s0, v15
	v_readfirstlane_b32 s1, v2
	s_mul_i32 s69, s33, s0
	v_xor_b32_e32 v2, v16, v21
	s_mul_hi_u32 s95, s33, s1
	s_mul_i32 s93, s68, s1
	s_add_i32 s69, s95, s69
	s_mul_i32 s97, s33, s1
	s_add_i32 s69, s69, s93
	s_mul_hi_u32 s95, s1, s97
	s_mul_i32 s99, s1, s69
	s_mul_hi_u32 s98, s0, s97
	s_mul_i32 s93, s0, s97
	s_mul_hi_u32 s97, s1, s69
	s_add_u32 s95, s95, s99
	s_addc_u32 s97, 0, s97
	s_mul_hi_u32 s104, s0, s69
	s_add_u32 s93, s95, s93
	s_mul_i32 s69, s0, s69
	s_addc_u32 s93, s97, s98
	s_addc_u32 s95, s104, 0
	s_add_u32 s69, s93, s69
	s_addc_u32 s93, 0, s95
	s_add_u32 s1, s1, s69
	s_cselect_b32 s69, -1, 0
	s_mul_hi_u32 s95, s33, s1
	s_cmp_lg_u32 s69, 0
	s_mul_i32 s69, s33, s1
	s_addc_u32 s0, s0, s93
	s_mul_i32 s68, s68, s1
	s_mul_i32 s33, s33, s0
	s_mul_hi_u32 s93, s1, s69
	s_add_i32 s33, s95, s33
	s_mul_hi_u32 s95, s0, s69
	s_add_i32 s33, s33, s68
	s_mul_i32 s68, s0, s69
	s_mul_i32 s98, s1, s33
	s_mul_hi_u32 s97, s1, s33
	s_add_u32 s93, s93, s98
	s_addc_u32 s97, 0, s97
	s_mul_hi_u32 s69, s0, s33
	s_add_u32 s68, s93, s68
	s_mul_i32 s33, s0, s33
	s_addc_u32 s68, s97, s95
	s_addc_u32 s69, s69, 0
	s_add_u32 s33, s68, s33
	s_addc_u32 s68, 0, s69
	s_add_u32 s1, s1, s33
	s_cselect_b32 s33, -1, 0
	v_mul_hi_u32 v28, v2, s1
	s_cmp_lg_u32 s33, 0
	s_addc_u32 s33, s0, s68
	v_mad_u64_u32 v[15:16], null, v2, s33, 0
	v_add_co_u32 v28, s0, v28, v15
	v_add_co_ci_u32_e64 v15, null, v25, v21, vcc_lo
	v_add_co_ci_u32_e64 v31, null, 0, v16, s0
	v_xor_b32_e32 v25, v15, v21
	v_mad_u64_u32 v[15:16], null, v25, s1, 0
	v_add_co_u32 v15, vcc_lo, v28, v15
	v_add_co_ci_u32_e32 v28, vcc_lo, v31, v16, vcc_lo
	v_mad_u64_u32 v[15:16], null, v25, s33, 0
	v_add_co_u32 v28, s0, v28, v15
	v_add_co_ci_u32_e32 v15, vcc_lo, 0, v16, vcc_lo
	v_mul_lo_u32 v32, s3, v28
	v_add_co_ci_u32_e64 v31, null, 0, v15, s0
	v_mad_u64_u32 v[15:16], null, s2, v28, 0
	v_mul_lo_u32 v33, s2, v31
	v_sub_co_u32 v2, vcc_lo, v2, v15
	v_add3_u32 v16, v16, v33, v32
	v_cmp_le_u32_e64 s0, s2, v2
	v_sub_co_u32 v2, s1, v2, s2
	v_sub_nc_u32_e32 v15, v25, v16
	v_sub_co_ci_u32_e64 v16, null, v25, v16, vcc_lo
	v_cmp_le_u32_e64 s2, s2, v2
	v_subrev_co_ci_u32_e64 v2, null, s3, v15, vcc_lo
	v_cmp_le_u32_e32 vcc_lo, s3, v16
	v_cndmask_b32_e64 v15, 0, -1, s0
	v_subrev_co_ci_u32_e64 v2, null, 0, v2, s1
	v_cmp_eq_u32_e64 s1, s3, v16
	v_cmp_le_u32_e64 s0, s3, v2
	v_cmp_eq_u32_e64 s3, s3, v2
	v_cndmask_b32_e64 v2, 0, -1, vcc_lo
	v_cndmask_b32_e64 v16, 0, -1, s0
	v_cndmask_b32_e64 v2, v2, v15, s1
	v_cndmask_b32_e64 v15, 0, -1, s2
	v_cmp_ne_u32_e32 vcc_lo, 0, v2
	v_cndmask_b32_e64 v15, v16, v15, s3
	v_add_co_u32 v2, s0, v28, 2
	v_cmp_ne_u32_e64 s1, 0, v15
	v_add_co_u32 v15, s2, v28, 1
	v_add_co_ci_u32_e64 v16, null, 0, v31, s2
	v_cndmask_b32_e64 v2, v15, v2, s1
	v_add_co_ci_u32_e64 v15, null, 0, v31, s0
	v_cndmask_b32_e32 v2, v28, v2, vcc_lo
	v_cndmask_b32_e64 v15, v16, v15, s1
	v_xor_b32_e32 v16, s96, v21
                                        ; implicit-def: $vgpr28
	v_cndmask_b32_e32 v15, v31, v15, vcc_lo
	v_xor_b32_e32 v2, v2, v16
	v_xor_b32_e32 v21, v15, v16
	v_sub_co_u32 v15, vcc_lo, v2, v16
	v_sub_co_ci_u32_e64 v16, null, v21, v16, vcc_lo
.LBB35_21:                              ;   in Loop: Header=BB35_3 Depth=1
	s_or_saveexec_b32 s0, s4
	v_cvt_f32_u32_e32 v21, s44
	s_xor_b32 exec_lo, exec_lo, s0
	s_cbranch_execz .LBB35_23
; %bb.22:                               ;   in Loop: Header=BB35_3 Depth=1
	v_rcp_iflag_f32_e32 v2, v21
	s_sub_i32 s1, 0, s44
	v_mul_f32_e32 v2, 0x4f7ffffe, v2
	v_cvt_u32_f32_e32 v2, v2
	v_mul_lo_u32 v15, s1, v2
	v_mul_hi_u32 v15, v2, v15
	v_add_nc_u32_e32 v2, v2, v15
	v_mul_hi_u32 v2, v28, v2
	v_mul_lo_u32 v15, v2, s44
	v_add_nc_u32_e32 v16, 1, v2
	v_sub_nc_u32_e32 v15, v28, v15
	v_subrev_nc_u32_e32 v25, s44, v15
	v_cmp_le_u32_e32 vcc_lo, s44, v15
	v_cndmask_b32_e32 v15, v15, v25, vcc_lo
	v_cndmask_b32_e32 v2, v2, v16, vcc_lo
	v_cmp_le_u32_e32 vcc_lo, s44, v15
	v_add_nc_u32_e32 v16, 1, v2
	v_cndmask_b32_e32 v15, v2, v16, vcc_lo
	v_mov_b32_e32 v16, v1
.LBB35_23:                              ;   in Loop: Header=BB35_3 Depth=1
	s_or_b32 exec_lo, exec_lo, s0
	v_mul_lo_u32 v2, v16, s44
	v_mul_lo_u32 v25, v15, s45
	v_mad_u64_u32 v[31:32], null, v15, s44, 0
	v_mul_lo_u32 v28, v15, s17
	s_mov_b32 s0, exec_lo
	v_add3_u32 v2, v32, v25, v2
	v_sub_co_u32 v11, vcc_lo, v11, v31
	v_mul_lo_u32 v25, v16, s16
	v_sub_co_ci_u32_e64 v2, null, v12, v2, vcc_lo
	v_add_co_u32 v16, vcc_lo, v3, v11
	v_mad_u64_u32 v[11:12], null, v15, s16, 0
	v_add_co_ci_u32_e64 v2, null, v4, v2, vcc_lo
	v_mul_lo_u32 v31, v16, s19
	v_mad_u64_u32 v[15:16], null, v16, s18, 0
	v_mul_lo_u32 v2, v2, s18
	v_add3_u32 v12, v12, v28, v25
	v_lshlrev_b64 v[11:12], 3, v[11:12]
	v_add3_u32 v16, v16, v31, v2
	v_add_co_u32 v2, vcc_lo, s38, v11
	v_lshlrev_b64 v[15:16], 3, v[15:16]
	v_add_co_ci_u32_e64 v12, null, s39, v12, vcc_lo
	v_add_co_u32 v11, vcc_lo, v2, v15
	v_add_co_ci_u32_e64 v12, null, v12, v16, vcc_lo
	v_or_b32_e32 v2, s45, v26
	global_load_dwordx2 v[15:16], v[11:12], off
                                        ; implicit-def: $vgpr11_vgpr12
	v_cmpx_ne_u64_e32 0, v[1:2]
	s_xor_b32 s4, exec_lo, s0
	s_cbranch_execz .LBB35_25
; %bb.24:                               ;   in Loop: Header=BB35_3 Depth=1
	s_ashr_i32 s96, s45, 31
	v_add_co_u32 v12, vcc_lo, v29, v22
	s_add_u32 s0, s44, s96
	s_mov_b32 s97, s96
	s_addc_u32 s1, s45, s96
	s_xor_b64 s[2:3], s[0:1], s[96:97]
	v_cvt_f32_u32_e32 v2, s2
	v_cvt_f32_u32_e32 v11, s3
	s_sub_u32 s33, 0, s2
	s_subb_u32 s68, 0, s3
	v_fmac_f32_e32 v2, 0x4f800000, v11
	v_rcp_f32_e32 v2, v2
	v_mul_f32_e32 v2, 0x5f7ffffc, v2
	v_mul_f32_e32 v11, 0x2f800000, v2
	v_trunc_f32_e32 v11, v11
	v_fmac_f32_e32 v2, 0xcf800000, v11
	v_cvt_u32_f32_e32 v11, v11
	v_cvt_u32_f32_e32 v2, v2
	v_readfirstlane_b32 s0, v11
	v_readfirstlane_b32 s1, v2
	s_mul_i32 s69, s33, s0
	v_xor_b32_e32 v2, v12, v22
	s_mul_hi_u32 s95, s33, s1
	s_mul_i32 s93, s68, s1
	s_add_i32 s69, s95, s69
	s_mul_i32 s97, s33, s1
	s_add_i32 s69, s69, s93
	s_mul_hi_u32 s95, s1, s97
	s_mul_i32 s99, s1, s69
	s_mul_hi_u32 s98, s0, s97
	s_mul_i32 s93, s0, s97
	s_mul_hi_u32 s97, s1, s69
	s_add_u32 s95, s95, s99
	s_addc_u32 s97, 0, s97
	s_mul_hi_u32 s104, s0, s69
	s_add_u32 s93, s95, s93
	s_mul_i32 s69, s0, s69
	s_addc_u32 s93, s97, s98
	s_addc_u32 s95, s104, 0
	s_add_u32 s69, s93, s69
	s_addc_u32 s93, 0, s95
	s_add_u32 s1, s1, s69
	s_cselect_b32 s69, -1, 0
	s_mul_hi_u32 s95, s33, s1
	s_cmp_lg_u32 s69, 0
	s_mul_i32 s69, s33, s1
	s_addc_u32 s0, s0, s93
	s_mul_i32 s68, s68, s1
	s_mul_i32 s33, s33, s0
	s_mul_hi_u32 s93, s1, s69
	s_add_i32 s33, s95, s33
	s_mul_hi_u32 s95, s0, s69
	s_add_i32 s33, s33, s68
	s_mul_i32 s68, s0, s69
	s_mul_i32 s98, s1, s33
	s_mul_hi_u32 s97, s1, s33
	s_add_u32 s93, s93, s98
	s_addc_u32 s97, 0, s97
	s_mul_hi_u32 s69, s0, s33
	s_add_u32 s68, s93, s68
	s_mul_i32 s33, s0, s33
	s_addc_u32 s68, s97, s95
	s_addc_u32 s69, s69, 0
	s_add_u32 s33, s68, s33
	s_addc_u32 s68, 0, s69
	s_add_u32 s1, s1, s33
	s_cselect_b32 s33, -1, 0
	v_mul_hi_u32 v25, v2, s1
	s_cmp_lg_u32 s33, 0
	s_addc_u32 s33, s0, s68
	v_mad_u64_u32 v[11:12], null, v2, s33, 0
	v_add_co_u32 v25, s0, v25, v11
	v_add_co_ci_u32_e64 v11, null, v26, v22, vcc_lo
	v_add_co_ci_u32_e64 v28, null, 0, v12, s0
	v_xor_b32_e32 v26, v11, v22
	v_mad_u64_u32 v[11:12], null, v26, s1, 0
	v_add_co_u32 v11, vcc_lo, v25, v11
	v_add_co_ci_u32_e32 v25, vcc_lo, v28, v12, vcc_lo
	v_mad_u64_u32 v[11:12], null, v26, s33, 0
	v_add_co_u32 v25, s0, v25, v11
	v_add_co_ci_u32_e32 v11, vcc_lo, 0, v12, vcc_lo
	v_mul_lo_u32 v29, s3, v25
	v_add_co_ci_u32_e64 v28, null, 0, v11, s0
	v_mad_u64_u32 v[11:12], null, s2, v25, 0
	v_mul_lo_u32 v31, s2, v28
	v_sub_co_u32 v2, vcc_lo, v2, v11
	v_add3_u32 v12, v12, v31, v29
                                        ; implicit-def: $vgpr29
	v_cmp_le_u32_e64 s0, s2, v2
	v_sub_co_u32 v2, s1, v2, s2
	v_sub_nc_u32_e32 v11, v26, v12
	v_sub_co_ci_u32_e64 v12, null, v26, v12, vcc_lo
	v_cmp_le_u32_e64 s2, s2, v2
	v_subrev_co_ci_u32_e64 v2, null, s3, v11, vcc_lo
	v_cmp_le_u32_e32 vcc_lo, s3, v12
	v_cndmask_b32_e64 v11, 0, -1, s0
	v_subrev_co_ci_u32_e64 v2, null, 0, v2, s1
	v_cmp_eq_u32_e64 s1, s3, v12
	v_cmp_le_u32_e64 s0, s3, v2
	v_cmp_eq_u32_e64 s3, s3, v2
	v_cndmask_b32_e64 v2, 0, -1, vcc_lo
	v_cndmask_b32_e64 v12, 0, -1, s0
	v_cndmask_b32_e64 v2, v2, v11, s1
	v_cndmask_b32_e64 v11, 0, -1, s2
	v_cmp_ne_u32_e32 vcc_lo, 0, v2
	v_cndmask_b32_e64 v11, v12, v11, s3
	v_add_co_u32 v2, s0, v25, 2
	v_cmp_ne_u32_e64 s1, 0, v11
	v_add_co_u32 v11, s2, v25, 1
	v_add_co_ci_u32_e64 v12, null, 0, v28, s2
	v_cndmask_b32_e64 v2, v11, v2, s1
	v_add_co_ci_u32_e64 v11, null, 0, v28, s0
	v_cndmask_b32_e32 v2, v25, v2, vcc_lo
	v_cndmask_b32_e64 v11, v12, v11, s1
	v_xor_b32_e32 v12, s96, v22
	v_cndmask_b32_e32 v11, v28, v11, vcc_lo
	v_xor_b32_e32 v2, v2, v12
	v_xor_b32_e32 v22, v11, v12
	v_sub_co_u32 v11, vcc_lo, v2, v12
	v_sub_co_ci_u32_e64 v12, null, v22, v12, vcc_lo
.LBB35_25:                              ;   in Loop: Header=BB35_3 Depth=1
	s_andn2_saveexec_b32 s0, s4
	s_cbranch_execz .LBB35_27
; %bb.26:                               ;   in Loop: Header=BB35_3 Depth=1
	v_rcp_iflag_f32_e32 v2, v21
	s_sub_i32 s1, 0, s44
	v_mul_f32_e32 v2, 0x4f7ffffe, v2
	v_cvt_u32_f32_e32 v2, v2
	v_mul_lo_u32 v11, s1, v2
	v_mul_hi_u32 v11, v2, v11
	v_add_nc_u32_e32 v2, v2, v11
	v_mul_hi_u32 v2, v29, v2
	v_mul_lo_u32 v11, v2, s44
	v_add_nc_u32_e32 v12, 1, v2
	v_sub_nc_u32_e32 v11, v29, v11
	v_subrev_nc_u32_e32 v22, s44, v11
	v_cmp_le_u32_e32 vcc_lo, s44, v11
	v_cndmask_b32_e32 v11, v11, v22, vcc_lo
	v_cndmask_b32_e32 v2, v2, v12, vcc_lo
	v_cmp_le_u32_e32 vcc_lo, s44, v11
	v_add_nc_u32_e32 v12, 1, v2
	v_cndmask_b32_e32 v11, v2, v12, vcc_lo
	v_mov_b32_e32 v12, v1
.LBB35_27:                              ;   in Loop: Header=BB35_3 Depth=1
	s_or_b32 exec_lo, exec_lo, s0
	v_mul_lo_u32 v2, v12, s44
	v_mul_lo_u32 v22, v11, s45
	v_mad_u64_u32 v[25:26], null, v11, s44, 0
	s_mov_b32 s0, exec_lo
	v_add3_u32 v2, v26, v22, v2
	v_mul_lo_u32 v22, v12, s16
	v_sub_co_u32 v12, vcc_lo, v17, v25
	v_mul_lo_u32 v25, v11, s17
	v_sub_co_ci_u32_e64 v2, null, v18, v2, vcc_lo
	v_add_co_u32 v17, vcc_lo, v3, v12
	v_mad_u64_u32 v[11:12], null, v11, s16, 0
	v_add_co_ci_u32_e64 v2, null, v4, v2, vcc_lo
	v_mul_lo_u32 v26, v17, s19
	v_mad_u64_u32 v[17:18], null, v17, s18, 0
	v_mul_lo_u32 v2, v2, s18
	v_add3_u32 v12, v12, v25, v22
	v_lshlrev_b64 v[11:12], 3, v[11:12]
	v_add3_u32 v18, v18, v26, v2
	v_add_co_u32 v2, vcc_lo, s38, v11
	v_lshlrev_b64 v[17:18], 3, v[17:18]
	v_add_co_ci_u32_e64 v12, null, s39, v12, vcc_lo
	v_add_co_u32 v11, vcc_lo, v2, v17
	v_add_co_ci_u32_e64 v12, null, v12, v18, vcc_lo
	v_or_b32_e32 v2, s45, v27
	global_load_dwordx2 v[17:18], v[11:12], off
                                        ; implicit-def: $vgpr11_vgpr12
	v_cmpx_ne_u64_e32 0, v[1:2]
	s_xor_b32 s4, exec_lo, s0
	s_cbranch_execz .LBB35_29
; %bb.28:                               ;   in Loop: Header=BB35_3 Depth=1
	s_ashr_i32 s96, s45, 31
	v_add_co_u32 v12, vcc_lo, v30, v24
	s_add_u32 s0, s44, s96
	s_mov_b32 s97, s96
	s_addc_u32 s1, s45, s96
                                        ; implicit-def: $vgpr30
	s_xor_b64 s[2:3], s[0:1], s[96:97]
	v_cvt_f32_u32_e32 v2, s2
	v_cvt_f32_u32_e32 v11, s3
	s_sub_u32 s33, 0, s2
	s_subb_u32 s68, 0, s3
	v_fmac_f32_e32 v2, 0x4f800000, v11
	v_rcp_f32_e32 v2, v2
	v_mul_f32_e32 v2, 0x5f7ffffc, v2
	v_mul_f32_e32 v11, 0x2f800000, v2
	v_trunc_f32_e32 v11, v11
	v_fmac_f32_e32 v2, 0xcf800000, v11
	v_cvt_u32_f32_e32 v11, v11
	v_cvt_u32_f32_e32 v2, v2
	v_readfirstlane_b32 s0, v11
	v_readfirstlane_b32 s1, v2
	s_mul_i32 s69, s33, s0
	v_xor_b32_e32 v2, v12, v24
	s_mul_hi_u32 s95, s33, s1
	s_mul_i32 s93, s68, s1
	s_add_i32 s69, s95, s69
	s_mul_i32 s97, s33, s1
	s_add_i32 s69, s69, s93
	s_mul_hi_u32 s95, s1, s97
	s_mul_i32 s99, s1, s69
	s_mul_hi_u32 s98, s0, s97
	s_mul_i32 s93, s0, s97
	s_mul_hi_u32 s97, s1, s69
	s_add_u32 s95, s95, s99
	s_addc_u32 s97, 0, s97
	s_mul_hi_u32 s104, s0, s69
	s_add_u32 s93, s95, s93
	s_mul_i32 s69, s0, s69
	s_addc_u32 s93, s97, s98
	s_addc_u32 s95, s104, 0
	s_add_u32 s69, s93, s69
	s_addc_u32 s93, 0, s95
	s_add_u32 s1, s1, s69
	s_cselect_b32 s69, -1, 0
	s_mul_hi_u32 s95, s33, s1
	s_cmp_lg_u32 s69, 0
	s_mul_i32 s69, s33, s1
	s_addc_u32 s0, s0, s93
	s_mul_i32 s68, s68, s1
	s_mul_i32 s33, s33, s0
	s_mul_hi_u32 s93, s1, s69
	s_add_i32 s33, s95, s33
	s_mul_hi_u32 s95, s0, s69
	s_add_i32 s33, s33, s68
	s_mul_i32 s68, s0, s69
	s_mul_i32 s98, s1, s33
	s_mul_hi_u32 s97, s1, s33
	s_add_u32 s93, s93, s98
	s_addc_u32 s97, 0, s97
	s_mul_hi_u32 s69, s0, s33
	s_add_u32 s68, s93, s68
	s_mul_i32 s33, s0, s33
	s_addc_u32 s68, s97, s95
	s_addc_u32 s69, s69, 0
	s_add_u32 s33, s68, s33
	s_addc_u32 s68, 0, s69
	s_add_u32 s1, s1, s33
	s_cselect_b32 s33, -1, 0
	v_mul_hi_u32 v21, v2, s1
	s_cmp_lg_u32 s33, 0
	s_addc_u32 s33, s0, s68
	v_mad_u64_u32 v[11:12], null, v2, s33, 0
	v_add_co_u32 v21, s0, v21, v11
	v_add_co_ci_u32_e64 v11, null, v27, v24, vcc_lo
	v_add_co_ci_u32_e64 v22, null, 0, v12, s0
	v_xor_b32_e32 v25, v11, v24
	v_mad_u64_u32 v[11:12], null, v25, s1, 0
	v_add_co_u32 v11, vcc_lo, v21, v11
	v_add_co_ci_u32_e32 v21, vcc_lo, v22, v12, vcc_lo
	v_mad_u64_u32 v[11:12], null, v25, s33, 0
	v_add_co_u32 v21, s0, v21, v11
	v_add_co_ci_u32_e32 v11, vcc_lo, 0, v12, vcc_lo
	v_mul_lo_u32 v26, s3, v21
	v_add_co_ci_u32_e64 v22, null, 0, v11, s0
	v_mad_u64_u32 v[11:12], null, s2, v21, 0
	v_mul_lo_u32 v27, s2, v22
	v_sub_co_u32 v2, vcc_lo, v2, v11
	v_add3_u32 v12, v12, v27, v26
	v_cmp_le_u32_e64 s0, s2, v2
	v_sub_co_u32 v2, s1, v2, s2
	v_sub_nc_u32_e32 v11, v25, v12
	v_sub_co_ci_u32_e64 v12, null, v25, v12, vcc_lo
	v_cmp_le_u32_e64 s2, s2, v2
	v_subrev_co_ci_u32_e64 v2, null, s3, v11, vcc_lo
	v_cmp_le_u32_e32 vcc_lo, s3, v12
	v_cndmask_b32_e64 v11, 0, -1, s0
	v_subrev_co_ci_u32_e64 v2, null, 0, v2, s1
	v_cmp_eq_u32_e64 s1, s3, v12
	v_cmp_le_u32_e64 s0, s3, v2
	v_cmp_eq_u32_e64 s3, s3, v2
	v_cndmask_b32_e64 v2, 0, -1, vcc_lo
	v_cndmask_b32_e64 v12, 0, -1, s0
	v_cndmask_b32_e64 v2, v2, v11, s1
	v_cndmask_b32_e64 v11, 0, -1, s2
	v_cmp_ne_u32_e32 vcc_lo, 0, v2
	v_cndmask_b32_e64 v11, v12, v11, s3
	v_add_co_u32 v2, s0, v21, 2
	v_cmp_ne_u32_e64 s1, 0, v11
	v_add_co_u32 v11, s2, v21, 1
	v_add_co_ci_u32_e64 v12, null, 0, v22, s2
	v_cndmask_b32_e64 v2, v11, v2, s1
	v_add_co_ci_u32_e64 v11, null, 0, v22, s0
	v_cndmask_b32_e32 v2, v21, v2, vcc_lo
	v_cndmask_b32_e64 v11, v12, v11, s1
	v_xor_b32_e32 v12, s96, v24
	v_cndmask_b32_e32 v11, v22, v11, vcc_lo
	v_xor_b32_e32 v2, v2, v12
	v_xor_b32_e32 v21, v11, v12
	v_sub_co_u32 v11, vcc_lo, v2, v12
	v_sub_co_ci_u32_e64 v12, null, v21, v12, vcc_lo
                                        ; implicit-def: $vgpr21
.LBB35_29:                              ;   in Loop: Header=BB35_3 Depth=1
	s_andn2_saveexec_b32 s0, s4
	s_cbranch_execz .LBB35_31
; %bb.30:                               ;   in Loop: Header=BB35_3 Depth=1
	v_rcp_iflag_f32_e32 v2, v21
	s_sub_i32 s1, 0, s44
	v_mul_f32_e32 v2, 0x4f7ffffe, v2
	v_cvt_u32_f32_e32 v2, v2
	v_mul_lo_u32 v11, s1, v2
	v_mul_hi_u32 v11, v2, v11
	v_add_nc_u32_e32 v2, v2, v11
	v_mul_hi_u32 v2, v30, v2
	v_mul_lo_u32 v11, v2, s44
	v_add_nc_u32_e32 v12, 1, v2
	v_sub_nc_u32_e32 v11, v30, v11
	v_subrev_nc_u32_e32 v21, s44, v11
	v_cmp_le_u32_e32 vcc_lo, s44, v11
	v_cndmask_b32_e32 v11, v11, v21, vcc_lo
	v_cndmask_b32_e32 v2, v2, v12, vcc_lo
	v_cmp_le_u32_e32 vcc_lo, s44, v11
	v_add_nc_u32_e32 v12, 1, v2
	v_cndmask_b32_e32 v11, v2, v12, vcc_lo
	v_mov_b32_e32 v12, v1
.LBB35_31:                              ;   in Loop: Header=BB35_3 Depth=1
	s_or_b32 exec_lo, exec_lo, s0
	v_mul_lo_u32 v2, v12, s44
	v_mul_lo_u32 v24, v11, s45
	v_mad_u64_u32 v[21:22], null, v11, s44, 0
	s_mov_b32 s0, exec_lo
	v_add3_u32 v2, v22, v24, v2
	v_mul_lo_u32 v22, v12, s16
	v_sub_co_u32 v12, vcc_lo, v19, v21
	v_mul_lo_u32 v21, v11, s17
	v_sub_co_ci_u32_e64 v2, null, v20, v2, vcc_lo
	v_add_co_u32 v19, vcc_lo, v3, v12
	v_mad_u64_u32 v[11:12], null, v11, s16, 0
	v_add_co_ci_u32_e64 v2, null, v4, v2, vcc_lo
	v_mul_lo_u32 v24, v19, s19
	v_mad_u64_u32 v[19:20], null, v19, s18, 0
	v_mul_lo_u32 v2, v2, s18
	v_add3_u32 v12, v12, v21, v22
	v_lshlrev_b64 v[11:12], 3, v[11:12]
	v_add3_u32 v20, v20, v24, v2
	v_add_co_u32 v2, vcc_lo, s38, v11
	v_lshlrev_b64 v[19:20], 3, v[19:20]
	v_add_co_ci_u32_e64 v12, null, s39, v12, vcc_lo
	v_add_co_u32 v11, vcc_lo, v2, v19
	v_add_co_ci_u32_e64 v12, null, v12, v20, vcc_lo
	v_or_b32_e32 v2, s43, v4
	global_load_dwordx2 v[19:20], v[11:12], off
                                        ; implicit-def: $vgpr11_vgpr12
	v_cmpx_ne_u64_e32 0, v[1:2]
	s_xor_b32 s69, exec_lo, s0
	s_cbranch_execz .LBB35_33
; %bb.32:                               ;   in Loop: Header=BB35_3 Depth=1
	s_ashr_i32 s96, s43, 31
	s_add_u32 s0, s42, s96
	s_mov_b32 s97, s96
	s_addc_u32 s1, s43, s96
	s_xor_b64 s[98:99], s[0:1], s[96:97]
	v_cvt_f32_u32_e32 v2, s98
	v_cvt_f32_u32_e32 v11, s99
	s_sub_u32 s2, 0, s98
	s_subb_u32 s3, 0, s99
	v_fmac_f32_e32 v2, 0x4f800000, v11
	v_rcp_f32_e32 v2, v2
	v_mul_f32_e32 v2, 0x5f7ffffc, v2
	v_mul_f32_e32 v11, 0x2f800000, v2
	v_trunc_f32_e32 v11, v11
	v_fmac_f32_e32 v2, 0xcf800000, v11
	v_cvt_u32_f32_e32 v11, v11
	v_cvt_u32_f32_e32 v2, v2
	v_readfirstlane_b32 s0, v11
	v_add_co_u32 v11, vcc_lo, v3, v23
	v_readfirstlane_b32 s1, v2
	s_mul_i32 s4, s2, s0
	v_xor_b32_e32 v2, v11, v23
	s_mul_hi_u32 s68, s2, s1
	s_mul_i32 s33, s3, s1
	s_add_i32 s4, s68, s4
	s_mul_i32 s93, s2, s1
	s_add_i32 s4, s4, s33
	s_mul_hi_u32 s68, s1, s93
	s_mul_i32 s97, s1, s4
	s_mul_hi_u32 s95, s0, s93
	s_mul_i32 s33, s0, s93
	s_mul_hi_u32 s93, s1, s4
	s_add_u32 s68, s68, s97
	s_addc_u32 s93, 0, s93
	s_mul_hi_u32 s104, s0, s4
	s_add_u32 s33, s68, s33
	s_mul_i32 s4, s0, s4
	s_addc_u32 s33, s93, s95
	s_addc_u32 s68, s104, 0
	s_add_u32 s4, s33, s4
	s_addc_u32 s33, 0, s68
	s_add_u32 s1, s1, s4
	s_cselect_b32 s4, -1, 0
	s_mul_hi_u32 s68, s2, s1
	s_cmp_lg_u32 s4, 0
	s_mul_i32 s4, s2, s1
	s_addc_u32 s0, s0, s33
	s_mul_i32 s3, s3, s1
	s_mul_i32 s2, s2, s0
	s_mul_hi_u32 s33, s1, s4
	s_add_i32 s2, s68, s2
	s_mul_hi_u32 s68, s0, s4
	s_add_i32 s2, s2, s3
	s_mul_i32 s3, s0, s4
	s_mul_i32 s95, s1, s2
	s_mul_hi_u32 s93, s1, s2
	s_add_u32 s33, s33, s95
	s_addc_u32 s93, 0, s93
	s_mul_hi_u32 s4, s0, s2
	s_add_u32 s3, s33, s3
	s_mul_i32 s2, s0, s2
	s_addc_u32 s3, s93, s68
	s_addc_u32 s4, s4, 0
	s_add_u32 s2, s3, s2
	s_addc_u32 s3, 0, s4
	s_add_u32 s1, s1, s2
	s_cselect_b32 s2, -1, 0
	v_mul_hi_u32 v21, v2, s1
	s_cmp_lg_u32 s2, 0
	s_addc_u32 s2, s0, s3
	v_mad_u64_u32 v[11:12], null, v2, s2, 0
	v_add_co_u32 v21, s0, v21, v11
	v_add_co_ci_u32_e64 v11, null, v4, v23, vcc_lo
	v_add_co_ci_u32_e64 v22, null, 0, v12, s0
	v_xor_b32_e32 v24, v11, v23
	v_mad_u64_u32 v[11:12], null, v24, s1, 0
	v_add_co_u32 v11, vcc_lo, v21, v11
	v_add_co_ci_u32_e32 v21, vcc_lo, v22, v12, vcc_lo
	v_mad_u64_u32 v[11:12], null, v24, s2, 0
	v_add_co_u32 v21, s0, v21, v11
	v_add_co_ci_u32_e32 v11, vcc_lo, 0, v12, vcc_lo
	v_mul_lo_u32 v25, s99, v21
	v_add_co_ci_u32_e64 v22, null, 0, v11, s0
	v_mad_u64_u32 v[11:12], null, s98, v21, 0
	v_mul_lo_u32 v26, s98, v22
	v_sub_co_u32 v2, vcc_lo, v2, v11
	v_add3_u32 v12, v12, v26, v25
	v_cmp_le_u32_e64 s0, s98, v2
	v_sub_co_u32 v2, s1, v2, s98
	v_sub_nc_u32_e32 v11, v24, v12
	v_sub_co_ci_u32_e64 v12, null, v24, v12, vcc_lo
	v_cmp_le_u32_e64 s2, s98, v2
	v_subrev_co_ci_u32_e64 v2, null, s99, v11, vcc_lo
	v_cmp_le_u32_e64 s3, s99, v12
	v_cmp_eq_u32_e64 s4, s99, v12
	v_subrev_co_ci_u32_e64 v2, null, 0, v2, s1
	v_cndmask_b32_e64 v11, 0, -1, s3
	v_cmp_le_u32_e32 vcc_lo, s99, v2
	v_cmp_eq_u32_e64 s1, s99, v2
	v_cndmask_b32_e64 v2, 0, -1, s0
	v_cndmask_b32_e64 v12, 0, -1, vcc_lo
	v_cndmask_b32_e64 v2, v11, v2, s4
	v_cndmask_b32_e64 v11, 0, -1, s2
	v_cmp_ne_u32_e32 vcc_lo, 0, v2
	v_cndmask_b32_e64 v11, v12, v11, s1
	v_add_co_u32 v2, s1, v21, 2
	v_add_co_ci_u32_e64 v12, null, 0, v22, s1
	v_cmp_ne_u32_e64 s0, 0, v11
	v_add_co_u32 v11, s2, v21, 1
	v_add_co_ci_u32_e64 v24, null, 0, v22, s2
	v_cndmask_b32_e64 v2, v11, v2, s0
	v_cndmask_b32_e64 v12, v24, v12, s0
	v_cndmask_b32_e32 v2, v21, v2, vcc_lo
	v_cndmask_b32_e32 v11, v22, v12, vcc_lo
	v_xor_b32_e32 v12, s96, v23
	v_xor_b32_e32 v2, v2, v12
	;; [unrolled: 1-line block ×3, first 2 shown]
	v_sub_co_u32 v11, vcc_lo, v2, v12
	v_sub_co_ci_u32_e64 v12, null, v21, v12, vcc_lo
.LBB35_33:                              ;   in Loop: Header=BB35_3 Depth=1
	s_andn2_saveexec_b32 s0, s69
	s_cbranch_execz .LBB35_35
; %bb.34:                               ;   in Loop: Header=BB35_3 Depth=1
	v_cvt_f32_u32_e32 v2, s42
	s_sub_i32 s1, 0, s42
	v_rcp_iflag_f32_e32 v2, v2
	v_mul_f32_e32 v2, 0x4f7ffffe, v2
	v_cvt_u32_f32_e32 v2, v2
	v_mul_lo_u32 v11, s1, v2
	v_mul_hi_u32 v11, v2, v11
	v_add_nc_u32_e32 v2, v2, v11
	v_mul_hi_u32 v2, v3, v2
	v_mul_lo_u32 v11, v2, s42
	v_add_nc_u32_e32 v12, 1, v2
	v_sub_nc_u32_e32 v11, v3, v11
	v_subrev_nc_u32_e32 v21, s42, v11
	v_cmp_le_u32_e32 vcc_lo, s42, v11
	v_cndmask_b32_e32 v11, v11, v21, vcc_lo
	v_cndmask_b32_e32 v2, v2, v12, vcc_lo
	v_cmp_le_u32_e32 vcc_lo, s42, v11
	v_add_nc_u32_e32 v12, 1, v2
	v_cndmask_b32_e32 v11, v2, v12, vcc_lo
	v_mov_b32_e32 v12, v1
.LBB35_35:                              ;   in Loop: Header=BB35_3 Depth=1
	s_or_b32 exec_lo, exec_lo, s0
	v_readlane_b32 s0, v47, 3
	v_mad_u64_u32 v[21:22], null, s92, v11, v[3:4]
	v_mul_lo_u32 v2, s92, v12
	v_mul_lo_u32 v25, v12, s20
	;; [unrolled: 1-line block ×4, first 2 shown]
	v_mad_u64_u32 v[11:12], null, v11, s20, 0
	s_mov_b32 s0, exec_lo
	v_add3_u32 v2, v24, v22, v2
	v_mul_lo_u32 v24, v21, s23
	v_mad_u64_u32 v[21:22], null, v21, s22, 0
	v_add3_u32 v12, v12, v26, v25
	v_mul_lo_u32 v2, v2, s22
	v_lshlrev_b64 v[11:12], 3, v[11:12]
	v_add3_u32 v22, v22, v24, v2
	v_add_co_u32 v2, vcc_lo, s40, v11
	v_add_co_ci_u32_e64 v12, null, s41, v12, vcc_lo
	v_lshlrev_b64 v[21:22], 3, v[21:22]
	v_add_co_u32 v11, vcc_lo, v2, v21
	v_add_co_ci_u32_e64 v12, null, v12, v22, vcc_lo
	v_or_b32_e32 v2, s47, v4
                                        ; implicit-def: $vgpr21_vgpr22
	global_load_dwordx2 v[11:12], v[11:12], off
	v_cmpx_ne_u64_e32 0, v[1:2]
	s_xor_b32 s69, exec_lo, s0
	s_cbranch_execz .LBB35_37
; %bb.36:                               ;   in Loop: Header=BB35_3 Depth=1
	s_ashr_i32 s96, s47, 31
	s_add_u32 s0, s46, s96
	s_mov_b32 s97, s96
	s_addc_u32 s1, s47, s96
	s_xor_b64 s[98:99], s[0:1], s[96:97]
	v_cvt_f32_u32_e32 v2, s98
	v_cvt_f32_u32_e32 v21, s99
	s_sub_u32 s2, 0, s98
	s_subb_u32 s3, 0, s99
	v_fmac_f32_e32 v2, 0x4f800000, v21
	v_rcp_f32_e32 v2, v2
	v_mul_f32_e32 v2, 0x5f7ffffc, v2
	v_mul_f32_e32 v21, 0x2f800000, v2
	v_trunc_f32_e32 v21, v21
	v_fmac_f32_e32 v2, 0xcf800000, v21
	v_cvt_u32_f32_e32 v21, v21
	v_cvt_u32_f32_e32 v2, v2
	v_readfirstlane_b32 s0, v21
	v_add_co_u32 v21, vcc_lo, v3, v23
	v_readfirstlane_b32 s1, v2
	s_mul_i32 s4, s2, s0
	v_xor_b32_e32 v2, v21, v23
	s_mul_hi_u32 s68, s2, s1
	s_mul_i32 s33, s3, s1
	s_add_i32 s4, s68, s4
	s_mul_i32 s93, s2, s1
	s_add_i32 s4, s4, s33
	s_mul_hi_u32 s68, s1, s93
	s_mul_i32 s97, s1, s4
	s_mul_hi_u32 s95, s0, s93
	s_mul_i32 s33, s0, s93
	s_mul_hi_u32 s93, s1, s4
	s_add_u32 s68, s68, s97
	s_addc_u32 s93, 0, s93
	s_mul_hi_u32 s104, s0, s4
	s_add_u32 s33, s68, s33
	s_mul_i32 s4, s0, s4
	s_addc_u32 s33, s93, s95
	s_addc_u32 s68, s104, 0
	s_add_u32 s4, s33, s4
	s_addc_u32 s33, 0, s68
	s_add_u32 s1, s1, s4
	s_cselect_b32 s4, -1, 0
	s_mul_hi_u32 s68, s2, s1
	s_cmp_lg_u32 s4, 0
	s_mul_i32 s4, s2, s1
	s_addc_u32 s0, s0, s33
	s_mul_i32 s3, s3, s1
	s_mul_i32 s2, s2, s0
	s_mul_hi_u32 s33, s1, s4
	s_add_i32 s2, s68, s2
	s_mul_hi_u32 s68, s0, s4
	s_add_i32 s2, s2, s3
	s_mul_i32 s3, s0, s4
	s_mul_i32 s95, s1, s2
	s_mul_hi_u32 s93, s1, s2
	s_add_u32 s33, s33, s95
	s_addc_u32 s93, 0, s93
	s_mul_hi_u32 s4, s0, s2
	s_add_u32 s3, s33, s3
	s_mul_i32 s2, s0, s2
	s_addc_u32 s3, s93, s68
	s_addc_u32 s4, s4, 0
	s_add_u32 s2, s3, s2
	s_addc_u32 s3, 0, s4
	s_add_u32 s1, s1, s2
	s_cselect_b32 s2, -1, 0
	v_mul_hi_u32 v24, v2, s1
	s_cmp_lg_u32 s2, 0
	s_addc_u32 s2, s0, s3
	v_mad_u64_u32 v[21:22], null, v2, s2, 0
	v_add_co_u32 v24, s0, v24, v21
	v_add_co_ci_u32_e64 v21, null, v4, v23, vcc_lo
	v_add_co_ci_u32_e64 v25, null, 0, v22, s0
	v_xor_b32_e32 v26, v21, v23
	v_mad_u64_u32 v[21:22], null, v26, s1, 0
	v_add_co_u32 v21, vcc_lo, v24, v21
	v_add_co_ci_u32_e32 v24, vcc_lo, v25, v22, vcc_lo
	v_mad_u64_u32 v[21:22], null, v26, s2, 0
	v_add_co_u32 v24, s0, v24, v21
	v_add_co_ci_u32_e32 v21, vcc_lo, 0, v22, vcc_lo
	v_mul_lo_u32 v27, s99, v24
	v_add_co_ci_u32_e64 v25, null, 0, v21, s0
	v_mad_u64_u32 v[21:22], null, s98, v24, 0
	v_mul_lo_u32 v28, s98, v25
	v_sub_co_u32 v2, vcc_lo, v2, v21
	v_add3_u32 v22, v22, v28, v27
	v_cmp_le_u32_e64 s0, s98, v2
	v_sub_co_u32 v2, s1, v2, s98
	v_sub_nc_u32_e32 v21, v26, v22
	v_sub_co_ci_u32_e64 v22, null, v26, v22, vcc_lo
	v_cmp_le_u32_e64 s2, s98, v2
	v_subrev_co_ci_u32_e64 v2, null, s99, v21, vcc_lo
	v_cmp_le_u32_e64 s3, s99, v22
	v_cmp_eq_u32_e64 s4, s99, v22
	v_subrev_co_ci_u32_e64 v2, null, 0, v2, s1
	v_cndmask_b32_e64 v21, 0, -1, s3
	v_cmp_le_u32_e32 vcc_lo, s99, v2
	v_cmp_eq_u32_e64 s1, s99, v2
	v_cndmask_b32_e64 v2, 0, -1, s0
	v_cndmask_b32_e64 v22, 0, -1, vcc_lo
	v_cndmask_b32_e64 v2, v21, v2, s4
	v_cndmask_b32_e64 v21, 0, -1, s2
	v_cmp_ne_u32_e32 vcc_lo, 0, v2
	v_cndmask_b32_e64 v21, v22, v21, s1
	v_add_co_u32 v2, s1, v24, 2
	v_add_co_ci_u32_e64 v22, null, 0, v25, s1
	v_cmp_ne_u32_e64 s0, 0, v21
	v_add_co_u32 v21, s2, v24, 1
	v_add_co_ci_u32_e64 v26, null, 0, v25, s2
	v_cndmask_b32_e64 v2, v21, v2, s0
	v_cndmask_b32_e64 v22, v26, v22, s0
	v_cndmask_b32_e32 v2, v24, v2, vcc_lo
	v_cndmask_b32_e32 v21, v25, v22, vcc_lo
	v_xor_b32_e32 v22, s96, v23
	v_xor_b32_e32 v2, v2, v22
	;; [unrolled: 1-line block ×3, first 2 shown]
	v_sub_co_u32 v21, vcc_lo, v2, v22
	v_sub_co_ci_u32_e64 v22, null, v23, v22, vcc_lo
.LBB35_37:                              ;   in Loop: Header=BB35_3 Depth=1
	s_andn2_saveexec_b32 s0, s69
	s_cbranch_execz .LBB35_39
; %bb.38:                               ;   in Loop: Header=BB35_3 Depth=1
	v_cvt_f32_u32_e32 v2, s46
	s_sub_i32 s1, 0, s46
	v_rcp_iflag_f32_e32 v2, v2
	v_mul_f32_e32 v2, 0x4f7ffffe, v2
	v_cvt_u32_f32_e32 v2, v2
	v_mul_lo_u32 v21, s1, v2
	v_mul_hi_u32 v21, v2, v21
	v_add_nc_u32_e32 v2, v2, v21
	v_mul_hi_u32 v2, v3, v2
	v_mul_lo_u32 v21, v2, s46
	v_add_nc_u32_e32 v22, 1, v2
	v_sub_nc_u32_e32 v21, v3, v21
	v_subrev_nc_u32_e32 v23, s46, v21
	v_cmp_le_u32_e32 vcc_lo, s46, v21
	v_cndmask_b32_e32 v21, v21, v23, vcc_lo
	v_cndmask_b32_e32 v2, v2, v22, vcc_lo
	v_cmp_le_u32_e32 vcc_lo, s46, v21
	v_add_nc_u32_e32 v22, 1, v2
	v_cndmask_b32_e32 v21, v2, v22, vcc_lo
	v_mov_b32_e32 v22, v1
.LBB35_39:                              ;   in Loop: Header=BB35_3 Depth=1
	s_or_b32 exec_lo, exec_lo, s0
	v_readlane_b32 s0, v47, 1
	s_andn2_b32 vcc_lo, exec_lo, s0
	s_cbranch_vccnz .LBB35_41
; %bb.40:                               ;   in Loop: Header=BB35_3 Depth=1
	v_sub_co_u32 v26, vcc_lo, 1, v5
	v_readlane_b32 s0, v47, 2
	v_sub_co_ci_u32_e64 v27, null, 0, v6, vcc_lo
	v_mad_u64_u32 v[23:24], null, s90, v5, v[3:4]
	v_mul_lo_u32 v2, s90, v6
	v_mul_lo_u32 v25, s0, v5
	;; [unrolled: 1-line block ×4, first 2 shown]
	v_mad_u64_u32 v[26:27], null, s8, v26, v[3:4]
	v_mul_lo_u32 v28, v23, s49
	v_mul_lo_u32 v38, v23, s53
	v_add3_u32 v2, v25, v24, v2
	v_mad_u64_u32 v[24:25], null, v23, s48, 0
	v_add3_u32 v34, v30, v27, v29
	v_sub_co_u32 v29, vcc_lo, 2, v5
	v_sub_co_ci_u32_e64 v30, null, 0, v6, vcc_lo
	v_mul_lo_u32 v31, v2, s48
	v_mul_lo_u32 v35, s9, v29
	;; [unrolled: 1-line block ×4, first 2 shown]
	v_mad_u64_u32 v[29:30], null, s8, v29, v[3:4]
	v_mul_lo_u32 v2, v2, s52
	v_mul_lo_u32 v39, v26, s53
	v_add3_u32 v25, v25, v28, v31
	v_mul_lo_u32 v31, v34, s48
	v_mad_u64_u32 v[27:28], null, v26, s48, 0
	v_add3_u32 v36, v35, v30, v33
	v_mul_lo_u32 v37, v29, s49
	v_lshlrev_b64 v[24:25], 3, v[24:25]
	v_mul_lo_u32 v35, v36, s48
	v_add3_u32 v28, v28, v32, v31
	v_mad_u64_u32 v[30:31], null, v29, s48, 0
	v_mad_u64_u32 v[32:33], null, v23, s52, 0
	v_mul_lo_u32 v23, v34, s52
	v_lshlrev_b64 v[27:28], 3, v[27:28]
	v_add_co_u32 v24, vcc_lo, s6, v24
	v_add3_u32 v31, v31, v37, v35
	v_mad_u64_u32 v[34:35], null, v26, s52, 0
	v_add3_u32 v33, v33, v38, v2
	v_mul_lo_u32 v2, v36, s52
	v_mul_lo_u32 v26, v29, s53
	v_mad_u64_u32 v[36:37], null, v29, s52, 0
	v_lshlrev_b64 v[30:31], 3, v[30:31]
	v_add3_u32 v35, v35, v39, v23
	v_lshlrev_b64 v[32:33], 3, v[32:33]
	v_add_co_ci_u32_e64 v25, null, s7, v25, vcc_lo
	v_add_co_u32 v27, vcc_lo, s6, v27
	v_add3_u32 v37, v37, v26, v2
	v_lshlrev_b64 v[34:35], 3, v[34:35]
	v_add_co_ci_u32_e64 v28, null, s7, v28, vcc_lo
	v_add_co_u32 v29, vcc_lo, s6, v30
	v_lshlrev_b64 v[36:37], 3, v[36:37]
	v_add_co_ci_u32_e64 v30, null, s7, v31, vcc_lo
	v_add_co_u32 v31, vcc_lo, s50, v32
	v_add_co_ci_u32_e64 v32, null, s51, v33, vcc_lo
	v_add_co_u32 v38, vcc_lo, s50, v34
	;; [unrolled: 2-line block ×3, first 2 shown]
	v_add_co_ci_u32_e64 v36, null, s51, v37, vcc_lo
	s_clause 0x2
	global_load_dwordx2 v[33:34], v[24:25], off
	global_load_dwordx2 v[23:24], v[27:28], off
	;; [unrolled: 1-line block ×3, first 2 shown]
	s_clause 0x2
	global_load_dwordx2 v[31:32], v[31:32], off
	global_load_dwordx2 v[25:26], v[38:39], off
	;; [unrolled: 1-line block ×3, first 2 shown]
	s_branch .LBB35_42
.LBB35_41:                              ;   in Loop: Header=BB35_3 Depth=1
	v_mov_b32_e32 v23, 0
	v_mov_b32_e32 v27, 0
	;; [unrolled: 1-line block ×12, first 2 shown]
.LBB35_42:                              ;   in Loop: Header=BB35_3 Depth=1
	s_waitcnt vmcnt(3)
	v_add_f64 v[7:8], v[7:8], v[15:16]
	s_mov_b32 s2, 0x3b39803f
	s_mov_b32 s3, 0xbc7abc9e
	v_add_f64 v[13:14], v[13:14], v[27:28]
	s_mov_b32 s4, s64
	s_mov_b32 s95, s67
	s_waitcnt vmcnt(2)
	v_add_f64 v[9:10], v[9:10], v[17:18]
	v_add_f64 v[7:8], v[7:8], v[33:34]
	;; [unrolled: 1-line block ×4, first 2 shown]
	s_waitcnt vmcnt(1)
	v_add_f64 v[25:26], v[9:10], v[25:26]
	v_mul_f64 v[15:16], v[7:8], s[64:65]
	v_cmp_nlt_f64_e64 s0, 0x4090cc00, v[7:8]
	v_rndne_f64_e32 v[15:16], v[15:16]
	v_fma_f64 v[31:32], v[15:16], s[66:67], -v[7:8]
	v_cvt_i32_f64_e32 v2, v[15:16]
	v_fma_f64 v[31:32], v[15:16], s[2:3], v[31:32]
	v_fma_f64 v[33:34], v[31:32], s[72:73], s[70:71]
	;; [unrolled: 1-line block ×10, first 2 shown]
	v_fma_f64 v[33:34], v[31:32], v[33:34], 1.0
	v_fma_f64 v[15:16], v[31:32], v[33:34], 1.0
	v_ldexp_f64 v[15:16], v[15:16], v2
	v_add_f64 v[15:16], v[15:16], 1.0
	v_div_scale_f64 v[31:32], null, v[15:16], v[15:16], 1.0
	v_div_scale_f64 v[37:38], vcc_lo, 1.0, v[15:16], 1.0
	v_rcp_f64_e32 v[33:34], v[31:32]
	v_fma_f64 v[35:36], -v[31:32], v[33:34], 1.0
	v_fma_f64 v[33:34], v[33:34], v[35:36], v[33:34]
	v_fma_f64 v[35:36], -v[31:32], v[33:34], 1.0
	v_fma_f64 v[33:34], v[33:34], v[35:36], v[33:34]
	v_mul_f64 v[35:36], v[37:38], v[33:34]
	v_fma_f64 v[31:32], -v[31:32], v[35:36], v[37:38]
	v_div_fmas_f64 v[31:32], v[31:32], v[33:34], v[35:36]
	v_cmp_ngt_f64_e32 vcc_lo, 0xc0900000, v[7:8]
	s_waitcnt vmcnt(0)
	v_add_f64 v[7:8], v[19:20], v[29:30]
	v_div_fixup_f64 v[15:16], v[31:32], v[15:16], 1.0
	v_cndmask_b32_e32 v2, 0, v16, vcc_lo
	s_and_b32 vcc_lo, s0, vcc_lo
	v_cndmask_b32_e32 v19, 0, v15, vcc_lo
	v_cndmask_b32_e64 v20, 0x3ff00000, v2, s0
	s_mov_b32 s0, 0xf278e000
	s_mov_b32 s1, 0xbd53de6a
	v_fma_f64 v[13:14], v[7:8], v[19:20], v[13:14]
	v_mul_f64 v[15:16], |v[13:14]|, s[4:5]
	v_rndne_f64_e32 v[15:16], v[15:16]
	v_fma_f64 v[27:28], v[15:16], s[94:95], |v[13:14]|
	v_mul_f64 v[29:30], v[15:16], s[0:1]
	s_mov_b32 s0, 0xf97b57a0
	s_mov_b32 s1, 0xbac9cc01
	v_cvt_i32_f64_e32 v2, v[15:16]
	v_add_f64 v[31:32], v[27:28], 0
	v_add_f64 v[33:34], v[31:32], v[29:30]
	v_add_f64 v[27:28], v[27:28], -v[31:32]
	v_add_f64 v[31:32], v[31:32], -v[33:34]
	v_add_f64 v[27:28], v[27:28], 0
	v_add_f64 v[29:30], v[31:32], v[29:30]
	;; [unrolled: 1-line block ×3, first 2 shown]
	v_mul_f64 v[29:30], v[15:16], s[0:1]
	v_cmp_nlt_f64_e64 s0, 0x40331000, |v[13:14]|
	v_add_f64 v[31:32], v[33:34], v[27:28]
	v_add_f64 v[35:36], v[31:32], v[29:30]
	v_add_f64 v[33:34], v[33:34], -v[31:32]
	v_add_f64 v[31:32], v[31:32], -v[35:36]
	v_add_f64 v[27:28], v[27:28], v[33:34]
	v_add_f64 v[29:30], v[31:32], v[29:30]
	;; [unrolled: 1-line block ×4, first 2 shown]
	v_fma_f64 v[31:32], v[29:30], s[72:73], s[70:71]
	v_add_f64 v[33:34], v[35:36], -v[29:30]
	v_mul_f64 v[35:36], v[29:30], v[29:30]
	v_fma_f64 v[31:32], v[29:30], v[31:32], s[74:75]
	v_add_f64 v[27:28], v[27:28], v[33:34]
	v_fma_f64 v[33:34], v[29:30], v[29:30], -v[35:36]
	v_fma_f64 v[31:32], v[29:30], v[31:32], s[76:77]
	v_add_f64 v[37:38], v[27:28], v[27:28]
	v_fma_f64 v[31:32], v[29:30], v[31:32], s[78:79]
	v_fma_f64 v[33:34], v[29:30], v[37:38], v[33:34]
	;; [unrolled: 1-line block ×3, first 2 shown]
	v_add_f64 v[37:38], v[35:36], v[33:34]
	v_fma_f64 v[31:32], v[29:30], v[31:32], s[82:83]
	v_add_f64 v[35:36], v[37:38], -v[35:36]
	v_fma_f64 v[31:32], v[29:30], v[31:32], s[84:85]
	v_add_f64 v[33:34], v[33:34], -v[35:36]
	v_fma_f64 v[31:32], v[29:30], v[31:32], s[86:87]
	v_fma_f64 v[31:32], v[29:30], v[31:32], s[88:89]
	v_mul_f64 v[39:40], v[37:38], v[31:32]
	v_fma_f64 v[35:36], v[37:38], v[31:32], -v[39:40]
	v_fma_f64 v[31:32], v[33:34], v[31:32], v[35:36]
	v_add_f64 v[33:34], v[39:40], v[31:32]
	v_add_f64 v[35:36], v[29:30], v[33:34]
	v_add_f64 v[37:38], v[33:34], -v[39:40]
	v_add_f64 v[29:30], v[35:36], -v[29:30]
	;; [unrolled: 1-line block ×4, first 2 shown]
	v_add_f64 v[27:28], v[27:28], v[31:32]
	v_add_f64 v[27:28], v[27:28], v[29:30]
	v_add_f64 v[29:30], v[35:36], v[27:28]
	v_add_f64 v[31:32], v[29:30], 1.0
	v_add_f64 v[33:34], v[29:30], -v[35:36]
	v_add_f64 v[35:36], v[31:32], -1.0
	v_add_f64 v[27:28], v[27:28], -v[33:34]
	v_add_f64 v[29:30], v[29:30], -v[35:36]
	v_add_f64 v[27:28], v[27:28], v[29:30]
	v_add_f64 v[15:16], v[31:32], v[27:28]
	v_ldexp_f64 v[29:30], v[15:16], v2
	v_add_f64 v[15:16], v[15:16], -v[31:32]
	v_rcp_f64_e32 v[33:34], v[29:30]
	v_add_f64 v[15:16], v[27:28], -v[15:16]
	v_ldexp_f64 v[15:16], v[15:16], v2
	v_fma_f64 v[35:36], -v[29:30], v[33:34], 1.0
	v_fma_f64 v[33:34], v[35:36], v[33:34], v[33:34]
	v_fma_f64 v[35:36], -v[29:30], v[33:34], 1.0
	v_fma_f64 v[31:32], v[35:36], v[33:34], v[33:34]
	v_mul_f64 v[27:28], v[29:30], v[31:32]
	v_fma_f64 v[33:34], v[31:32], v[29:30], -v[27:28]
	v_fma_f64 v[33:34], v[31:32], v[15:16], v[33:34]
	v_add_f64 v[35:36], v[27:28], v[33:34]
	v_add_f64 v[37:38], -v[35:36], 1.0
	v_add_f64 v[27:28], v[35:36], -v[27:28]
	v_add_f64 v[39:40], -v[37:38], 1.0
	v_add_f64 v[27:28], v[27:28], -v[33:34]
	v_add_f64 v[33:34], v[39:40], -v[35:36]
	v_add_f64 v[27:28], v[27:28], v[33:34]
	v_add_f64 v[33:34], v[37:38], v[27:28]
	v_mul_f64 v[35:36], v[31:32], v[33:34]
	v_add_f64 v[37:38], v[37:38], -v[33:34]
	v_mul_f64 v[39:40], v[29:30], v[35:36]
	v_add_f64 v[27:28], v[27:28], v[37:38]
	v_add_f64 v[17:18], v[31:32], v[35:36]
	v_fma_f64 v[41:42], v[35:36], v[29:30], -v[39:40]
	v_add_f64 v[23:24], v[17:18], -v[31:32]
	v_fma_f64 v[41:42], v[35:36], v[15:16], v[41:42]
	v_add_f64 v[9:10], v[35:36], -v[23:24]
	v_add_f64 v[43:44], v[39:40], v[41:42]
	v_add_f64 v[45:46], v[33:34], -v[43:44]
	v_add_f64 v[37:38], v[43:44], -v[39:40]
	v_add_f64 v[33:34], v[33:34], -v[45:46]
	v_add_f64 v[37:38], v[37:38], -v[41:42]
	v_add_f64 v[33:34], v[33:34], -v[43:44]
	v_add_f64 v[27:28], v[27:28], v[33:34]
	v_add_f64 v[27:28], v[37:38], v[27:28]
	;; [unrolled: 1-line block ×3, first 2 shown]
	v_mul_f64 v[23:24], v[31:32], v[27:28]
	v_mul_f64 v[27:28], v[25:26], s[64:65]
	v_add_f64 v[9:10], v[9:10], v[23:24]
	v_rndne_f64_e32 v[23:24], v[27:28]
	v_add_f64 v[27:28], v[17:18], v[9:10]
	v_fma_f64 v[31:32], v[23:24], s[66:67], -v[25:26]
	v_cvt_i32_f64_e32 v2, v[23:24]
	v_add_f64 v[33:34], v[29:30], v[27:28]
	v_add_f64 v[17:18], v[27:28], -v[17:18]
	v_fma_f64 v[31:32], v[23:24], s[2:3], v[31:32]
	v_add_f64 v[39:40], v[29:30], -v[27:28]
	v_add_f64 v[35:36], v[33:34], -v[29:30]
	;; [unrolled: 1-line block ×3, first 2 shown]
	v_fma_f64 v[17:18], v[31:32], s[72:73], s[70:71]
	v_add_f64 v[29:30], v[29:30], -v[39:40]
	v_add_f64 v[35:36], v[27:28], -v[35:36]
	v_add_f64 v[37:38], v[15:16], v[9:10]
	v_fma_f64 v[17:18], v[31:32], v[17:18], s[74:75]
	v_add_f64 v[27:28], v[29:30], -v[27:28]
	v_add_f64 v[35:36], v[37:38], v[35:36]
	v_fma_f64 v[17:18], v[31:32], v[17:18], s[76:77]
	v_add_f64 v[15:16], v[15:16], v[27:28]
	v_add_f64 v[37:38], v[33:34], v[35:36]
	v_fma_f64 v[17:18], v[31:32], v[17:18], s[78:79]
	v_add_f64 v[9:10], v[15:16], -v[9:10]
	v_rcp_f64_e32 v[41:42], v[37:38]
	v_fma_f64 v[17:18], v[31:32], v[17:18], s[80:81]
	v_add_f64 v[33:34], v[37:38], -v[33:34]
	v_fma_f64 v[17:18], v[31:32], v[17:18], s[82:83]
	v_fma_f64 v[29:30], -v[37:38], v[41:42], 1.0
	v_add_f64 v[23:24], v[35:36], -v[33:34]
	v_fma_f64 v[17:18], v[31:32], v[17:18], s[84:85]
	v_fma_f64 v[27:28], v[29:30], v[41:42], v[41:42]
	v_add_f64 v[29:30], v[39:40], v[9:10]
	v_fma_f64 v[17:18], v[31:32], v[17:18], s[86:87]
	v_fma_f64 v[15:16], -v[37:38], v[27:28], 1.0
	v_fma_f64 v[17:18], v[31:32], v[17:18], s[88:89]
	v_fma_f64 v[15:16], v[15:16], v[27:28], v[27:28]
	v_fma_f64 v[17:18], v[31:32], v[17:18], 1.0
	v_mul_f64 v[27:28], v[29:30], v[15:16]
	v_fma_f64 v[17:18], v[31:32], v[17:18], 1.0
	v_mul_f64 v[41:42], v[37:38], v[27:28]
	v_ldexp_f64 v[17:18], v[17:18], v2
	v_fma_f64 v[31:32], v[27:28], v[37:38], -v[41:42]
	v_add_f64 v[17:18], v[17:18], 1.0
	v_fma_f64 v[23:24], v[27:28], v[23:24], v[31:32]
	v_div_scale_f64 v[33:34], null, v[17:18], v[17:18], 1.0
	v_add_f64 v[31:32], v[41:42], v[23:24]
	v_rcp_f64_e32 v[37:38], v[33:34]
	v_add_f64 v[35:36], v[29:30], -v[31:32]
	v_add_f64 v[41:42], v[31:32], -v[41:42]
	;; [unrolled: 1-line block ×3, first 2 shown]
	v_fma_f64 v[45:46], -v[33:34], v[37:38], 1.0
	v_add_f64 v[29:30], v[29:30], -v[39:40]
	v_add_f64 v[23:24], v[23:24], -v[41:42]
	;; [unrolled: 1-line block ×3, first 2 shown]
	v_fma_f64 v[37:38], v[37:38], v[45:46], v[37:38]
	v_add_f64 v[9:10], v[9:10], -v[29:30]
	v_add_f64 v[23:24], v[31:32], -v[23:24]
	v_fma_f64 v[29:30], -v[33:34], v[37:38], 1.0
	v_add_f64 v[9:10], v[9:10], v[23:24]
	v_div_scale_f64 v[23:24], vcc_lo, 1.0, v[17:18], 1.0
	v_fma_f64 v[29:30], v[37:38], v[29:30], v[37:38]
	v_add_f64 v[9:10], v[35:36], v[9:10]
	v_mul_f64 v[31:32], v[23:24], v[29:30]
	v_mul_f64 v[9:10], v[15:16], v[9:10]
	v_fma_f64 v[15:16], -v[33:34], v[31:32], v[23:24]
	v_mul_lo_u32 v23, s91, v22
	v_add_f64 v[9:10], v[27:28], v[9:10]
	v_mul_lo_u32 v27, v21, s25
	v_mul_lo_u32 v28, s63, v5
	v_div_fmas_f64 v[15:16], v[15:16], v[29:30], v[31:32]
	v_cmp_gt_f64_e64 vcc_lo, 0x3e400000, |v[13:14]|
	v_mul_lo_u32 v29, s62, v6
	v_cndmask_b32_e64 v2, 0x3ff00000, v10, s0
	v_cndmask_b32_e64 v9, 0, v9, s0
	v_and_b32_e32 v10, 0x7fffffff, v14
	v_readlane_b32 s0, v47, 4
	v_div_fixup_f64 v[15:16], v[15:16], v[17:18], 1.0
	v_mad_u64_u32 v[17:18], null, s91, v21, v[3:4]
	v_cndmask_b32_e32 v9, v9, v13, vcc_lo
	v_cndmask_b32_e32 v2, v2, v10, vcc_lo
	v_cmp_ngt_f64_e32 vcc_lo, 0xc0900000, v[25:26]
	v_mul_lo_u32 v13, s0, v21
	v_cmp_nlt_f64_e64 s0, 0x4090cc00, v[25:26]
	v_mul_lo_u32 v26, v22, s24
	v_bfi_b32 v10, 0x7fffffff, v2, v14
	v_mad_u64_u32 v[21:22], null, v21, s24, 0
	v_mul_lo_u32 v25, v17, s27
	v_add3_u32 v2, v13, v18, v23
	v_add_f64 v[13:14], v[11:12], -v[9:10]
	v_mad_u64_u32 v[23:24], null, v17, s26, 0
	v_mad_u64_u32 v[17:18], null, s62, v5, 0
	v_mul_lo_u32 v2, v2, s26
	v_add3_u32 v22, v22, v27, v26
	v_lshlrev_b64 v[21:22], 3, v[21:22]
	v_cndmask_b32_e32 v16, 0, v16, vcc_lo
	v_add3_u32 v24, v24, v25, v2
	s_and_b32 vcc_lo, s0, vcc_lo
	v_add3_u32 v18, v18, v29, v28
	v_cndmask_b32_e32 v15, 0, v15, vcc_lo
	v_cndmask_b32_e64 v16, 0x3ff00000, v16, s0
	v_lshlrev_b64 v[23:24], 3, v[23:24]
	s_mov_b32 s0, exec_lo
	v_fma_f64 v[25:26], v[15:16], v[13:14], v[9:10]
	v_add_co_u32 v14, vcc_lo, v3, v17
	v_add_co_ci_u32_e64 v13, null, v4, v18, vcc_lo
	v_add_co_u32 v21, vcc_lo, s54, v21
	v_add_co_ci_u32_e64 v22, null, s55, v22, vcc_lo
	v_or_b32_e32 v2, s59, v13
	v_add_co_u32 v21, vcc_lo, v21, v23
	v_add_co_ci_u32_e64 v22, null, v22, v24, vcc_lo
	global_store_dwordx2 v[21:22], v[25:26], off
                                        ; implicit-def: $vgpr21_vgpr22
	v_cmpx_ne_u64_e32 0, v[1:2]
	s_xor_b32 s4, exec_lo, s0
	s_cbranch_execz .LBB35_44
; %bb.43:                               ;   in Loop: Header=BB35_3 Depth=1
	s_ashr_i32 s96, s59, 31
	v_ashrrev_i32_e32 v23, 31, v13
	s_add_u32 s0, s58, s96
	s_mov_b32 s97, s96
	s_addc_u32 s1, s59, s96
	s_xor_b64 s[2:3], s[0:1], s[96:97]
	v_add_co_u32 v14, vcc_lo, v14, v23
	v_cvt_f32_u32_e32 v2, s2
	v_cvt_f32_u32_e32 v21, s3
	s_sub_u32 s33, 0, s2
	s_subb_u32 s68, 0, s3
	v_add_co_ci_u32_e64 v13, null, v13, v23, vcc_lo
	v_fmac_f32_e32 v2, 0x4f800000, v21
	v_xor_b32_e32 v24, v13, v23
	v_rcp_f32_e32 v2, v2
	v_mul_f32_e32 v2, 0x5f7ffffc, v2
	v_mul_f32_e32 v21, 0x2f800000, v2
	v_trunc_f32_e32 v21, v21
	v_fmac_f32_e32 v2, 0xcf800000, v21
	v_cvt_u32_f32_e32 v21, v21
	v_cvt_u32_f32_e32 v2, v2
	v_readfirstlane_b32 s0, v21
	v_readfirstlane_b32 s1, v2
	s_mul_i32 s69, s33, s0
	v_xor_b32_e32 v2, v14, v23
	s_mul_hi_u32 s95, s33, s1
	s_mul_i32 s93, s68, s1
	s_add_i32 s69, s95, s69
	s_mul_i32 s97, s33, s1
	s_add_i32 s69, s69, s93
	s_mul_hi_u32 s95, s1, s97
	s_mul_i32 s99, s1, s69
	s_mul_hi_u32 s98, s0, s97
	s_mul_i32 s93, s0, s97
	s_mul_hi_u32 s97, s1, s69
	s_add_u32 s95, s95, s99
	s_addc_u32 s97, 0, s97
	s_mul_hi_u32 s104, s0, s69
	s_add_u32 s93, s95, s93
	s_mul_i32 s69, s0, s69
	s_addc_u32 s93, s97, s98
	s_addc_u32 s95, s104, 0
	s_add_u32 s69, s93, s69
	s_addc_u32 s93, 0, s95
	s_add_u32 s1, s1, s69
	s_cselect_b32 s69, -1, 0
	s_mul_hi_u32 s95, s33, s1
	s_cmp_lg_u32 s69, 0
	s_mul_i32 s69, s33, s1
	s_addc_u32 s0, s0, s93
	s_mul_i32 s68, s68, s1
	s_mul_i32 s33, s33, s0
	s_mul_hi_u32 s93, s1, s69
	s_add_i32 s33, s95, s33
	s_mul_hi_u32 s95, s0, s69
	s_add_i32 s33, s33, s68
	s_mul_i32 s68, s0, s69
	s_mul_i32 s98, s1, s33
	s_mul_hi_u32 s97, s1, s33
	s_add_u32 s93, s93, s98
	s_addc_u32 s97, 0, s97
	s_mul_hi_u32 s69, s0, s33
	s_add_u32 s68, s93, s68
	s_mul_i32 s33, s0, s33
	s_addc_u32 s68, s97, s95
	s_addc_u32 s69, s69, 0
	s_add_u32 s33, s68, s33
	s_addc_u32 s68, 0, s69
	s_add_u32 s1, s1, s33
	s_cselect_b32 s33, -1, 0
	v_mul_hi_u32 v14, v2, s1
	s_cmp_lg_u32 s33, 0
	s_addc_u32 s33, s0, s68
	v_mad_u64_u32 v[21:22], null, v2, s33, 0
	v_add_co_u32 v21, s0, v14, v21
	v_mad_u64_u32 v[13:14], null, v24, s1, 0
	v_add_co_ci_u32_e64 v22, null, 0, v22, s0
	v_add_co_u32 v13, vcc_lo, v21, v13
	v_add_co_ci_u32_e32 v21, vcc_lo, v22, v14, vcc_lo
	v_mad_u64_u32 v[13:14], null, v24, s33, 0
	v_add_co_u32 v21, s0, v21, v13
	v_add_co_ci_u32_e32 v13, vcc_lo, 0, v14, vcc_lo
	v_mul_lo_u32 v25, s3, v21
	v_add_co_ci_u32_e64 v22, null, 0, v13, s0
	v_mad_u64_u32 v[13:14], null, s2, v21, 0
	v_mul_lo_u32 v26, s2, v22
	v_sub_co_u32 v2, vcc_lo, v2, v13
	v_add3_u32 v14, v14, v26, v25
	v_cmp_le_u32_e64 s0, s2, v2
	v_sub_co_u32 v2, s1, v2, s2
	v_sub_nc_u32_e32 v13, v24, v14
	v_sub_co_ci_u32_e64 v14, null, v24, v14, vcc_lo
	v_cmp_le_u32_e64 s2, s2, v2
	v_subrev_co_ci_u32_e64 v2, null, s3, v13, vcc_lo
	v_cmp_le_u32_e32 vcc_lo, s3, v14
	v_cndmask_b32_e64 v13, 0, -1, s0
	v_subrev_co_ci_u32_e64 v2, null, 0, v2, s1
	v_cmp_eq_u32_e64 s1, s3, v14
	v_cmp_le_u32_e64 s0, s3, v2
	v_cmp_eq_u32_e64 s3, s3, v2
	v_cndmask_b32_e64 v2, 0, -1, vcc_lo
	v_cndmask_b32_e64 v14, 0, -1, s0
	v_cndmask_b32_e64 v2, v2, v13, s1
	v_cndmask_b32_e64 v13, 0, -1, s2
	v_cmp_ne_u32_e32 vcc_lo, 0, v2
	v_cndmask_b32_e64 v13, v14, v13, s3
	v_add_co_u32 v2, s0, v21, 2
	v_cmp_ne_u32_e64 s1, 0, v13
	v_add_co_u32 v13, s2, v21, 1
	v_add_co_ci_u32_e64 v14, null, 0, v22, s2
	v_cndmask_b32_e64 v2, v13, v2, s1
	v_add_co_ci_u32_e64 v13, null, 0, v22, s0
	v_cndmask_b32_e32 v2, v21, v2, vcc_lo
	v_cndmask_b32_e64 v13, v14, v13, s1
	v_xor_b32_e32 v14, s96, v23
	v_cndmask_b32_e32 v13, v22, v13, vcc_lo
	v_xor_b32_e32 v2, v2, v14
	v_xor_b32_e32 v13, v13, v14
	v_sub_co_u32 v21, vcc_lo, v2, v14
	v_sub_co_ci_u32_e64 v22, null, v13, v14, vcc_lo
                                        ; implicit-def: $vgpr14
.LBB35_44:                              ;   in Loop: Header=BB35_3 Depth=1
	s_or_saveexec_b32 s0, s4
	v_cvt_f32_u32_e32 v23, s58
	s_xor_b32 exec_lo, exec_lo, s0
	s_cbranch_execz .LBB35_46
; %bb.45:                               ;   in Loop: Header=BB35_3 Depth=1
	v_rcp_iflag_f32_e32 v2, v23
	s_sub_i32 s1, 0, s58
	v_mov_b32_e32 v22, v1
	v_mul_f32_e32 v2, 0x4f7ffffe, v2
	v_cvt_u32_f32_e32 v2, v2
	v_mul_lo_u32 v13, s1, v2
	v_mul_hi_u32 v13, v2, v13
	v_add_nc_u32_e32 v2, v2, v13
	v_mul_hi_u32 v2, v14, v2
	v_mul_lo_u32 v13, v2, s58
	v_sub_nc_u32_e32 v13, v14, v13
	v_add_nc_u32_e32 v14, 1, v2
	v_subrev_nc_u32_e32 v21, s58, v13
	v_cmp_le_u32_e32 vcc_lo, s58, v13
	v_cndmask_b32_e32 v13, v13, v21, vcc_lo
	v_cndmask_b32_e32 v2, v2, v14, vcc_lo
	v_cmp_le_u32_e32 vcc_lo, s58, v13
	v_add_nc_u32_e32 v14, 1, v2
	v_cndmask_b32_e32 v21, v2, v14, vcc_lo
.LBB35_46:                              ;   in Loop: Header=BB35_3 Depth=1
	s_or_b32 exec_lo, exec_lo, s0
	v_mul_lo_u32 v2, v22, s58
	v_mul_lo_u32 v13, v21, s59
	v_mad_u64_u32 v[24:25], null, v21, s58, 0
	v_mul_lo_u32 v22, v22, s28
	v_mul_lo_u32 v26, v21, s29
	s_mov_b32 s0, exec_lo
	v_add3_u32 v2, v25, v13, v2
	v_sub_co_u32 v17, vcc_lo, v17, v24
	v_lshlrev_b64 v[13:14], 2, v[5:6]
	v_alignbit_b32 v5, v6, v5, 30
	v_sub_co_ci_u32_e64 v2, null, v18, v2, vcc_lo
	v_add_co_u32 v24, vcc_lo, v3, v17
	v_mad_u64_u32 v[17:18], null, v21, s28, 0
	v_add_co_ci_u32_e64 v2, null, v4, v2, vcc_lo
	v_mul_lo_u32 v28, v24, s31
	v_mad_u64_u32 v[24:25], null, v24, s30, 0
	v_mul_lo_u32 v2, v2, s30
	v_mul_lo_u32 v21, s8, v5
	;; [unrolled: 1-line block ×3, first 2 shown]
	v_mad_u64_u32 v[5:6], null, s8, v13, s[8:9]
	v_add3_u32 v18, v18, v26, v22
	v_add3_u32 v25, v25, v28, v2
	v_lshlrev_b64 v[17:18], 3, v[17:18]
	v_add3_u32 v6, v27, v6, v21
	v_add_co_u32 v22, vcc_lo, v3, v5
	v_lshlrev_b64 v[24:25], 3, v[24:25]
	v_add_co_ci_u32_e64 v21, null, v4, v6, vcc_lo
	v_add_co_u32 v17, vcc_lo, s56, v17
	v_add_co_ci_u32_e64 v18, null, s57, v18, vcc_lo
	v_or_b32_e32 v2, s59, v21
	v_add_co_u32 v17, vcc_lo, v17, v24
	v_add_co_ci_u32_e64 v18, null, v18, v25, vcc_lo
	global_store_dwordx2 v[17:18], v[19:20], off
                                        ; implicit-def: $vgpr17_vgpr18
	v_cmpx_ne_u64_e32 0, v[1:2]
	s_xor_b32 s4, exec_lo, s0
	s_cbranch_execz .LBB35_48
; %bb.47:                               ;   in Loop: Header=BB35_3 Depth=1
	s_ashr_i32 s96, s59, 31
	v_ashrrev_i32_e32 v19, 31, v21
	s_add_u32 s0, s58, s96
	s_mov_b32 s97, s96
	s_addc_u32 s1, s59, s96
	s_xor_b64 s[2:3], s[0:1], s[96:97]
	v_add_co_u32 v18, vcc_lo, v22, v19
	v_cvt_f32_u32_e32 v2, s2
	v_cvt_f32_u32_e32 v17, s3
	s_sub_u32 s33, 0, s2
	s_subb_u32 s68, 0, s3
	v_fmac_f32_e32 v2, 0x4f800000, v17
	v_rcp_f32_e32 v2, v2
	v_mul_f32_e32 v2, 0x5f7ffffc, v2
	v_mul_f32_e32 v17, 0x2f800000, v2
	v_trunc_f32_e32 v17, v17
	v_fmac_f32_e32 v2, 0xcf800000, v17
	v_cvt_u32_f32_e32 v17, v17
	v_cvt_u32_f32_e32 v2, v2
	v_readfirstlane_b32 s0, v17
	v_readfirstlane_b32 s1, v2
	s_mul_i32 s69, s33, s0
	v_xor_b32_e32 v2, v18, v19
	s_mul_hi_u32 s95, s33, s1
	s_mul_i32 s93, s68, s1
	s_add_i32 s69, s95, s69
	s_mul_i32 s97, s33, s1
	s_add_i32 s69, s69, s93
	s_mul_hi_u32 s95, s1, s97
	s_mul_i32 s99, s1, s69
	s_mul_hi_u32 s98, s0, s97
	s_mul_i32 s93, s0, s97
	s_mul_hi_u32 s97, s1, s69
	s_add_u32 s95, s95, s99
	s_addc_u32 s97, 0, s97
	s_mul_hi_u32 s104, s0, s69
	s_add_u32 s93, s95, s93
	s_mul_i32 s69, s0, s69
	s_addc_u32 s93, s97, s98
	s_addc_u32 s95, s104, 0
	s_add_u32 s69, s93, s69
	s_addc_u32 s93, 0, s95
	s_add_u32 s1, s1, s69
	s_cselect_b32 s69, -1, 0
	s_mul_hi_u32 s95, s33, s1
	s_cmp_lg_u32 s69, 0
	s_mul_i32 s69, s33, s1
	s_addc_u32 s0, s0, s93
	s_mul_i32 s68, s68, s1
	s_mul_i32 s33, s33, s0
	s_mul_hi_u32 s93, s1, s69
	s_add_i32 s33, s95, s33
	s_mul_hi_u32 s95, s0, s69
	s_add_i32 s33, s33, s68
	s_mul_i32 s68, s0, s69
	s_mul_i32 s98, s1, s33
	s_mul_hi_u32 s97, s1, s33
	s_add_u32 s93, s93, s98
	s_addc_u32 s97, 0, s97
	s_mul_hi_u32 s69, s0, s33
	s_add_u32 s68, s93, s68
	s_mul_i32 s33, s0, s33
	s_addc_u32 s68, s97, s95
	s_addc_u32 s69, s69, 0
	s_add_u32 s33, s68, s33
	s_addc_u32 s68, 0, s69
	s_add_u32 s1, s1, s33
	s_cselect_b32 s33, -1, 0
	v_mul_hi_u32 v20, v2, s1
	s_cmp_lg_u32 s33, 0
	s_addc_u32 s33, s0, s68
	v_mad_u64_u32 v[17:18], null, v2, s33, 0
	v_add_co_u32 v20, s0, v20, v17
	v_add_co_ci_u32_e64 v17, null, v21, v19, vcc_lo
	v_add_co_ci_u32_e64 v22, null, 0, v18, s0
	v_xor_b32_e32 v21, v17, v19
	v_mad_u64_u32 v[17:18], null, v21, s1, 0
	v_add_co_u32 v17, vcc_lo, v20, v17
	v_add_co_ci_u32_e32 v20, vcc_lo, v22, v18, vcc_lo
	v_mad_u64_u32 v[17:18], null, v21, s33, 0
	v_add_co_u32 v20, s0, v20, v17
	v_add_co_ci_u32_e32 v17, vcc_lo, 0, v18, vcc_lo
	v_mul_lo_u32 v24, s3, v20
	v_add_co_ci_u32_e64 v22, null, 0, v17, s0
	v_mad_u64_u32 v[17:18], null, s2, v20, 0
	v_mul_lo_u32 v25, s2, v22
	v_sub_co_u32 v2, vcc_lo, v2, v17
	v_add3_u32 v18, v18, v25, v24
	v_cmp_le_u32_e64 s0, s2, v2
	v_sub_co_u32 v2, s1, v2, s2
	v_sub_nc_u32_e32 v17, v21, v18
	v_sub_co_ci_u32_e64 v18, null, v21, v18, vcc_lo
	v_cmp_le_u32_e64 s2, s2, v2
	v_subrev_co_ci_u32_e64 v2, null, s3, v17, vcc_lo
	v_cmp_le_u32_e32 vcc_lo, s3, v18
	v_cndmask_b32_e64 v17, 0, -1, s0
	v_subrev_co_ci_u32_e64 v2, null, 0, v2, s1
	v_cmp_eq_u32_e64 s1, s3, v18
	v_cmp_le_u32_e64 s0, s3, v2
	v_cmp_eq_u32_e64 s3, s3, v2
	v_cndmask_b32_e64 v2, 0, -1, vcc_lo
	v_cndmask_b32_e64 v18, 0, -1, s0
	v_cndmask_b32_e64 v2, v2, v17, s1
	v_cndmask_b32_e64 v17, 0, -1, s2
	v_cmp_ne_u32_e32 vcc_lo, 0, v2
	v_cndmask_b32_e64 v17, v18, v17, s3
	v_add_co_u32 v2, s0, v20, 2
	v_cmp_ne_u32_e64 s1, 0, v17
	v_add_co_u32 v17, s2, v20, 1
	v_add_co_ci_u32_e64 v18, null, 0, v22, s2
	v_cndmask_b32_e64 v2, v17, v2, s1
	v_add_co_ci_u32_e64 v17, null, 0, v22, s0
	v_cndmask_b32_e32 v2, v20, v2, vcc_lo
	v_cndmask_b32_e64 v17, v18, v17, s1
	v_xor_b32_e32 v18, s96, v19
	v_cndmask_b32_e32 v17, v22, v17, vcc_lo
	v_xor_b32_e32 v2, v2, v18
                                        ; implicit-def: $vgpr22
	v_xor_b32_e32 v19, v17, v18
	v_sub_co_u32 v17, vcc_lo, v2, v18
	v_sub_co_ci_u32_e64 v18, null, v19, v18, vcc_lo
.LBB35_48:                              ;   in Loop: Header=BB35_3 Depth=1
	s_andn2_saveexec_b32 s0, s4
	s_cbranch_execz .LBB35_50
; %bb.49:                               ;   in Loop: Header=BB35_3 Depth=1
	v_rcp_iflag_f32_e32 v2, v23
	s_sub_i32 s1, 0, s58
	v_mul_f32_e32 v2, 0x4f7ffffe, v2
	v_cvt_u32_f32_e32 v2, v2
	v_mul_lo_u32 v17, s1, v2
	v_mul_hi_u32 v17, v2, v17
	v_add_nc_u32_e32 v2, v2, v17
	v_mul_hi_u32 v2, v22, v2
	v_mul_lo_u32 v17, v2, s58
	v_add_nc_u32_e32 v18, 1, v2
	v_sub_nc_u32_e32 v17, v22, v17
	v_subrev_nc_u32_e32 v19, s58, v17
	v_cmp_le_u32_e32 vcc_lo, s58, v17
	v_cndmask_b32_e32 v17, v17, v19, vcc_lo
	v_cndmask_b32_e32 v2, v2, v18, vcc_lo
	v_cmp_le_u32_e32 vcc_lo, s58, v17
	v_add_nc_u32_e32 v18, 1, v2
	v_cndmask_b32_e32 v17, v2, v18, vcc_lo
	v_mov_b32_e32 v18, v1
.LBB35_50:                              ;   in Loop: Header=BB35_3 Depth=1
	s_or_b32 exec_lo, exec_lo, s0
	v_mul_lo_u32 v2, v18, s58
	v_mul_lo_u32 v21, v17, s59
	v_mad_u64_u32 v[19:20], null, v17, s58, 0
	v_mul_lo_u32 v22, v18, s28
	s_mov_b32 s0, exec_lo
	v_add3_u32 v2, v20, v21, v2
	v_sub_co_u32 v5, vcc_lo, v5, v19
	v_mul_lo_u32 v21, v17, s29
	v_mad_u64_u32 v[17:18], null, v17, s28, 0
	v_sub_co_ci_u32_e64 v2, null, v6, v2, vcc_lo
	v_add_co_u32 v5, vcc_lo, v3, v5
	v_add_co_ci_u32_e64 v2, null, v4, v2, vcc_lo
	v_add_co_u32 v6, vcc_lo, v13, 2
	v_add_co_ci_u32_e64 v24, null, 0, v14, vcc_lo
	v_mul_lo_u32 v25, v5, s31
	v_mul_lo_u32 v2, v2, s30
	v_mad_u64_u32 v[19:20], null, v5, s30, 0
	v_mul_lo_u32 v26, s9, v6
	v_mul_lo_u32 v24, s8, v24
	v_mad_u64_u32 v[5:6], null, s8, v6, 0
	v_add3_u32 v18, v18, v21, v22
	v_add3_u32 v20, v20, v25, v2
	v_lshlrev_b64 v[21:22], 3, v[17:18]
	v_add3_u32 v6, v6, v24, v26
	v_add_co_u32 v18, vcc_lo, v3, v5
	v_lshlrev_b64 v[19:20], 3, v[19:20]
	v_add_co_ci_u32_e64 v17, null, v4, v6, vcc_lo
	v_add_co_u32 v21, vcc_lo, s56, v21
	v_add_co_ci_u32_e64 v22, null, s57, v22, vcc_lo
	v_or_b32_e32 v2, s59, v17
	v_add_co_u32 v19, vcc_lo, v21, v19
	v_add_co_ci_u32_e64 v20, null, v22, v20, vcc_lo
	global_store_dwordx2 v[19:20], v[15:16], off
                                        ; implicit-def: $vgpr15_vgpr16
	v_cmpx_ne_u64_e32 0, v[1:2]
	s_xor_b32 s4, exec_lo, s0
	s_cbranch_execz .LBB35_52
; %bb.51:                               ;   in Loop: Header=BB35_3 Depth=1
	s_ashr_i32 s96, s59, 31
	v_ashrrev_i32_e32 v19, 31, v17
	s_add_u32 s0, s58, s96
	s_mov_b32 s97, s96
	s_addc_u32 s1, s59, s96
	s_xor_b64 s[2:3], s[0:1], s[96:97]
	v_add_co_u32 v16, vcc_lo, v18, v19
	v_cvt_f32_u32_e32 v2, s2
	v_cvt_f32_u32_e32 v15, s3
	s_sub_u32 s33, 0, s2
	s_subb_u32 s68, 0, s3
	v_fmac_f32_e32 v2, 0x4f800000, v15
	v_rcp_f32_e32 v2, v2
	v_mul_f32_e32 v2, 0x5f7ffffc, v2
	v_mul_f32_e32 v15, 0x2f800000, v2
	v_trunc_f32_e32 v15, v15
	v_fmac_f32_e32 v2, 0xcf800000, v15
	v_cvt_u32_f32_e32 v15, v15
	v_cvt_u32_f32_e32 v2, v2
	v_readfirstlane_b32 s0, v15
	v_readfirstlane_b32 s1, v2
	s_mul_i32 s69, s33, s0
	v_xor_b32_e32 v2, v16, v19
	s_mul_hi_u32 s95, s33, s1
	s_mul_i32 s93, s68, s1
	s_add_i32 s69, s95, s69
	s_mul_i32 s97, s33, s1
	s_add_i32 s69, s69, s93
	s_mul_hi_u32 s95, s1, s97
	s_mul_i32 s99, s1, s69
	s_mul_hi_u32 s98, s0, s97
	s_mul_i32 s93, s0, s97
	s_mul_hi_u32 s97, s1, s69
	s_add_u32 s95, s95, s99
	s_addc_u32 s97, 0, s97
	s_mul_hi_u32 s104, s0, s69
	s_add_u32 s93, s95, s93
	s_mul_i32 s69, s0, s69
	s_addc_u32 s93, s97, s98
	s_addc_u32 s95, s104, 0
	s_add_u32 s69, s93, s69
	s_addc_u32 s93, 0, s95
	s_add_u32 s1, s1, s69
	s_cselect_b32 s69, -1, 0
	s_mul_hi_u32 s95, s33, s1
	s_cmp_lg_u32 s69, 0
	s_mul_i32 s69, s33, s1
	s_addc_u32 s0, s0, s93
	s_mul_i32 s68, s68, s1
	s_mul_i32 s33, s33, s0
	s_mul_hi_u32 s93, s1, s69
	s_add_i32 s33, s95, s33
	s_mul_hi_u32 s95, s0, s69
	s_add_i32 s33, s33, s68
	s_mul_i32 s68, s0, s69
	s_mul_i32 s98, s1, s33
	s_mul_hi_u32 s97, s1, s33
	s_add_u32 s93, s93, s98
	s_addc_u32 s97, 0, s97
	s_mul_hi_u32 s69, s0, s33
	s_add_u32 s68, s93, s68
	s_mul_i32 s33, s0, s33
	s_addc_u32 s68, s97, s95
	s_addc_u32 s69, s69, 0
	s_add_u32 s33, s68, s33
	s_addc_u32 s68, 0, s69
	s_add_u32 s1, s1, s33
	s_cselect_b32 s33, -1, 0
	v_mul_hi_u32 v18, v2, s1
	s_cmp_lg_u32 s33, 0
	s_addc_u32 s33, s0, s68
	v_mad_u64_u32 v[15:16], null, v2, s33, 0
	v_add_co_u32 v18, s0, v18, v15
	v_add_co_ci_u32_e64 v15, null, v17, v19, vcc_lo
	v_add_co_ci_u32_e64 v20, null, 0, v16, s0
	v_xor_b32_e32 v17, v15, v19
	v_mad_u64_u32 v[15:16], null, v17, s1, 0
	v_add_co_u32 v15, vcc_lo, v18, v15
	v_add_co_ci_u32_e32 v18, vcc_lo, v20, v16, vcc_lo
	v_mad_u64_u32 v[15:16], null, v17, s33, 0
	v_add_co_u32 v18, s0, v18, v15
	v_add_co_ci_u32_e32 v15, vcc_lo, 0, v16, vcc_lo
	v_mul_lo_u32 v21, s3, v18
	v_add_co_ci_u32_e64 v20, null, 0, v15, s0
	v_mad_u64_u32 v[15:16], null, s2, v18, 0
	v_mul_lo_u32 v22, s2, v20
	v_sub_co_u32 v2, vcc_lo, v2, v15
	v_add3_u32 v16, v16, v22, v21
	v_cmp_le_u32_e64 s0, s2, v2
	v_sub_co_u32 v2, s1, v2, s2
	v_sub_nc_u32_e32 v15, v17, v16
	v_sub_co_ci_u32_e64 v16, null, v17, v16, vcc_lo
	v_cmp_le_u32_e64 s2, s2, v2
	v_subrev_co_ci_u32_e64 v2, null, s3, v15, vcc_lo
	v_cmp_le_u32_e32 vcc_lo, s3, v16
	v_cndmask_b32_e64 v15, 0, -1, s0
	v_subrev_co_ci_u32_e64 v2, null, 0, v2, s1
	v_cmp_eq_u32_e64 s1, s3, v16
	v_cmp_le_u32_e64 s0, s3, v2
	v_cmp_eq_u32_e64 s3, s3, v2
	v_cndmask_b32_e64 v2, 0, -1, vcc_lo
	v_cndmask_b32_e64 v16, 0, -1, s0
	v_cndmask_b32_e64 v2, v2, v15, s1
	v_cndmask_b32_e64 v15, 0, -1, s2
	v_cmp_ne_u32_e32 vcc_lo, 0, v2
	v_cndmask_b32_e64 v15, v16, v15, s3
	v_add_co_u32 v2, s0, v18, 2
	v_cmp_ne_u32_e64 s1, 0, v15
	v_add_co_u32 v15, s2, v18, 1
	v_add_co_ci_u32_e64 v16, null, 0, v20, s2
	v_cndmask_b32_e64 v2, v15, v2, s1
	v_add_co_ci_u32_e64 v15, null, 0, v20, s0
	v_cndmask_b32_e32 v2, v18, v2, vcc_lo
	v_cndmask_b32_e64 v15, v16, v15, s1
	v_xor_b32_e32 v16, s96, v19
                                        ; implicit-def: $vgpr18
	v_cndmask_b32_e32 v15, v20, v15, vcc_lo
	v_xor_b32_e32 v2, v2, v16
	v_xor_b32_e32 v17, v15, v16
	v_sub_co_u32 v15, vcc_lo, v2, v16
	v_sub_co_ci_u32_e64 v16, null, v17, v16, vcc_lo
.LBB35_52:                              ;   in Loop: Header=BB35_3 Depth=1
	s_andn2_saveexec_b32 s0, s4
	s_cbranch_execz .LBB35_54
; %bb.53:                               ;   in Loop: Header=BB35_3 Depth=1
	v_rcp_iflag_f32_e32 v2, v23
	s_sub_i32 s1, 0, s58
	v_mul_f32_e32 v2, 0x4f7ffffe, v2
	v_cvt_u32_f32_e32 v2, v2
	v_mul_lo_u32 v15, s1, v2
	v_mul_hi_u32 v15, v2, v15
	v_add_nc_u32_e32 v2, v2, v15
	v_mul_hi_u32 v2, v18, v2
	v_mul_lo_u32 v15, v2, s58
	v_add_nc_u32_e32 v16, 1, v2
	v_sub_nc_u32_e32 v15, v18, v15
	v_subrev_nc_u32_e32 v17, s58, v15
	v_cmp_le_u32_e32 vcc_lo, s58, v15
	v_cndmask_b32_e32 v15, v15, v17, vcc_lo
	v_cndmask_b32_e32 v2, v2, v16, vcc_lo
	v_cmp_le_u32_e32 vcc_lo, s58, v15
	v_add_nc_u32_e32 v16, 1, v2
	v_cndmask_b32_e32 v15, v2, v16, vcc_lo
	v_mov_b32_e32 v16, v1
.LBB35_54:                              ;   in Loop: Header=BB35_3 Depth=1
	s_or_b32 exec_lo, exec_lo, s0
	v_mul_lo_u32 v2, v16, s58
	v_mul_lo_u32 v19, v15, s59
	v_mad_u64_u32 v[17:18], null, v15, s58, 0
	v_mul_lo_u32 v20, v16, s28
	s_mov_b32 s0, exec_lo
	v_add3_u32 v2, v18, v19, v2
	v_sub_co_u32 v5, vcc_lo, v5, v17
	v_mul_lo_u32 v19, v15, s29
	v_mad_u64_u32 v[15:16], null, v15, s28, 0
	v_sub_co_ci_u32_e64 v2, null, v6, v2, vcc_lo
	v_add_co_u32 v5, vcc_lo, v3, v5
	v_add_co_ci_u32_e64 v2, null, v4, v2, vcc_lo
	v_add_co_u32 v6, vcc_lo, v13, 3
	v_add_co_ci_u32_e64 v21, null, 0, v14, vcc_lo
	v_mul_lo_u32 v22, v5, s31
	v_mul_lo_u32 v2, v2, s30
	v_mad_u64_u32 v[17:18], null, v5, s30, 0
	v_mul_lo_u32 v24, s9, v6
	v_mul_lo_u32 v21, s8, v21
	v_mad_u64_u32 v[5:6], null, s8, v6, 0
	v_add3_u32 v16, v16, v19, v20
	v_add3_u32 v18, v18, v22, v2
	v_lshlrev_b64 v[19:20], 3, v[15:16]
	v_add3_u32 v6, v6, v21, v24
	v_add_co_u32 v16, vcc_lo, v3, v5
	v_lshlrev_b64 v[17:18], 3, v[17:18]
	v_add_co_ci_u32_e64 v15, null, v4, v6, vcc_lo
	v_add_co_u32 v19, vcc_lo, s56, v19
	v_add_co_ci_u32_e64 v20, null, s57, v20, vcc_lo
	v_or_b32_e32 v2, s59, v15
	v_add_co_u32 v17, vcc_lo, v19, v17
	v_add_co_ci_u32_e64 v18, null, v20, v18, vcc_lo
	global_store_dwordx2 v[17:18], v[9:10], off
                                        ; implicit-def: $vgpr9_vgpr10
	v_cmpx_ne_u64_e32 0, v[1:2]
	s_xor_b32 s4, exec_lo, s0
	s_cbranch_execz .LBB35_56
; %bb.55:                               ;   in Loop: Header=BB35_3 Depth=1
	s_ashr_i32 s96, s59, 31
	v_ashrrev_i32_e32 v17, 31, v15
	s_add_u32 s0, s58, s96
	s_mov_b32 s97, s96
	s_addc_u32 s1, s59, s96
	s_xor_b64 s[2:3], s[0:1], s[96:97]
	v_add_co_u32 v10, vcc_lo, v16, v17
	v_cvt_f32_u32_e32 v2, s2
	v_cvt_f32_u32_e32 v9, s3
	s_sub_u32 s33, 0, s2
	s_subb_u32 s68, 0, s3
	v_fmac_f32_e32 v2, 0x4f800000, v9
	v_rcp_f32_e32 v2, v2
	v_mul_f32_e32 v2, 0x5f7ffffc, v2
	v_mul_f32_e32 v9, 0x2f800000, v2
	v_trunc_f32_e32 v9, v9
	v_fmac_f32_e32 v2, 0xcf800000, v9
	v_cvt_u32_f32_e32 v9, v9
	v_cvt_u32_f32_e32 v2, v2
	v_readfirstlane_b32 s0, v9
	v_readfirstlane_b32 s1, v2
	s_mul_i32 s69, s33, s0
	v_xor_b32_e32 v2, v10, v17
	s_mul_hi_u32 s95, s33, s1
	s_mul_i32 s93, s68, s1
	s_add_i32 s69, s95, s69
	s_mul_i32 s97, s33, s1
	s_add_i32 s69, s69, s93
	s_mul_hi_u32 s95, s1, s97
	s_mul_i32 s99, s1, s69
	s_mul_hi_u32 s98, s0, s97
	s_mul_i32 s93, s0, s97
	s_mul_hi_u32 s97, s1, s69
	s_add_u32 s95, s95, s99
	s_addc_u32 s97, 0, s97
	s_mul_hi_u32 s104, s0, s69
	s_add_u32 s93, s95, s93
	s_mul_i32 s69, s0, s69
	s_addc_u32 s93, s97, s98
	s_addc_u32 s95, s104, 0
	s_add_u32 s69, s93, s69
	s_addc_u32 s93, 0, s95
	s_add_u32 s1, s1, s69
	s_cselect_b32 s69, -1, 0
	s_mul_hi_u32 s95, s33, s1
	s_cmp_lg_u32 s69, 0
	s_mul_i32 s69, s33, s1
	s_addc_u32 s0, s0, s93
	s_mul_i32 s68, s68, s1
	s_mul_i32 s33, s33, s0
	s_mul_hi_u32 s93, s1, s69
	s_add_i32 s33, s95, s33
	s_mul_hi_u32 s95, s0, s69
	s_add_i32 s33, s33, s68
	s_mul_i32 s68, s0, s69
	s_mul_i32 s98, s1, s33
	s_mul_hi_u32 s97, s1, s33
	s_add_u32 s93, s93, s98
	s_addc_u32 s97, 0, s97
	s_mul_hi_u32 s69, s0, s33
	s_add_u32 s68, s93, s68
	s_mul_i32 s33, s0, s33
	s_addc_u32 s68, s97, s95
	s_addc_u32 s69, s69, 0
	s_add_u32 s33, s68, s33
	s_addc_u32 s68, 0, s69
	s_add_u32 s1, s1, s33
	s_cselect_b32 s33, -1, 0
	v_mul_hi_u32 v16, v2, s1
	s_cmp_lg_u32 s33, 0
	s_addc_u32 s33, s0, s68
	v_mad_u64_u32 v[9:10], null, v2, s33, 0
	v_add_co_u32 v16, s0, v16, v9
	v_add_co_ci_u32_e64 v9, null, v15, v17, vcc_lo
	v_add_co_ci_u32_e64 v18, null, 0, v10, s0
	v_xor_b32_e32 v15, v9, v17
	v_mad_u64_u32 v[9:10], null, v15, s1, 0
	v_add_co_u32 v9, vcc_lo, v16, v9
	v_add_co_ci_u32_e32 v16, vcc_lo, v18, v10, vcc_lo
	v_mad_u64_u32 v[9:10], null, v15, s33, 0
	v_add_co_u32 v16, s0, v16, v9
	v_add_co_ci_u32_e32 v9, vcc_lo, 0, v10, vcc_lo
	v_mul_lo_u32 v19, s3, v16
	v_add_co_ci_u32_e64 v18, null, 0, v9, s0
	v_mad_u64_u32 v[9:10], null, s2, v16, 0
	v_mul_lo_u32 v20, s2, v18
	v_sub_co_u32 v2, vcc_lo, v2, v9
	v_add3_u32 v10, v10, v20, v19
	v_cmp_le_u32_e64 s0, s2, v2
	v_sub_co_u32 v2, s1, v2, s2
	v_sub_nc_u32_e32 v9, v15, v10
	v_sub_co_ci_u32_e64 v10, null, v15, v10, vcc_lo
	v_cmp_le_u32_e64 s2, s2, v2
	v_subrev_co_ci_u32_e64 v2, null, s3, v9, vcc_lo
	v_cmp_le_u32_e32 vcc_lo, s3, v10
	v_cndmask_b32_e64 v9, 0, -1, s0
	v_subrev_co_ci_u32_e64 v2, null, 0, v2, s1
	v_cmp_eq_u32_e64 s1, s3, v10
	v_cmp_le_u32_e64 s0, s3, v2
	v_cmp_eq_u32_e64 s3, s3, v2
	v_cndmask_b32_e64 v2, 0, -1, vcc_lo
	v_cndmask_b32_e64 v10, 0, -1, s0
	v_cndmask_b32_e64 v2, v2, v9, s1
	v_cndmask_b32_e64 v9, 0, -1, s2
	v_cmp_ne_u32_e32 vcc_lo, 0, v2
	v_cndmask_b32_e64 v9, v10, v9, s3
	v_add_co_u32 v2, s0, v16, 2
	v_cmp_ne_u32_e64 s1, 0, v9
	v_add_co_u32 v9, s2, v16, 1
	v_add_co_ci_u32_e64 v10, null, 0, v18, s2
	v_cndmask_b32_e64 v2, v9, v2, s1
	v_add_co_ci_u32_e64 v9, null, 0, v18, s0
	v_cndmask_b32_e32 v2, v16, v2, vcc_lo
	v_cndmask_b32_e64 v9, v10, v9, s1
	v_xor_b32_e32 v10, s96, v17
                                        ; implicit-def: $vgpr16
	v_cndmask_b32_e32 v9, v18, v9, vcc_lo
	v_xor_b32_e32 v2, v2, v10
	v_xor_b32_e32 v15, v9, v10
	v_sub_co_u32 v9, vcc_lo, v2, v10
	v_sub_co_ci_u32_e64 v10, null, v15, v10, vcc_lo
.LBB35_56:                              ;   in Loop: Header=BB35_3 Depth=1
	s_andn2_saveexec_b32 s0, s4
	s_cbranch_execz .LBB35_58
; %bb.57:                               ;   in Loop: Header=BB35_3 Depth=1
	v_rcp_iflag_f32_e32 v2, v23
	s_sub_i32 s1, 0, s58
	v_mul_f32_e32 v2, 0x4f7ffffe, v2
	v_cvt_u32_f32_e32 v2, v2
	v_mul_lo_u32 v9, s1, v2
	v_mul_hi_u32 v9, v2, v9
	v_add_nc_u32_e32 v2, v2, v9
	v_mul_hi_u32 v2, v16, v2
	v_mul_lo_u32 v9, v2, s58
	v_add_nc_u32_e32 v10, 1, v2
	v_sub_nc_u32_e32 v9, v16, v9
	v_subrev_nc_u32_e32 v15, s58, v9
	v_cmp_le_u32_e32 vcc_lo, s58, v9
	v_cndmask_b32_e32 v9, v9, v15, vcc_lo
	v_cndmask_b32_e32 v2, v2, v10, vcc_lo
	v_cmp_le_u32_e32 vcc_lo, s58, v9
	v_add_nc_u32_e32 v10, 1, v2
	v_cndmask_b32_e32 v9, v2, v10, vcc_lo
	v_mov_b32_e32 v10, v1
.LBB35_58:                              ;   in Loop: Header=BB35_3 Depth=1
	s_or_b32 exec_lo, exec_lo, s0
	v_mul_lo_u32 v2, v10, s58
	v_mul_lo_u32 v17, v9, s59
	v_mad_u64_u32 v[15:16], null, v9, s58, 0
	v_mul_lo_u32 v18, v10, s28
	s_mov_b32 s0, exec_lo
	v_add3_u32 v2, v16, v17, v2
	v_sub_co_u32 v5, vcc_lo, v5, v15
	v_mul_lo_u32 v16, v9, s29
	v_mad_u64_u32 v[9:10], null, v9, s28, 0
	v_sub_co_ci_u32_e64 v2, null, v6, v2, vcc_lo
	v_add_co_u32 v5, vcc_lo, v3, v5
	v_add_co_ci_u32_e64 v2, null, v4, v2, vcc_lo
	v_add_co_u32 v6, vcc_lo, v13, 4
	v_add_co_ci_u32_e64 v15, null, 0, v14, vcc_lo
	v_mul_lo_u32 v17, v5, s31
	v_mul_lo_u32 v2, v2, s30
	v_mad_u64_u32 v[13:14], null, v5, s30, 0
	v_mul_lo_u32 v19, s9, v6
	v_mul_lo_u32 v15, s8, v15
	v_mad_u64_u32 v[5:6], null, s8, v6, 0
	v_add3_u32 v10, v10, v16, v18
	v_add3_u32 v14, v14, v17, v2
	v_lshlrev_b64 v[9:10], 3, v[9:10]
	v_add3_u32 v6, v6, v15, v19
	v_lshlrev_b64 v[15:16], 3, v[13:14]
	v_add_co_u32 v14, vcc_lo, v3, v5
	v_add_co_ci_u32_e64 v13, null, v4, v6, vcc_lo
	v_add_co_u32 v9, vcc_lo, s56, v9
	v_add_co_ci_u32_e64 v10, null, s57, v10, vcc_lo
	v_or_b32_e32 v2, s59, v13
	v_add_co_u32 v9, vcc_lo, v9, v15
	v_add_co_ci_u32_e64 v10, null, v10, v16, vcc_lo
	global_store_dwordx2 v[9:10], v[11:12], off
                                        ; implicit-def: $vgpr9_vgpr10
	v_cmpx_ne_u64_e32 0, v[1:2]
	s_xor_b32 s4, exec_lo, s0
	s_cbranch_execz .LBB35_60
; %bb.59:                               ;   in Loop: Header=BB35_3 Depth=1
	s_ashr_i32 s96, s59, 31
	v_ashrrev_i32_e32 v11, 31, v13
	s_add_u32 s0, s58, s96
	s_mov_b32 s97, s96
	s_addc_u32 s1, s59, s96
                                        ; implicit-def: $vgpr23
	s_xor_b64 s[2:3], s[0:1], s[96:97]
	v_add_co_u32 v10, vcc_lo, v14, v11
	v_cvt_f32_u32_e32 v2, s2
	v_cvt_f32_u32_e32 v9, s3
	s_sub_u32 s33, 0, s2
	s_subb_u32 s68, 0, s3
	v_fmac_f32_e32 v2, 0x4f800000, v9
	v_rcp_f32_e32 v2, v2
	v_mul_f32_e32 v2, 0x5f7ffffc, v2
	v_mul_f32_e32 v9, 0x2f800000, v2
	v_trunc_f32_e32 v9, v9
	v_fmac_f32_e32 v2, 0xcf800000, v9
	v_cvt_u32_f32_e32 v9, v9
	v_cvt_u32_f32_e32 v2, v2
	v_readfirstlane_b32 s0, v9
	v_readfirstlane_b32 s1, v2
	s_mul_i32 s69, s33, s0
	v_xor_b32_e32 v2, v10, v11
	s_mul_hi_u32 s95, s33, s1
	s_mul_i32 s93, s68, s1
	s_add_i32 s69, s95, s69
	s_mul_i32 s97, s33, s1
	s_add_i32 s69, s69, s93
	s_mul_hi_u32 s95, s1, s97
	s_mul_i32 s99, s1, s69
	s_mul_hi_u32 s98, s0, s97
	s_mul_i32 s93, s0, s97
	s_mul_hi_u32 s97, s1, s69
	s_add_u32 s95, s95, s99
	s_addc_u32 s97, 0, s97
	s_mul_hi_u32 s104, s0, s69
	s_add_u32 s93, s95, s93
	s_mul_i32 s69, s0, s69
	s_addc_u32 s93, s97, s98
	s_addc_u32 s95, s104, 0
	s_add_u32 s69, s93, s69
	s_addc_u32 s93, 0, s95
	s_add_u32 s1, s1, s69
	s_cselect_b32 s69, -1, 0
	s_mul_hi_u32 s95, s33, s1
	s_cmp_lg_u32 s69, 0
	s_mul_i32 s69, s33, s1
	s_addc_u32 s0, s0, s93
	s_mul_i32 s68, s68, s1
	s_mul_i32 s33, s33, s0
	s_mul_hi_u32 s93, s1, s69
	s_add_i32 s33, s95, s33
	s_mul_hi_u32 s95, s0, s69
	s_add_i32 s33, s33, s68
	s_mul_i32 s68, s0, s69
	s_mul_i32 s98, s1, s33
	s_mul_hi_u32 s97, s1, s33
	s_add_u32 s93, s93, s98
	s_addc_u32 s97, 0, s97
	s_mul_hi_u32 s69, s0, s33
	s_add_u32 s68, s93, s68
	s_mul_i32 s33, s0, s33
	s_addc_u32 s68, s97, s95
	s_addc_u32 s69, s69, 0
	s_add_u32 s33, s68, s33
	s_addc_u32 s68, 0, s69
	s_add_u32 s1, s1, s33
	s_cselect_b32 s33, -1, 0
	v_mul_hi_u32 v12, v2, s1
	s_cmp_lg_u32 s33, 0
	s_addc_u32 s33, s0, s68
	v_mad_u64_u32 v[9:10], null, v2, s33, 0
	v_add_co_u32 v12, s0, v12, v9
	v_add_co_ci_u32_e64 v9, null, v13, v11, vcc_lo
	v_add_co_ci_u32_e64 v14, null, 0, v10, s0
	v_xor_b32_e32 v13, v9, v11
	v_mad_u64_u32 v[9:10], null, v13, s1, 0
	v_add_co_u32 v9, vcc_lo, v12, v9
	v_add_co_ci_u32_e32 v12, vcc_lo, v14, v10, vcc_lo
	v_mad_u64_u32 v[9:10], null, v13, s33, 0
	v_add_co_u32 v12, s0, v12, v9
	v_add_co_ci_u32_e32 v9, vcc_lo, 0, v10, vcc_lo
	v_mul_lo_u32 v15, s3, v12
	v_add_co_ci_u32_e64 v14, null, 0, v9, s0
	v_mad_u64_u32 v[9:10], null, s2, v12, 0
	v_mul_lo_u32 v16, s2, v14
	v_sub_co_u32 v2, vcc_lo, v2, v9
	v_add3_u32 v10, v10, v16, v15
	v_cmp_le_u32_e64 s0, s2, v2
	v_sub_co_u32 v2, s1, v2, s2
	v_sub_nc_u32_e32 v9, v13, v10
	v_sub_co_ci_u32_e64 v10, null, v13, v10, vcc_lo
	v_cmp_le_u32_e64 s2, s2, v2
	v_subrev_co_ci_u32_e64 v2, null, s3, v9, vcc_lo
	v_cmp_le_u32_e32 vcc_lo, s3, v10
	v_cndmask_b32_e64 v9, 0, -1, s0
	v_subrev_co_ci_u32_e64 v2, null, 0, v2, s1
	v_cmp_eq_u32_e64 s1, s3, v10
	v_cmp_le_u32_e64 s0, s3, v2
	v_cmp_eq_u32_e64 s3, s3, v2
	v_cndmask_b32_e64 v2, 0, -1, vcc_lo
	v_cndmask_b32_e64 v10, 0, -1, s0
	v_cndmask_b32_e64 v2, v2, v9, s1
	v_cndmask_b32_e64 v9, 0, -1, s2
	v_cmp_ne_u32_e32 vcc_lo, 0, v2
	v_cndmask_b32_e64 v9, v10, v9, s3
	v_add_co_u32 v2, s0, v12, 2
	v_cmp_ne_u32_e64 s1, 0, v9
	v_add_co_u32 v9, s2, v12, 1
	v_add_co_ci_u32_e64 v10, null, 0, v14, s2
	v_cndmask_b32_e64 v2, v9, v2, s1
	v_add_co_ci_u32_e64 v9, null, 0, v14, s0
	v_cndmask_b32_e32 v2, v12, v2, vcc_lo
	v_cndmask_b32_e64 v9, v10, v9, s1
	v_xor_b32_e32 v10, s96, v11
	v_cndmask_b32_e32 v9, v14, v9, vcc_lo
	v_xor_b32_e32 v2, v2, v10
                                        ; implicit-def: $vgpr14
	v_xor_b32_e32 v11, v9, v10
	v_sub_co_u32 v9, vcc_lo, v2, v10
	v_sub_co_ci_u32_e64 v10, null, v11, v10, vcc_lo
.LBB35_60:                              ;   in Loop: Header=BB35_3 Depth=1
	s_andn2_saveexec_b32 s0, s4
	s_cbranch_execz .LBB35_2
; %bb.61:                               ;   in Loop: Header=BB35_3 Depth=1
	v_rcp_iflag_f32_e32 v2, v23
	s_sub_i32 s1, 0, s58
	v_mul_f32_e32 v2, 0x4f7ffffe, v2
	v_cvt_u32_f32_e32 v2, v2
	v_mul_lo_u32 v9, s1, v2
	v_mul_hi_u32 v9, v2, v9
	v_add_nc_u32_e32 v2, v2, v9
	v_mul_hi_u32 v2, v14, v2
	v_mul_lo_u32 v9, v2, s58
	v_add_nc_u32_e32 v10, 1, v2
	v_sub_nc_u32_e32 v9, v14, v9
	v_subrev_nc_u32_e32 v11, s58, v9
	v_cmp_le_u32_e32 vcc_lo, s58, v9
	v_cndmask_b32_e32 v9, v9, v11, vcc_lo
	v_cndmask_b32_e32 v2, v2, v10, vcc_lo
	v_cmp_le_u32_e32 vcc_lo, s58, v9
	v_add_nc_u32_e32 v10, 1, v2
	v_cndmask_b32_e32 v9, v2, v10, vcc_lo
	v_mov_b32_e32 v10, v1
	s_branch .LBB35_2
.LBB35_62:
	s_endpgm
	.section	.rodata,"a",@progbits
	.p2align	6, 0x0
	.amdhsa_kernel _ZN2at6native12_GLOBAL__N_16kernel16gru_cell_forwardIddlLi2EEEvNS_4cuda6detail10TensorInfoIT_T1_EES9_S9_S9_S9_S9_S9_S8_S8_
		.amdhsa_group_segment_fixed_size 0
		.amdhsa_private_segment_fixed_size 0
		.amdhsa_kernarg_size 3184
		.amdhsa_user_sgpr_count 6
		.amdhsa_user_sgpr_private_segment_buffer 1
		.amdhsa_user_sgpr_dispatch_ptr 0
		.amdhsa_user_sgpr_queue_ptr 0
		.amdhsa_user_sgpr_kernarg_segment_ptr 1
		.amdhsa_user_sgpr_dispatch_id 0
		.amdhsa_user_sgpr_flat_scratch_init 0
		.amdhsa_user_sgpr_private_segment_size 0
		.amdhsa_wavefront_size32 1
		.amdhsa_uses_dynamic_stack 0
		.amdhsa_system_sgpr_private_segment_wavefront_offset 0
		.amdhsa_system_sgpr_workgroup_id_x 1
		.amdhsa_system_sgpr_workgroup_id_y 0
		.amdhsa_system_sgpr_workgroup_id_z 0
		.amdhsa_system_sgpr_workgroup_info 0
		.amdhsa_system_vgpr_workitem_id 0
		.amdhsa_next_free_vgpr 48
		.amdhsa_next_free_sgpr 105
		.amdhsa_reserve_vcc 1
		.amdhsa_reserve_flat_scratch 0
		.amdhsa_float_round_mode_32 0
		.amdhsa_float_round_mode_16_64 0
		.amdhsa_float_denorm_mode_32 3
		.amdhsa_float_denorm_mode_16_64 3
		.amdhsa_dx10_clamp 1
		.amdhsa_ieee_mode 1
		.amdhsa_fp16_overflow 0
		.amdhsa_workgroup_processor_mode 1
		.amdhsa_memory_ordered 1
		.amdhsa_forward_progress 1
		.amdhsa_shared_vgpr_count 0
		.amdhsa_exception_fp_ieee_invalid_op 0
		.amdhsa_exception_fp_denorm_src 0
		.amdhsa_exception_fp_ieee_div_zero 0
		.amdhsa_exception_fp_ieee_overflow 0
		.amdhsa_exception_fp_ieee_underflow 0
		.amdhsa_exception_fp_ieee_inexact 0
		.amdhsa_exception_int_div_zero 0
	.end_amdhsa_kernel
	.section	.text._ZN2at6native12_GLOBAL__N_16kernel16gru_cell_forwardIddlLi2EEEvNS_4cuda6detail10TensorInfoIT_T1_EES9_S9_S9_S9_S9_S9_S8_S8_,"axG",@progbits,_ZN2at6native12_GLOBAL__N_16kernel16gru_cell_forwardIddlLi2EEEvNS_4cuda6detail10TensorInfoIT_T1_EES9_S9_S9_S9_S9_S9_S8_S8_,comdat
.Lfunc_end35:
	.size	_ZN2at6native12_GLOBAL__N_16kernel16gru_cell_forwardIddlLi2EEEvNS_4cuda6detail10TensorInfoIT_T1_EES9_S9_S9_S9_S9_S9_S8_S8_, .Lfunc_end35-_ZN2at6native12_GLOBAL__N_16kernel16gru_cell_forwardIddlLi2EEEvNS_4cuda6detail10TensorInfoIT_T1_EES9_S9_S9_S9_S9_S9_S8_S8_
                                        ; -- End function
	.set _ZN2at6native12_GLOBAL__N_16kernel16gru_cell_forwardIddlLi2EEEvNS_4cuda6detail10TensorInfoIT_T1_EES9_S9_S9_S9_S9_S9_S8_S8_.num_vgpr, 48
	.set _ZN2at6native12_GLOBAL__N_16kernel16gru_cell_forwardIddlLi2EEEvNS_4cuda6detail10TensorInfoIT_T1_EES9_S9_S9_S9_S9_S9_S8_S8_.num_agpr, 0
	.set _ZN2at6native12_GLOBAL__N_16kernel16gru_cell_forwardIddlLi2EEEvNS_4cuda6detail10TensorInfoIT_T1_EES9_S9_S9_S9_S9_S9_S8_S8_.numbered_sgpr, 105
	.set _ZN2at6native12_GLOBAL__N_16kernel16gru_cell_forwardIddlLi2EEEvNS_4cuda6detail10TensorInfoIT_T1_EES9_S9_S9_S9_S9_S9_S8_S8_.num_named_barrier, 0
	.set _ZN2at6native12_GLOBAL__N_16kernel16gru_cell_forwardIddlLi2EEEvNS_4cuda6detail10TensorInfoIT_T1_EES9_S9_S9_S9_S9_S9_S8_S8_.private_seg_size, 0
	.set _ZN2at6native12_GLOBAL__N_16kernel16gru_cell_forwardIddlLi2EEEvNS_4cuda6detail10TensorInfoIT_T1_EES9_S9_S9_S9_S9_S9_S8_S8_.uses_vcc, 1
	.set _ZN2at6native12_GLOBAL__N_16kernel16gru_cell_forwardIddlLi2EEEvNS_4cuda6detail10TensorInfoIT_T1_EES9_S9_S9_S9_S9_S9_S8_S8_.uses_flat_scratch, 0
	.set _ZN2at6native12_GLOBAL__N_16kernel16gru_cell_forwardIddlLi2EEEvNS_4cuda6detail10TensorInfoIT_T1_EES9_S9_S9_S9_S9_S9_S8_S8_.has_dyn_sized_stack, 0
	.set _ZN2at6native12_GLOBAL__N_16kernel16gru_cell_forwardIddlLi2EEEvNS_4cuda6detail10TensorInfoIT_T1_EES9_S9_S9_S9_S9_S9_S8_S8_.has_recursion, 0
	.set _ZN2at6native12_GLOBAL__N_16kernel16gru_cell_forwardIddlLi2EEEvNS_4cuda6detail10TensorInfoIT_T1_EES9_S9_S9_S9_S9_S9_S8_S8_.has_indirect_call, 0
	.section	.AMDGPU.csdata,"",@progbits
; Kernel info:
; codeLenInByte = 16840
; TotalNumSgprs: 107
; NumVgprs: 48
; ScratchSize: 0
; MemoryBound: 0
; FloatMode: 240
; IeeeMode: 1
; LDSByteSize: 0 bytes/workgroup (compile time only)
; SGPRBlocks: 0
; VGPRBlocks: 5
; NumSGPRsForWavesPerEU: 107
; NumVGPRsForWavesPerEU: 48
; Occupancy: 16
; WaveLimiterHint : 1
; COMPUTE_PGM_RSRC2:SCRATCH_EN: 0
; COMPUTE_PGM_RSRC2:USER_SGPR: 6
; COMPUTE_PGM_RSRC2:TRAP_HANDLER: 0
; COMPUTE_PGM_RSRC2:TGID_X_EN: 1
; COMPUTE_PGM_RSRC2:TGID_Y_EN: 0
; COMPUTE_PGM_RSRC2:TGID_Z_EN: 0
; COMPUTE_PGM_RSRC2:TIDIG_COMP_CNT: 0
	.section	.text._ZN2at6native12_GLOBAL__N_16kernel16gru_cell_forwardIffiLi1EEEvNS_4cuda6detail10TensorInfoIT_T1_EES9_S9_S9_S9_S9_S9_S8_S8_,"axG",@progbits,_ZN2at6native12_GLOBAL__N_16kernel16gru_cell_forwardIffiLi1EEEvNS_4cuda6detail10TensorInfoIT_T1_EES9_S9_S9_S9_S9_S9_S8_S8_,comdat
	.globl	_ZN2at6native12_GLOBAL__N_16kernel16gru_cell_forwardIffiLi1EEEvNS_4cuda6detail10TensorInfoIT_T1_EES9_S9_S9_S9_S9_S9_S8_S8_ ; -- Begin function _ZN2at6native12_GLOBAL__N_16kernel16gru_cell_forwardIffiLi1EEEvNS_4cuda6detail10TensorInfoIT_T1_EES9_S9_S9_S9_S9_S9_S8_S8_
	.p2align	8
	.type	_ZN2at6native12_GLOBAL__N_16kernel16gru_cell_forwardIffiLi1EEEvNS_4cuda6detail10TensorInfoIT_T1_EES9_S9_S9_S9_S9_S9_S8_S8_,@function
_ZN2at6native12_GLOBAL__N_16kernel16gru_cell_forwardIffiLi1EEEvNS_4cuda6detail10TensorInfoIT_T1_EES9_S9_S9_S9_S9_S9_S8_S8_: ; @_ZN2at6native12_GLOBAL__N_16kernel16gru_cell_forwardIffiLi1EEEvNS_4cuda6detail10TensorInfoIT_T1_EES9_S9_S9_S9_S9_S9_S8_S8_
; %bb.0:
	s_clause 0x1
	s_load_dword s7, s[4:5], 0x5fc
	s_load_dwordx2 s[2:3], s[4:5], 0x5e8
	s_add_u32 s0, s4, 0x5f0
	s_addc_u32 s1, s5, 0
	s_waitcnt lgkmcnt(0)
	s_and_b32 s25, s7, 0xffff
	v_mad_u64_u32 v[0:1], null, s6, s25, v[0:1]
	s_mov_b32 s6, exec_lo
	v_cmpx_gt_i32_e64 s3, v0
	s_cbranch_execz .LBB36_9
; %bb.1:
	s_clause 0x3
	s_load_dwordx2 s[6:7], s[4:5], 0x1b0
	s_load_dword s20, s[4:5], 0x21c
	s_load_dwordx2 s[8:9], s[4:5], 0x288
	s_load_dword s21, s[4:5], 0x2f4
	s_load_dword s0, s[0:1], 0x0
	s_clause 0x7
	s_load_dword s30, s[4:5], 0x3cc
	s_load_dword s31, s[4:5], 0x4a4
	s_load_dwordx2 s[10:11], s[4:5], 0x360
	s_load_dwordx2 s[12:13], s[4:5], 0x438
	;; [unrolled: 1-line block ×3, first 2 shown]
	s_load_dword s1, s[4:5], 0x6c
	s_load_dwordx2 s[16:17], s[4:5], 0xd8
	s_load_dword s24, s[4:5], 0x144
	s_mov_b32 s33, 0xbbbac73d
	s_waitcnt lgkmcnt(0)
	s_cmp_lg_u64 s[6:7], 0
	s_cselect_b32 s22, -1, 0
	s_abs_i32 s23, s2
	v_mul_lo_u32 v3, v0, s31
	v_cvt_f32_u32_e32 v1, s23
	s_sub_i32 s18, 0, s23
	s_mul_i32 s25, s0, s25
	s_ashr_i32 s26, s2, 31
	s_lshl_b32 s27, s2, 1
	v_rcp_iflag_f32_e32 v1, v1
	s_lshl_b32 s28, s2, 2
	s_sub_i32 s29, 0, s2
	s_mul_i32 s31, s25, s31
	v_mul_f32_e32 v1, 0x4f7ffffe, v1
	v_cvt_u32_f32_e32 v2, v1
	v_mul_lo_u32 v1, s18, v2
	s_clause 0x1
	s_load_dwordx2 s[18:19], s[4:5], 0x510
	s_load_dword s4, s[4:5], 0x57c
	s_mov_b32 s5, 0
	v_mul_hi_u32 v4, v2, v1
	v_mul_lo_u32 v1, v0, s30
	s_mul_i32 s30, s25, s30
	v_add_nc_u32_e32 v5, v2, v4
	s_branch .LBB36_3
.LBB36_2:                               ;   in Loop: Header=BB36_3 Depth=1
	s_or_b32 exec_lo, exec_lo, s0
	v_add_f32_e32 v10, v10, v11
	v_bfi_b32 v20, 0x7fffffff, v12, v13
	v_lshlrev_b32_e32 v13, 2, v6
	v_add_f32_e32 v10, v10, v14
	v_sub_f32_e32 v21, v2, v20
	v_add_f32_e32 v14, v10, v15
	v_mul_f32_e32 v10, 0xbfb8aa3b, v14
	v_cmp_nlt_f32_e32 vcc_lo, 0x42ce8ed0, v14
	v_fma_f32 v11, 0xbfb8aa3b, v14, -v10
	v_rndne_f32_e32 v15, v10
	v_fmac_f32_e32 v11, 0xb2a5705f, v14
	v_sub_f32_e32 v10, v10, v15
	v_cvt_i32_f32_e32 v15, v15
	v_add_f32_e32 v10, v10, v11
	v_exp_f32_e32 v16, v10
	v_mad_u64_u32 v[10:11], null, s28, v4, v[0:1]
	v_ashrrev_i32_e32 v4, 31, v3
	v_lshlrev_b32_e32 v11, 2, v7
	v_add_nc_u32_e32 v1, s30, v1
	v_lshlrev_b64 v[6:7], 2, v[3:4]
	v_sub_nc_u32_e32 v11, v11, v13
	v_ldexp_f32 v12, v16, v15
	s_waitcnt lgkmcnt(0)
	v_mul_lo_u32 v10, v10, s4
	v_add_nc_u32_e32 v3, s31, v3
	v_or_b32_e32 v15, 3, v11
	v_cndmask_b32_e32 v4, 0, v12, vcc_lo
	v_cmp_ngt_f32_e32 vcc_lo, 0xc2b17218, v14
	v_or_b32_e32 v12, 1, v11
	v_or_b32_e32 v14, 2, v11
	v_add_nc_u32_e32 v11, 4, v11
	v_cndmask_b32_e32 v4, 0x7f800000, v4, vcc_lo
	v_mad_u64_u32 v[12:13], null, s2, v12, v[0:1]
	v_mad_u64_u32 v[13:14], null, s2, v14, v[0:1]
	v_add_f32_e32 v4, 1.0, v4
	v_mad_u64_u32 v[14:15], null, s2, v15, v[0:1]
	v_mad_u64_u32 v[15:16], null, s2, v11, v[0:1]
	v_div_scale_f32 v22, null, v4, v4, 1.0
	v_div_scale_f32 v24, s0, 1.0, v4, 1.0
	v_mul_lo_u32 v12, v12, s4
	v_rcp_f32_e32 v23, v22
	v_ashrrev_i32_e32 v11, 31, v10
	v_add_nc_u32_e32 v0, s25, v0
	v_add_co_u32 v6, vcc_lo, s12, v6
	v_add_co_ci_u32_e64 v7, null, s13, v7, vcc_lo
	v_lshlrev_b64 v[10:11], 2, v[10:11]
	v_cmp_le_i32_e32 vcc_lo, s3, v0
	v_mul_lo_u32 v14, v14, s4
	v_fma_f32 v16, -v22, v23, 1.0
	v_mul_lo_u32 v18, v15, s4
	s_or_b32 s5, vcc_lo, s5
	v_add_co_u32 v10, vcc_lo, s18, v10
	v_fmac_f32_e32 v23, v16, v23
	v_mul_lo_u32 v16, v13, s4
	v_ashrrev_i32_e32 v13, 31, v12
	v_add_co_ci_u32_e64 v11, null, s19, v11, vcc_lo
	v_mul_f32_e32 v25, v24, v23
	v_ashrrev_i32_e32 v15, 31, v14
	v_lshlrev_b64 v[12:13], 2, v[12:13]
	v_ashrrev_i32_e32 v19, 31, v18
	v_ashrrev_i32_e32 v17, 31, v16
	v_fma_f32 v26, -v22, v25, v24
	v_lshlrev_b64 v[14:15], 2, v[14:15]
	v_add_co_u32 v12, vcc_lo, s18, v12
	v_fmac_f32_e32 v25, v26, v23
	v_add_co_ci_u32_e64 v13, null, s19, v13, vcc_lo
	s_mov_b32 vcc_lo, s0
	v_lshlrev_b64 v[16:17], 2, v[16:17]
	v_fma_f32 v22, -v22, v25, v24
	v_lshlrev_b64 v[18:19], 2, v[18:19]
	v_div_fmas_f32 v22, v22, v23, v25
	v_add_co_u32 v16, vcc_lo, s18, v16
	v_add_co_ci_u32_e64 v17, null, s19, v17, vcc_lo
	v_div_fixup_f32 v4, v22, v4, 1.0
	v_add_co_u32 v14, vcc_lo, s18, v14
	v_add_co_ci_u32_e64 v15, null, s19, v15, vcc_lo
	v_fma_f32 v21, v4, v21, v20
	v_add_co_u32 v18, vcc_lo, s18, v18
	v_add_co_ci_u32_e64 v19, null, s19, v19, vcc_lo
	global_store_dword v[6:7], v21, off
	global_store_dword v[10:11], v9, off
	;; [unrolled: 1-line block ×6, first 2 shown]
	s_andn2_b32 exec_lo, exec_lo, s5
	s_cbranch_execz .LBB36_9
.LBB36_3:                               ; =>This Inner Loop Header: Depth=1
	v_sub_nc_u32_e32 v2, 0, v0
	v_max_i32_e32 v2, v0, v2
	v_mul_hi_u32 v4, v2, v5
	v_mul_lo_u32 v6, v4, s23
	v_sub_nc_u32_e32 v2, v2, v6
	v_add_nc_u32_e32 v6, 1, v4
	v_subrev_nc_u32_e32 v7, s23, v2
	v_cmp_le_u32_e32 vcc_lo, s23, v2
	v_cndmask_b32_e32 v4, v4, v6, vcc_lo
	v_cndmask_b32_e32 v2, v2, v7, vcc_lo
	v_ashrrev_i32_e32 v6, 31, v0
	v_add_nc_u32_e32 v7, 1, v4
	v_cmp_le_u32_e32 vcc_lo, s23, v2
	v_xor_b32_e32 v6, s26, v6
	v_cndmask_b32_e32 v2, v4, v7, vcc_lo
	v_xor_b32_e32 v7, v2, v6
	v_lshlrev_b32_e32 v2, 1, v6
	v_sub_nc_u32_e32 v4, v7, v6
	v_lshlrev_b32_e32 v10, 1, v7
	v_mad_u64_u32 v[8:9], null, s27, v4, v[0:1]
	v_sub_nc_u32_e32 v9, v10, v2
	v_ashrrev_i32_e32 v2, 31, v1
	v_or_b32_e32 v10, 1, v9
	v_add_nc_u32_e32 v12, 2, v9
	v_mul_lo_u32 v9, v8, s1
	v_mul_lo_u32 v11, v8, s24
	v_mad_u64_u32 v[13:14], null, s2, v10, v[0:1]
	v_mad_u64_u32 v[14:15], null, s2, v12, v[0:1]
	v_lshlrev_b64 v[15:16], 2, v[1:2]
	v_ashrrev_i32_e32 v10, 31, v9
	v_ashrrev_i32_e32 v12, 31, v11
	v_mul_lo_u32 v8, v13, s1
	v_mul_lo_u32 v13, v13, s24
	;; [unrolled: 1-line block ×3, first 2 shown]
	v_lshlrev_b64 v[21:22], 2, v[9:10]
	v_mul_lo_u32 v19, v14, s24
	v_lshlrev_b64 v[10:11], 2, v[11:12]
	v_add_co_u32 v15, vcc_lo, s10, v15
	v_ashrrev_i32_e32 v9, 31, v8
	v_add_co_ci_u32_e64 v16, null, s11, v16, vcc_lo
	v_ashrrev_i32_e32 v18, 31, v17
	v_add_co_u32 v21, vcc_lo, s14, v21
	v_ashrrev_i32_e32 v14, 31, v13
	v_add_co_ci_u32_e64 v22, null, s15, v22, vcc_lo
	v_lshlrev_b64 v[8:9], 2, v[8:9]
	v_add_co_u32 v23, vcc_lo, s16, v10
	v_ashrrev_i32_e32 v20, 31, v19
	v_add_co_ci_u32_e64 v24, null, s17, v11, vcc_lo
	v_lshlrev_b64 v[10:11], 2, v[17:18]
	v_lshlrev_b64 v[12:13], 2, v[13:14]
	;; [unrolled: 1-line block ×3, first 2 shown]
	v_add_co_u32 v19, vcc_lo, s14, v8
	v_add_co_ci_u32_e64 v20, null, s15, v9, vcc_lo
	v_add_co_u32 v25, vcc_lo, s14, v10
	v_add_co_ci_u32_e64 v26, null, s15, v11, vcc_lo
	;; [unrolled: 2-line block ×4, first 2 shown]
	s_clause 0x2
	global_load_dword v9, v[21:22], off
	global_load_dword v10, v[19:20], off
	;; [unrolled: 1-line block ×3, first 2 shown]
	s_clause 0x2
	global_load_dword v13, v[23:24], off
	global_load_dword v11, v[11:12], off
	;; [unrolled: 1-line block ×4, first 2 shown]
	v_mov_b32_e32 v14, 0
	v_mov_b32_e32 v16, 0
	;; [unrolled: 1-line block ×6, first 2 shown]
	s_andn2_b32 vcc_lo, exec_lo, s22
	s_cbranch_vccnz .LBB36_5
; %bb.4:                                ;   in Loop: Header=BB36_3 Depth=1
	v_sub_nc_u32_e32 v16, v6, v7
	v_mad_u64_u32 v[14:15], null, s29, v4, v[0:1]
	v_mul_lo_u32 v18, s2, v16
	v_add_nc_u32_e32 v16, 2, v16
	v_mul_lo_u32 v15, v14, s20
	v_mul_lo_u32 v17, v14, s21
	v_mad_u64_u32 v[19:20], null, s2, v16, v[0:1]
	v_add3_u32 v21, v18, s2, v0
	v_ashrrev_i32_e32 v16, 31, v15
	v_mul_lo_u32 v14, v21, s20
	v_mul_lo_u32 v20, v19, s20
	;; [unrolled: 1-line block ×3, first 2 shown]
	v_ashrrev_i32_e32 v18, 31, v17
	v_lshlrev_b64 v[26:27], 2, v[15:16]
	v_mul_lo_u32 v24, v19, s21
	v_lshlrev_b64 v[16:17], 2, v[17:18]
	v_ashrrev_i32_e32 v15, 31, v14
	v_ashrrev_i32_e32 v21, 31, v20
	v_add_co_u32 v18, vcc_lo, s6, v26
	v_ashrrev_i32_e32 v23, 31, v22
	v_lshlrev_b64 v[14:15], 2, v[14:15]
	v_lshlrev_b64 v[20:21], 2, v[20:21]
	v_add_co_ci_u32_e64 v19, null, s7, v27, vcc_lo
	v_ashrrev_i32_e32 v25, 31, v24
	v_lshlrev_b64 v[22:23], 2, v[22:23]
	v_add_co_u32 v14, vcc_lo, s6, v14
	v_add_co_ci_u32_e64 v15, null, s7, v15, vcc_lo
	v_add_co_u32 v20, vcc_lo, s6, v20
	v_add_co_ci_u32_e64 v21, null, s7, v21, vcc_lo
	;; [unrolled: 2-line block ×3, first 2 shown]
	v_lshlrev_b64 v[16:17], 2, v[24:25]
	v_add_co_u32 v22, vcc_lo, s8, v22
	v_add_co_ci_u32_e64 v23, null, s9, v23, vcc_lo
	v_add_co_u32 v24, vcc_lo, s8, v16
	v_add_co_ci_u32_e64 v25, null, s9, v17, vcc_lo
	s_clause 0x2
	global_load_dword v19, v[18:19], off
	global_load_dword v14, v[14:15], off
	;; [unrolled: 1-line block ×3, first 2 shown]
	s_clause 0x2
	global_load_dword v18, v[26:27], off
	global_load_dword v15, v[22:23], off
	;; [unrolled: 1-line block ×3, first 2 shown]
.LBB36_5:                               ;   in Loop: Header=BB36_3 Depth=1
	s_waitcnt vmcnt(3)
	v_add_f32_e32 v9, v9, v13
	v_add_f32_e32 v9, v9, v19
	s_waitcnt vmcnt(2)
	v_add_f32_e32 v9, v18, v9
	v_mul_f32_e32 v13, 0xbfb8aa3b, v9
	v_cmp_nlt_f32_e32 vcc_lo, 0x42ce8ed0, v9
	v_fma_f32 v18, 0xbfb8aa3b, v9, -v13
	v_rndne_f32_e32 v19, v13
	v_fmac_f32_e32 v18, 0xb2a5705f, v9
	v_sub_f32_e32 v13, v13, v19
	v_add_f32_e32 v13, v13, v18
	v_cvt_i32_f32_e32 v18, v19
	v_exp_f32_e32 v13, v13
	v_ldexp_f32 v13, v13, v18
	v_cndmask_b32_e32 v13, 0, v13, vcc_lo
	v_cmp_ngt_f32_e32 vcc_lo, 0xc2b17218, v9
	v_cndmask_b32_e32 v9, 0x7f800000, v13, vcc_lo
	v_add_f32_e32 v9, 1.0, v9
	v_div_scale_f32 v13, null, v9, v9, 1.0
	v_div_scale_f32 v20, vcc_lo, 1.0, v9, 1.0
	v_rcp_f32_e32 v18, v13
	v_fma_f32 v19, -v13, v18, 1.0
	v_fmac_f32_e32 v18, v19, v18
	v_mul_f32_e32 v19, v20, v18
	v_fma_f32 v21, -v13, v19, v20
	v_fmac_f32_e32 v19, v21, v18
	v_fma_f32 v13, -v13, v19, v20
	v_div_fmas_f32 v18, v13, v18, v19
	v_add_f32_e32 v13, v8, v16
	s_waitcnt vmcnt(0)
	v_add_f32_e32 v8, v12, v17
                                        ; implicit-def: $vgpr12
	v_div_fixup_f32 v9, v18, v9, 1.0
	v_fmac_f32_e32 v13, v8, v9
	v_cmp_ngt_f32_e64 s0, 0x3f200000, |v13|
	s_and_saveexec_b32 s34, s0
	s_xor_b32 s0, exec_lo, s34
	s_cbranch_execz .LBB36_7
; %bb.6:                                ;   in Loop: Header=BB36_3 Depth=1
	v_add_f32_e64 v12, |v13|, |v13|
	v_mul_f32_e32 v16, 0x3fb8aa3b, v12
	v_cmp_ngt_f32_e32 vcc_lo, 0xc2ce8ed0, v12
	v_rndne_f32_e32 v17, v16
	v_fma_f32 v18, 0x3fb8aa3b, v12, -v16
	v_sub_f32_e32 v16, v16, v17
	v_fmac_f32_e32 v18, 0x32a5705f, v12
	v_cvt_i32_f32_e32 v17, v17
	v_add_f32_e32 v16, v16, v18
	v_exp_f32_e32 v16, v16
	v_ldexp_f32 v16, v16, v17
	v_cndmask_b32_e32 v16, 0, v16, vcc_lo
	v_cmp_nlt_f32_e32 vcc_lo, 0x42b17218, v12
	v_cndmask_b32_e32 v12, 0x7f800000, v16, vcc_lo
	v_add_f32_e32 v12, 1.0, v12
	v_rcp_f32_e32 v12, v12
	v_fma_f32 v12, v12, -2.0, 1.0
.LBB36_7:                               ;   in Loop: Header=BB36_3 Depth=1
	s_andn2_saveexec_b32 s0, s0
	s_cbranch_execz .LBB36_2
; %bb.8:                                ;   in Loop: Header=BB36_3 Depth=1
	v_mul_f32_e32 v12, v13, v13
	v_fmaak_f32 v16, s33, v12, 0x3ca908c9
	v_fmaak_f32 v16, v12, v16, 0xbd5c1c4e
	;; [unrolled: 1-line block ×4, first 2 shown]
	v_mul_f32_e64 v16, |v13|, v16
	v_fma_f32 v12, v12, v16, |v13|
	s_branch .LBB36_2
.LBB36_9:
	s_endpgm
	.section	.rodata,"a",@progbits
	.p2align	6, 0x0
	.amdhsa_kernel _ZN2at6native12_GLOBAL__N_16kernel16gru_cell_forwardIffiLi1EEEvNS_4cuda6detail10TensorInfoIT_T1_EES9_S9_S9_S9_S9_S9_S8_S8_
		.amdhsa_group_segment_fixed_size 0
		.amdhsa_private_segment_fixed_size 0
		.amdhsa_kernarg_size 1776
		.amdhsa_user_sgpr_count 6
		.amdhsa_user_sgpr_private_segment_buffer 1
		.amdhsa_user_sgpr_dispatch_ptr 0
		.amdhsa_user_sgpr_queue_ptr 0
		.amdhsa_user_sgpr_kernarg_segment_ptr 1
		.amdhsa_user_sgpr_dispatch_id 0
		.amdhsa_user_sgpr_flat_scratch_init 0
		.amdhsa_user_sgpr_private_segment_size 0
		.amdhsa_wavefront_size32 1
		.amdhsa_uses_dynamic_stack 0
		.amdhsa_system_sgpr_private_segment_wavefront_offset 0
		.amdhsa_system_sgpr_workgroup_id_x 1
		.amdhsa_system_sgpr_workgroup_id_y 0
		.amdhsa_system_sgpr_workgroup_id_z 0
		.amdhsa_system_sgpr_workgroup_info 0
		.amdhsa_system_vgpr_workitem_id 0
		.amdhsa_next_free_vgpr 28
		.amdhsa_next_free_sgpr 35
		.amdhsa_reserve_vcc 1
		.amdhsa_reserve_flat_scratch 0
		.amdhsa_float_round_mode_32 0
		.amdhsa_float_round_mode_16_64 0
		.amdhsa_float_denorm_mode_32 3
		.amdhsa_float_denorm_mode_16_64 3
		.amdhsa_dx10_clamp 1
		.amdhsa_ieee_mode 1
		.amdhsa_fp16_overflow 0
		.amdhsa_workgroup_processor_mode 1
		.amdhsa_memory_ordered 1
		.amdhsa_forward_progress 1
		.amdhsa_shared_vgpr_count 0
		.amdhsa_exception_fp_ieee_invalid_op 0
		.amdhsa_exception_fp_denorm_src 0
		.amdhsa_exception_fp_ieee_div_zero 0
		.amdhsa_exception_fp_ieee_overflow 0
		.amdhsa_exception_fp_ieee_underflow 0
		.amdhsa_exception_fp_ieee_inexact 0
		.amdhsa_exception_int_div_zero 0
	.end_amdhsa_kernel
	.section	.text._ZN2at6native12_GLOBAL__N_16kernel16gru_cell_forwardIffiLi1EEEvNS_4cuda6detail10TensorInfoIT_T1_EES9_S9_S9_S9_S9_S9_S8_S8_,"axG",@progbits,_ZN2at6native12_GLOBAL__N_16kernel16gru_cell_forwardIffiLi1EEEvNS_4cuda6detail10TensorInfoIT_T1_EES9_S9_S9_S9_S9_S9_S8_S8_,comdat
.Lfunc_end36:
	.size	_ZN2at6native12_GLOBAL__N_16kernel16gru_cell_forwardIffiLi1EEEvNS_4cuda6detail10TensorInfoIT_T1_EES9_S9_S9_S9_S9_S9_S8_S8_, .Lfunc_end36-_ZN2at6native12_GLOBAL__N_16kernel16gru_cell_forwardIffiLi1EEEvNS_4cuda6detail10TensorInfoIT_T1_EES9_S9_S9_S9_S9_S9_S8_S8_
                                        ; -- End function
	.set _ZN2at6native12_GLOBAL__N_16kernel16gru_cell_forwardIffiLi1EEEvNS_4cuda6detail10TensorInfoIT_T1_EES9_S9_S9_S9_S9_S9_S8_S8_.num_vgpr, 28
	.set _ZN2at6native12_GLOBAL__N_16kernel16gru_cell_forwardIffiLi1EEEvNS_4cuda6detail10TensorInfoIT_T1_EES9_S9_S9_S9_S9_S9_S8_S8_.num_agpr, 0
	.set _ZN2at6native12_GLOBAL__N_16kernel16gru_cell_forwardIffiLi1EEEvNS_4cuda6detail10TensorInfoIT_T1_EES9_S9_S9_S9_S9_S9_S8_S8_.numbered_sgpr, 35
	.set _ZN2at6native12_GLOBAL__N_16kernel16gru_cell_forwardIffiLi1EEEvNS_4cuda6detail10TensorInfoIT_T1_EES9_S9_S9_S9_S9_S9_S8_S8_.num_named_barrier, 0
	.set _ZN2at6native12_GLOBAL__N_16kernel16gru_cell_forwardIffiLi1EEEvNS_4cuda6detail10TensorInfoIT_T1_EES9_S9_S9_S9_S9_S9_S8_S8_.private_seg_size, 0
	.set _ZN2at6native12_GLOBAL__N_16kernel16gru_cell_forwardIffiLi1EEEvNS_4cuda6detail10TensorInfoIT_T1_EES9_S9_S9_S9_S9_S9_S8_S8_.uses_vcc, 1
	.set _ZN2at6native12_GLOBAL__N_16kernel16gru_cell_forwardIffiLi1EEEvNS_4cuda6detail10TensorInfoIT_T1_EES9_S9_S9_S9_S9_S9_S8_S8_.uses_flat_scratch, 0
	.set _ZN2at6native12_GLOBAL__N_16kernel16gru_cell_forwardIffiLi1EEEvNS_4cuda6detail10TensorInfoIT_T1_EES9_S9_S9_S9_S9_S9_S8_S8_.has_dyn_sized_stack, 0
	.set _ZN2at6native12_GLOBAL__N_16kernel16gru_cell_forwardIffiLi1EEEvNS_4cuda6detail10TensorInfoIT_T1_EES9_S9_S9_S9_S9_S9_S8_S8_.has_recursion, 0
	.set _ZN2at6native12_GLOBAL__N_16kernel16gru_cell_forwardIffiLi1EEEvNS_4cuda6detail10TensorInfoIT_T1_EES9_S9_S9_S9_S9_S9_S8_S8_.has_indirect_call, 0
	.section	.AMDGPU.csdata,"",@progbits
; Kernel info:
; codeLenInByte = 2048
; TotalNumSgprs: 37
; NumVgprs: 28
; ScratchSize: 0
; MemoryBound: 0
; FloatMode: 240
; IeeeMode: 1
; LDSByteSize: 0 bytes/workgroup (compile time only)
; SGPRBlocks: 0
; VGPRBlocks: 3
; NumSGPRsForWavesPerEU: 37
; NumVGPRsForWavesPerEU: 28
; Occupancy: 16
; WaveLimiterHint : 1
; COMPUTE_PGM_RSRC2:SCRATCH_EN: 0
; COMPUTE_PGM_RSRC2:USER_SGPR: 6
; COMPUTE_PGM_RSRC2:TRAP_HANDLER: 0
; COMPUTE_PGM_RSRC2:TGID_X_EN: 1
; COMPUTE_PGM_RSRC2:TGID_Y_EN: 0
; COMPUTE_PGM_RSRC2:TGID_Z_EN: 0
; COMPUTE_PGM_RSRC2:TIDIG_COMP_CNT: 0
	.section	.text._ZN2at6native12_GLOBAL__N_16kernel16gru_cell_forwardIffiLi2EEEvNS_4cuda6detail10TensorInfoIT_T1_EES9_S9_S9_S9_S9_S9_S8_S8_,"axG",@progbits,_ZN2at6native12_GLOBAL__N_16kernel16gru_cell_forwardIffiLi2EEEvNS_4cuda6detail10TensorInfoIT_T1_EES9_S9_S9_S9_S9_S9_S8_S8_,comdat
	.globl	_ZN2at6native12_GLOBAL__N_16kernel16gru_cell_forwardIffiLi2EEEvNS_4cuda6detail10TensorInfoIT_T1_EES9_S9_S9_S9_S9_S9_S8_S8_ ; -- Begin function _ZN2at6native12_GLOBAL__N_16kernel16gru_cell_forwardIffiLi2EEEvNS_4cuda6detail10TensorInfoIT_T1_EES9_S9_S9_S9_S9_S9_S8_S8_
	.p2align	8
	.type	_ZN2at6native12_GLOBAL__N_16kernel16gru_cell_forwardIffiLi2EEEvNS_4cuda6detail10TensorInfoIT_T1_EES9_S9_S9_S9_S9_S9_S8_S8_,@function
_ZN2at6native12_GLOBAL__N_16kernel16gru_cell_forwardIffiLi2EEEvNS_4cuda6detail10TensorInfoIT_T1_EES9_S9_S9_S9_S9_S9_S8_S8_: ; @_ZN2at6native12_GLOBAL__N_16kernel16gru_cell_forwardIffiLi2EEEvNS_4cuda6detail10TensorInfoIT_T1_EES9_S9_S9_S9_S9_S9_S8_S8_
; %bb.0:
	s_clause 0x1
	s_load_dword s2, s[4:5], 0x5fc
	s_load_dwordx2 s[8:9], s[4:5], 0x5e8
	s_add_u32 s0, s4, 0x5f0
	s_addc_u32 s1, s5, 0
	s_mov_b32 s3, exec_lo
	s_waitcnt lgkmcnt(0)
	s_and_b32 s2, s2, 0xffff
	v_mad_u64_u32 v[0:1], null, s6, s2, v[0:1]
	v_cmpx_gt_i32_e64 s9, v0
	s_cbranch_execz .LBB37_9
; %bb.1:
	s_clause 0x2
	s_load_dwordx2 s[6:7], s[4:5], 0x1b0
	s_load_dword s3, s[4:5], 0xc
	s_load_dword s30, s[4:5], 0xe4
	;; [unrolled: 1-line block ×3, first 2 shown]
	s_clause 0xf
	s_load_dwordx2 s[10:11], s[4:5], 0x288
	s_load_dword s31, s[4:5], 0x2f4
	s_load_dwordx2 s[12:13], s[4:5], 0x360
	s_load_dword s0, s[4:5], 0x36c
	s_load_dwordx2 s[14:15], s[4:5], 0x0
	s_load_dwordx2 s[16:17], s[4:5], 0x6c
	;; [unrolled: 1-line block ×3, first 2 shown]
	s_load_dword s1, s[4:5], 0x444
	s_load_dword s33, s[4:5], 0x51c
	s_load_dwordx2 s[20:21], s[4:5], 0x144
	s_load_dword s34, s[4:5], 0x21c
	s_load_dwordx2 s[22:23], s[4:5], 0x3cc
	s_load_dwordx2 s[24:25], s[4:5], 0x438
	;; [unrolled: 1-line block ×5, first 2 shown]
	s_mov_b32 s55, 0xbbbac73d
	s_waitcnt lgkmcnt(0)
	s_cmp_lg_u64 s[6:7], 0
	s_cselect_b32 s35, -1, 0
	s_abs_i32 s36, s8
	s_abs_i32 s39, s3
	v_cvt_f32_u32_e32 v1, s36
	v_cvt_f32_u32_e32 v2, s39
	s_abs_i32 s41, s0
	s_abs_i32 s40, s30
	v_cvt_f32_u32_e32 v4, s41
	v_rcp_iflag_f32_e32 v1, v1
	v_rcp_iflag_f32_e32 v2, v2
	s_abs_i32 s42, s1
	s_abs_i32 s43, s33
	v_cvt_f32_u32_e32 v3, s40
	v_cvt_f32_u32_e32 v5, s42
	;; [unrolled: 1-line block ×3, first 2 shown]
	v_rcp_iflag_f32_e32 v4, v4
	s_mul_i32 s37, s37, s2
	v_rcp_iflag_f32_e32 v3, v3
	v_rcp_iflag_f32_e32 v5, v5
	v_rcp_iflag_f32_e32 v6, v6
	v_mul_f32_e32 v1, 0x4f7ffffe, v1
	v_mul_f32_e32 v2, 0x4f7ffffe, v2
	s_sub_i32 s2, 0, s36
	s_sub_i32 s44, 0, s39
	;; [unrolled: 1-line block ×3, first 2 shown]
	v_cvt_u32_f32_e32 v1, v1
	v_cvt_u32_f32_e32 v2, v2
	v_mul_f32_e32 v4, 0x4f7ffffe, v4
	v_mul_f32_e32 v3, 0x4f7ffffe, v3
	;; [unrolled: 1-line block ×4, first 2 shown]
	v_mul_lo_u32 v7, s2, v1
	v_mul_lo_u32 v8, s44, v2
	v_cvt_u32_f32_e32 v4, v4
	v_cvt_u32_f32_e32 v3, v3
	;; [unrolled: 1-line block ×4, first 2 shown]
	s_sub_i32 s2, 0, s41
	s_sub_i32 s44, 0, s42
	v_mul_lo_u32 v10, s2, v4
	s_sub_i32 s2, 0, s43
	v_mul_lo_u32 v9, s45, v3
	v_mul_hi_u32 v7, v1, v7
	v_mul_lo_u32 v11, s44, v5
	v_mul_hi_u32 v8, v2, v8
	v_mul_lo_u32 v12, s2, v6
	s_ashr_i32 s38, s8, 31
	s_mov_b32 s44, 0
	s_ashr_i32 s45, s3, 31
	v_mul_hi_u32 v9, v3, v9
	v_add_nc_u32_e32 v1, v1, v7
	v_mul_hi_u32 v7, v4, v10
	v_mul_hi_u32 v10, v5, v11
	v_add_nc_u32_e32 v2, v2, v8
	v_mul_hi_u32 v8, v6, v12
	s_ashr_i32 s46, s30, 31
	s_ashr_i32 s47, s0, 31
	v_add_nc_u32_e32 v3, v3, v9
	s_ashr_i32 s48, s1, 31
	v_add_nc_u32_e32 v4, v4, v7
	v_add_nc_u32_e32 v5, v5, v10
	s_ashr_i32 s49, s33, 31
	v_add_nc_u32_e32 v6, v6, v8
	s_lshl_b32 s50, s8, 1
	s_lshl_b32 s51, s8, 2
	s_sub_i32 s52, 0, s8
	s_sub_i32 s53, 0, s0
	;; [unrolled: 1-line block ×3, first 2 shown]
	s_branch .LBB37_3
.LBB37_2:                               ;   in Loop: Header=BB37_3 Depth=1
	s_or_b32 exec_lo, exec_lo, s0
	v_add_f32_e32 v17, v17, v18
	v_lshlrev_b32_e32 v11, 2, v11
	v_lshlrev_b32_e32 v10, 2, v10
	v_mul_hi_u32 v18, v7, v5
	v_mul_lo_u32 v15, s51, v15
	v_add_f32_e32 v17, v17, v19
	v_xor_b32_e32 v8, s48, v8
	v_sub_nc_u32_e32 v10, v11, v10
	v_add_f32_e32 v11, v17, v20
	v_mul_lo_u32 v19, v18, s42
	v_add_nc_u32_e32 v17, v0, v15
	v_add_nc_u32_e32 v20, 1, v18
	v_or_b32_e32 v21, 1, v10
	v_mul_f32_e32 v22, 0xbfb8aa3b, v11
	v_or_b32_e32 v23, 2, v10
	v_ashrrev_i32_e32 v17, 31, v17
	v_or_b32_e32 v24, 3, v10
	v_sub_nc_u32_e32 v7, v7, v19
	v_fma_f32 v25, 0xbfb8aa3b, v11, -v22
	v_rndne_f32_e32 v26, v22
	v_add_nc_u32_e32 v10, 4, v10
	v_add3_u32 v27, v17, v15, v0
	v_cmp_le_u32_e32 vcc_lo, s42, v7
	v_fmac_f32_e32 v25, 0xb2a5705f, v11
	v_sub_f32_e32 v22, v22, v26
	v_cvt_i32_f32_e32 v26, v26
	v_mul_lo_u32 v21, s8, v21
	v_cndmask_b32_e32 v18, v18, v20, vcc_lo
	v_subrev_nc_u32_e32 v20, s42, v7
	v_add_f32_e32 v22, v22, v25
	v_mul_lo_u32 v19, s8, v10
	v_xor_b32_e32 v10, s49, v17
	v_xor_b32_e32 v17, v27, v17
	v_cndmask_b32_e32 v7, v7, v20, vcc_lo
	v_exp_f32_e32 v22, v22
	v_cmp_nlt_f32_e32 vcc_lo, 0x42ce8ed0, v11
	v_add_nc_u32_e32 v20, 1, v18
	v_mul_hi_u32 v30, v17, v6
	v_add_nc_u32_e32 v25, v0, v21
	v_mul_lo_u32 v23, s8, v23
	v_mul_lo_u32 v24, s8, v24
	v_add_nc_u32_e32 v29, v0, v19
	v_ashrrev_i32_e32 v25, 31, v25
	v_ldexp_f32 v22, v22, v26
	v_mul_lo_u32 v31, v30, s43
	v_add_nc_u32_e32 v32, 1, v30
	v_add_nc_u32_e32 v27, v0, v23
	;; [unrolled: 1-line block ×3, first 2 shown]
	v_cndmask_b32_e32 v22, 0, v22, vcc_lo
	v_cmp_le_u32_e32 vcc_lo, s42, v7
	v_ashrrev_i32_e32 v26, 31, v27
	v_sub_nc_u32_e32 v17, v17, v31
	v_ashrrev_i32_e32 v27, 31, v28
	v_cndmask_b32_e32 v7, v18, v20, vcc_lo
	v_cmp_ngt_f32_e32 vcc_lo, 0xc2b17218, v11
	v_add3_u32 v20, v25, v21, v0
	v_xor_b32_e32 v18, s49, v25
	v_ashrrev_i32_e32 v28, 31, v29
	v_xor_b32_e32 v7, v7, v8
	v_cndmask_b32_e32 v11, 0x7f800000, v22, vcc_lo
	v_xor_b32_e32 v20, v20, v25
	v_cmp_le_u32_e32 vcc_lo, s43, v17
	v_add3_u32 v22, v26, v23, v0
	v_sub_nc_u32_e32 v33, v7, v8
	v_add_f32_e32 v11, 1.0, v11
	v_mul_hi_u32 v34, v20, v6
	v_add3_u32 v29, v27, v24, v0
	v_xor_b32_e32 v22, v22, v26
	v_mad_u64_u32 v[7:8], null, s54, v33, v[0:1]
	v_div_scale_f32 v25, null, v11, v11, 1.0
	v_cndmask_b32_e32 v8, v30, v32, vcc_lo
	v_subrev_nc_u32_e32 v30, s43, v17
	v_mul_lo_u32 v32, v34, s43
	v_rcp_f32_e32 v31, v25
	v_mul_lo_u32 v7, v7, s27
	v_mul_hi_u32 v35, v22, v6
	v_cndmask_b32_e32 v17, v17, v30, vcc_lo
	v_add_nc_u32_e32 v30, 1, v8
	v_div_scale_f32 v38, vcc_lo, 1.0, v11, 1.0
	v_sub_nc_u32_e32 v20, v20, v32
	v_cmp_le_u32_e64 s0, s43, v17
	v_add_nc_u32_e32 v36, 1, v34
	v_fma_f32 v37, -v25, v31, 1.0
	v_xor_b32_e32 v29, v29, v27
	v_xor_b32_e32 v26, s49, v26
	v_cndmask_b32_e64 v17, v8, v30, s0
	v_mad_u64_u32 v[7:8], null, v33, s26, v[7:8]
	v_fmac_f32_e32 v31, v37, v31
	v_mul_lo_u32 v37, v35, s43
	v_xor_b32_e32 v8, v17, v10
	v_subrev_nc_u32_e32 v17, s43, v20
	v_cmp_le_u32_e64 s0, s43, v20
	v_mul_f32_e32 v30, v38, v31
	v_xor_b32_e32 v27, s49, v27
	v_cndmask_b32_e64 v33, v34, v36, s0
	v_fma_f32 v32, -v25, v30, v38
	v_sub_nc_u32_e32 v34, v8, v10
	v_cndmask_b32_e64 v10, v20, v17, s0
	v_sub_nc_u32_e32 v22, v22, v37
	v_add_nc_u32_e32 v17, 1, v33
	v_fmac_f32_e32 v30, v32, v31
	v_mul_lo_u32 v20, v34, s33
	v_add3_u32 v37, v28, v19, v0
	v_cmp_le_u32_e64 s0, s43, v10
	v_mul_hi_u32 v36, v29, v6
	v_fma_f32 v25, -v25, v30, v38
	v_add_nc_u32_e32 v32, 1, v35
	v_ashrrev_i32_e32 v8, 31, v7
	v_cndmask_b32_e64 v10, v33, v17, s0
	v_xor_b32_e32 v17, v37, v28
	v_div_fmas_f32 v25, v25, v31, v30
	v_cmp_le_u32_e32 vcc_lo, s43, v22
	v_sub_nc_u32_e32 v15, v15, v20
	v_xor_b32_e32 v10, v10, v18
	v_mul_hi_u32 v30, v17, v6
	v_div_fixup_f32 v25, v25, v11, 1.0
	v_subrev_nc_u32_e32 v11, s43, v22
	v_cndmask_b32_e32 v20, v35, v32, vcc_lo
	v_add_nc_u32_e32 v15, v0, v15
	v_sub_nc_u32_e32 v18, v10, v18
	v_xor_b32_e32 v28, s49, v28
	v_cndmask_b32_e32 v11, v22, v11, vcc_lo
	v_mul_lo_u32 v22, v36, s43
	v_add_nc_u32_e32 v31, 1, v20
	v_mul_lo_u32 v10, v15, s5
	v_add_nc_u32_e32 v15, 1, v36
	v_cmp_le_u32_e32 vcc_lo, s43, v11
	v_lshlrev_b64 v[7:8], 2, v[7:8]
	v_cndmask_b32_e32 v11, v20, v31, vcc_lo
	v_sub_nc_u32_e32 v20, v29, v22
	v_mul_lo_u32 v22, v30, s43
	v_mul_lo_u32 v29, v18, s33
	v_xor_b32_e32 v11, v11, v26
	v_subrev_nc_u32_e32 v31, s43, v20
	v_cmp_le_u32_e32 vcc_lo, s43, v20
	v_sub_nc_u32_e32 v17, v17, v22
	v_add_nc_u32_e32 v22, 1, v30
	v_cndmask_b32_e32 v15, v36, v15, vcc_lo
	v_cndmask_b32_e32 v20, v20, v31, vcc_lo
	v_sub_nc_u32_e32 v21, v21, v29
	v_cmp_le_u32_e32 vcc_lo, s43, v17
	v_add_nc_u32_e32 v31, 1, v15
	v_cmp_le_u32_e64 s0, s43, v20
	v_sub_nc_u32_e32 v20, v11, v26
	v_cndmask_b32_e32 v22, v30, v22, vcc_lo
	v_subrev_nc_u32_e32 v30, s43, v17
	v_cndmask_b32_e64 v15, v15, v31, s0
	v_mul_lo_u32 v26, v20, s33
	v_cndmask_b32_e32 v11, v17, v30, vcc_lo
	v_add_nc_u32_e32 v17, 1, v22
	v_xor_b32_e32 v15, v15, v27
	v_cmp_le_u32_e32 vcc_lo, s43, v11
	v_mad_u64_u32 v[10:11], null, v34, s4, v[10:11]
	v_cndmask_b32_e32 v17, v22, v17, vcc_lo
	v_sub_nc_u32_e32 v22, v15, v27
	v_bfi_b32 v27, 0x7fffffff, v16, v14
	v_sub_nc_u32_e32 v16, v23, v26
	v_add_nc_u32_e32 v14, v0, v21
	v_xor_b32_e32 v11, v17, v28
	v_mul_lo_u32 v15, v22, s33
	v_sub_f32_e32 v17, v9, v27
	v_add_nc_u32_e32 v16, v0, v16
	v_mul_lo_u32 v14, v14, s5
	v_sub_nc_u32_e32 v21, v11, v28
	v_ashrrev_i32_e32 v11, 31, v10
	v_fma_f32 v26, v25, v17, v27
	v_add_co_u32 v7, vcc_lo, s24, v7
	v_sub_nc_u32_e32 v23, v24, v15
	v_mul_lo_u32 v15, v16, s5
	v_mul_lo_u32 v24, v21, s33
	v_lshlrev_b64 v[10:11], 2, v[10:11]
	v_add_co_ci_u32_e64 v8, null, s25, v8, vcc_lo
	v_add_nc_u32_e32 v23, v0, v23
	v_mad_u64_u32 v[16:17], null, v18, s4, v[14:15]
	v_sub_nc_u32_e32 v19, v19, v24
	v_add_co_u32 v10, vcc_lo, s28, v10
	v_add_co_ci_u32_e64 v11, null, s29, v11, vcc_lo
	v_add_nc_u32_e32 v18, v0, v19
	v_mad_u64_u32 v[14:15], null, v20, s4, v[15:16]
	v_mul_lo_u32 v15, v23, s5
	global_store_dword v[7:8], v26, off
	v_mul_lo_u32 v18, v18, s5
	global_store_dword v[10:11], v13, off
	v_ashrrev_i32_e32 v17, 31, v16
	v_add_nc_u32_e32 v0, s37, v0
	v_mad_u64_u32 v[19:20], null, v22, s4, v[15:16]
	v_ashrrev_i32_e32 v15, 31, v14
	v_lshlrev_b64 v[7:8], 2, v[16:17]
	v_lshlrev_b64 v[13:14], 2, v[14:15]
	v_mad_u64_u32 v[10:11], null, v21, s4, v[18:19]
	v_ashrrev_i32_e32 v20, 31, v19
	v_add_co_u32 v7, vcc_lo, s28, v7
	v_add_co_ci_u32_e64 v8, null, s29, v8, vcc_lo
	v_lshlrev_b64 v[15:16], 2, v[19:20]
	v_ashrrev_i32_e32 v11, 31, v10
	v_add_co_u32 v13, vcc_lo, s28, v13
	v_add_co_ci_u32_e64 v14, null, s29, v14, vcc_lo
	v_lshlrev_b64 v[10:11], 2, v[10:11]
	v_add_co_u32 v15, vcc_lo, s28, v15
	v_add_co_ci_u32_e64 v16, null, s29, v16, vcc_lo
	v_cmp_le_i32_e32 vcc_lo, s9, v0
	v_add_co_u32 v10, s0, s28, v10
	v_add_co_ci_u32_e64 v11, null, s29, v11, s0
	s_or_b32 s44, vcc_lo, s44
	global_store_dword v[7:8], v25, off
	global_store_dword v[13:14], v27, off
	;; [unrolled: 1-line block ×4, first 2 shown]
	s_andn2_b32 exec_lo, exec_lo, s44
	s_cbranch_execz .LBB37_9
.LBB37_3:                               ; =>This Inner Loop Header: Depth=1
	v_sub_nc_u32_e32 v7, 0, v0
	v_max_i32_e32 v7, v0, v7
	v_mul_hi_u32 v8, v7, v1
	v_mul_hi_u32 v13, v7, v4
	v_mul_lo_u32 v9, v8, s36
	v_add_nc_u32_e32 v10, 1, v8
	v_add_nc_u32_e32 v16, 1, v13
	v_sub_nc_u32_e32 v9, v7, v9
	v_subrev_nc_u32_e32 v11, s36, v9
	v_cmp_le_u32_e32 vcc_lo, s36, v9
	v_cndmask_b32_e32 v12, v8, v10, vcc_lo
	v_cndmask_b32_e32 v9, v9, v11, vcc_lo
	v_ashrrev_i32_e32 v8, 31, v0
	v_add_nc_u32_e32 v11, 1, v12
	v_cmp_le_u32_e32 vcc_lo, s36, v9
	v_xor_b32_e32 v10, s38, v8
	v_xor_b32_e32 v19, s47, v8
	v_cndmask_b32_e32 v9, v12, v11, vcc_lo
	v_mul_lo_u32 v12, v13, s41
	v_xor_b32_e32 v11, v9, v10
	v_lshlrev_b32_e32 v9, 1, v10
	v_sub_nc_u32_e32 v12, v7, v12
	v_sub_nc_u32_e32 v15, v11, v10
	v_lshlrev_b32_e32 v14, 1, v11
	v_cmp_le_u32_e32 vcc_lo, s41, v12
	v_mul_lo_u32 v18, s50, v15
	v_sub_nc_u32_e32 v9, v14, v9
	v_subrev_nc_u32_e32 v17, s41, v12
	v_cndmask_b32_e32 v13, v13, v16, vcc_lo
	v_or_b32_e32 v14, 1, v9
	v_add_nc_u32_e32 v9, 2, v9
	v_add_nc_u32_e32 v16, v0, v18
	v_cndmask_b32_e32 v12, v12, v17, vcc_lo
	v_add_nc_u32_e32 v17, 1, v13
	v_mul_lo_u32 v14, s8, v14
	v_mul_lo_u32 v20, s8, v9
	v_ashrrev_i32_e32 v16, 31, v16
	v_cmp_le_u32_e32 vcc_lo, s41, v12
	v_add3_u32 v12, v16, v18, v0
	v_cndmask_b32_e32 v9, v13, v17, vcc_lo
	v_add_nc_u32_e32 v13, v0, v14
	v_add_nc_u32_e32 v17, v0, v20
	v_xor_b32_e32 v21, s45, v16
	v_xor_b32_e32 v12, v12, v16
	;; [unrolled: 1-line block ×3, first 2 shown]
	v_ashrrev_i32_e32 v13, 31, v13
	v_ashrrev_i32_e32 v17, 31, v17
	v_xor_b32_e32 v9, v9, v19
	v_mul_hi_u32 v22, v12, v2
	v_mul_hi_u32 v25, v12, v3
	v_add3_u32 v24, v13, v14, v0
	v_add3_u32 v26, v17, v20, v0
	v_xor_b32_e32 v23, s45, v13
	v_xor_b32_e32 v27, s45, v17
	;; [unrolled: 1-line block ×6, first 2 shown]
	v_mul_lo_u32 v26, v22, s39
	v_mul_lo_u32 v29, v25, s40
	v_mul_hi_u32 v30, v13, v2
	v_add_nc_u32_e32 v31, 1, v22
	v_mul_hi_u32 v32, v17, v2
	v_add_nc_u32_e32 v33, 1, v25
	v_mul_hi_u32 v34, v13, v3
	v_mul_hi_u32 v35, v17, v3
	v_sub_nc_u32_e32 v26, v12, v26
	v_sub_nc_u32_e32 v12, v12, v29
	v_mul_lo_u32 v29, v30, s39
	v_add_nc_u32_e32 v36, 1, v30
	v_mul_lo_u32 v37, v32, s39
	v_subrev_nc_u32_e32 v43, s39, v26
	v_cmp_le_u32_e32 vcc_lo, s39, v26
	v_cmp_le_u32_e64 s0, s40, v12
	v_mul_lo_u32 v39, v34, s40
	v_mul_lo_u32 v41, v35, s40
	v_sub_nc_u32_e32 v29, v13, v29
	v_cndmask_b32_e32 v22, v22, v31, vcc_lo
	v_cndmask_b32_e32 v26, v26, v43, vcc_lo
	v_cndmask_b32_e64 v25, v25, v33, s0
	v_subrev_nc_u32_e32 v31, s40, v12
	v_sub_nc_u32_e32 v37, v17, v37
	v_add_nc_u32_e32 v33, 1, v22
	v_cmp_le_u32_e32 vcc_lo, s39, v26
	v_add_nc_u32_e32 v38, 1, v32
	v_cndmask_b32_e64 v12, v12, v31, s0
	v_add_nc_u32_e32 v31, 1, v25
	v_sub_nc_u32_e32 v13, v13, v39
	v_cndmask_b32_e32 v22, v22, v33, vcc_lo
	v_cmp_le_u32_e32 vcc_lo, s39, v29
	v_sub_nc_u32_e32 v17, v17, v41
	v_cmp_le_u32_e64 s0, s39, v37
	v_subrev_nc_u32_e32 v33, s39, v37
	v_cmp_le_u32_e64 s1, s40, v12
	v_cndmask_b32_e32 v26, v30, v36, vcc_lo
	v_subrev_nc_u32_e32 v30, s39, v29
	v_add_nc_u32_e32 v40, 1, v34
	v_add_nc_u32_e32 v42, 1, v35
	v_cndmask_b32_e64 v32, v32, v38, s0
	v_cndmask_b32_e64 v12, v25, v31, s1
	v_cndmask_b32_e32 v29, v29, v30, vcc_lo
	v_cmp_le_u32_e64 s1, s40, v13
	v_subrev_nc_u32_e32 v31, s40, v13
	v_cmp_le_u32_e64 s2, s40, v17
	v_xor_b32_e32 v22, v22, v21
	v_add_nc_u32_e32 v30, 1, v26
	v_cndmask_b32_e64 v33, v37, v33, s0
	v_cmp_le_u32_e32 vcc_lo, s39, v29
	v_cndmask_b32_e64 v25, v34, v40, s1
	v_cndmask_b32_e64 v34, v35, v42, s2
	v_subrev_nc_u32_e32 v35, s40, v17
	v_add_nc_u32_e32 v36, 1, v32
	v_cndmask_b32_e64 v13, v13, v31, s1
	v_sub_nc_u32_e32 v21, v22, v21
	v_cndmask_b32_e32 v22, v26, v30, vcc_lo
	v_cmp_le_u32_e32 vcc_lo, s39, v33
	v_xor_b32_e32 v12, v12, v16
	v_add_nc_u32_e32 v31, 1, v25
	v_cndmask_b32_e64 v17, v17, v35, s2
	v_add_nc_u32_e32 v35, 1, v34
	v_cndmask_b32_e32 v26, v32, v36, vcc_lo
	v_cmp_le_u32_e32 vcc_lo, s40, v13
	v_sub_nc_u32_e32 v29, v12, v16
	v_xor_b32_e32 v16, v22, v23
	v_xor_b32_e32 v22, v26, v27
	v_cndmask_b32_e32 v12, v25, v31, vcc_lo
	v_cmp_le_u32_e32 vcc_lo, s40, v17
	v_sub_nc_u32_e32 v23, v16, v23
	v_mul_lo_u32 v17, v21, s3
	v_mul_lo_u32 v25, v29, s30
	v_xor_b32_e32 v12, v12, v28
	v_cndmask_b32_e32 v13, v34, v35, vcc_lo
	v_mul_lo_u32 v16, v23, s3
	v_sub_nc_u32_e32 v22, v22, v27
	v_sub_nc_u32_e32 v26, v12, v28
	v_xor_b32_e32 v13, v13, v24
	v_sub_nc_u32_e32 v12, v18, v17
	v_mul_lo_u32 v17, v22, s3
	v_sub_nc_u32_e32 v28, v9, v19
	v_sub_nc_u32_e32 v16, v14, v16
	v_sub_nc_u32_e32 v27, v13, v24
	v_sub_nc_u32_e32 v13, v18, v25
	v_mul_lo_u32 v18, v26, s30
	v_add_nc_u32_e32 v12, v0, v12
	v_add_nc_u32_e32 v16, v0, v16
	v_mul_lo_u32 v19, v27, s30
	v_add_nc_u32_e32 v13, v0, v13
	v_sub_nc_u32_e32 v17, v20, v17
	v_mul_lo_u32 v9, v12, s17
	v_sub_nc_u32_e32 v14, v14, v18
	v_mul_lo_u32 v12, v13, s21
	v_mul_lo_u32 v13, v16, s17
	v_sub_nc_u32_e32 v18, v20, v19
	v_add_nc_u32_e32 v19, v0, v17
	v_add_nc_u32_e32 v14, v0, v14
	v_mad_u64_u32 v[16:17], null, v21, s16, v[9:10]
	v_add_nc_u32_e32 v24, v0, v18
	v_mul_lo_u32 v9, v19, s17
	v_mad_u64_u32 v[18:19], null, v29, s20, v[12:13]
	v_mul_lo_u32 v12, v14, s21
	v_mad_u64_u32 v[13:14], null, v23, s16, v[13:14]
	v_ashrrev_i32_e32 v17, 31, v16
	v_mad_u64_u32 v[20:21], null, v22, s16, v[9:10]
	v_mad_u64_u32 v[22:23], null, s53, v28, v[0:1]
	v_ashrrev_i32_e32 v14, 31, v13
	v_lshlrev_b64 v[16:17], 2, v[16:17]
	v_mul_lo_u32 v9, v24, s21
	v_mad_u64_u32 v[23:24], null, v26, s20, v[12:13]
	v_lshlrev_b64 v[12:13], 2, v[13:14]
	v_ashrrev_i32_e32 v21, 31, v20
	v_add_co_u32 v16, vcc_lo, s14, v16
	v_add_co_ci_u32_e64 v17, null, s15, v17, vcc_lo
	v_add_co_u32 v25, vcc_lo, s14, v12
	v_add_co_ci_u32_e64 v26, null, s15, v13, vcc_lo
	v_mul_lo_u32 v12, v22, s23
	v_mad_u64_u32 v[13:14], null, v27, s20, v[9:10]
	v_ashrrev_i32_e32 v19, 31, v18
	v_ashrrev_i32_e32 v24, 31, v23
	v_lshlrev_b64 v[20:21], 2, v[20:21]
	v_lshlrev_b64 v[18:19], 2, v[18:19]
	v_mad_u64_u32 v[27:28], null, v28, s22, v[12:13]
	v_ashrrev_i32_e32 v14, 31, v13
	v_lshlrev_b64 v[22:23], 2, v[23:24]
	v_add_co_u32 v20, vcc_lo, s14, v20
	v_add_co_ci_u32_e64 v21, null, s15, v21, vcc_lo
	v_ashrrev_i32_e32 v28, 31, v27
	v_lshlrev_b64 v[12:13], 2, v[13:14]
	v_add_co_u32 v18, vcc_lo, s18, v18
	v_add_co_ci_u32_e64 v19, null, s19, v19, vcc_lo
	v_lshlrev_b64 v[27:28], 2, v[27:28]
	v_add_co_u32 v22, vcc_lo, s18, v22
	v_add_co_ci_u32_e64 v23, null, s19, v23, vcc_lo
	v_add_co_u32 v29, vcc_lo, s18, v12
	v_add_co_ci_u32_e64 v30, null, s19, v13, vcc_lo
	;; [unrolled: 2-line block ×3, first 2 shown]
	s_clause 0x2
	global_load_dword v13, v[16:17], off
	global_load_dword v17, v[25:26], off
	;; [unrolled: 1-line block ×3, first 2 shown]
	s_clause 0x2
	global_load_dword v14, v[18:19], off
	global_load_dword v18, v[22:23], off
	;; [unrolled: 1-line block ×4, first 2 shown]
	v_mov_b32_e32 v19, 0
	v_mov_b32_e32 v21, 0
	;; [unrolled: 1-line block ×6, first 2 shown]
	s_andn2_b32 vcc_lo, exec_lo, s35
	s_cbranch_vccnz .LBB37_5
; %bb.4:                                ;   in Loop: Header=BB37_3 Depth=1
	v_sub_nc_u32_e32 v21, v10, v11
	v_mad_u64_u32 v[19:20], null, s52, v15, v[0:1]
	v_mul_lo_u32 v23, s8, v21
	v_add_nc_u32_e32 v21, 2, v21
	v_mul_lo_u32 v20, v19, s34
	v_mul_lo_u32 v22, v19, s31
	v_mad_u64_u32 v[24:25], null, s8, v21, v[0:1]
	v_add3_u32 v26, v23, s8, v0
	v_ashrrev_i32_e32 v21, 31, v20
	v_mul_lo_u32 v19, v26, s34
	v_mul_lo_u32 v25, v24, s34
	;; [unrolled: 1-line block ×3, first 2 shown]
	v_ashrrev_i32_e32 v23, 31, v22
	v_lshlrev_b64 v[31:32], 2, v[20:21]
	v_mul_lo_u32 v29, v24, s31
	v_lshlrev_b64 v[21:22], 2, v[22:23]
	v_ashrrev_i32_e32 v20, 31, v19
	v_ashrrev_i32_e32 v26, 31, v25
	v_add_co_u32 v23, vcc_lo, s6, v31
	v_ashrrev_i32_e32 v28, 31, v27
	v_lshlrev_b64 v[19:20], 2, v[19:20]
	v_lshlrev_b64 v[25:26], 2, v[25:26]
	v_add_co_ci_u32_e64 v24, null, s7, v32, vcc_lo
	v_ashrrev_i32_e32 v30, 31, v29
	v_lshlrev_b64 v[27:28], 2, v[27:28]
	v_add_co_u32 v19, vcc_lo, s6, v19
	v_add_co_ci_u32_e64 v20, null, s7, v20, vcc_lo
	v_add_co_u32 v25, vcc_lo, s6, v25
	v_add_co_ci_u32_e64 v26, null, s7, v26, vcc_lo
	;; [unrolled: 2-line block ×3, first 2 shown]
	v_lshlrev_b64 v[21:22], 2, v[29:30]
	v_add_co_u32 v27, vcc_lo, s10, v27
	v_add_co_ci_u32_e64 v28, null, s11, v28, vcc_lo
	v_add_co_u32 v29, vcc_lo, s10, v21
	v_add_co_ci_u32_e64 v30, null, s11, v22, vcc_lo
	s_clause 0x2
	global_load_dword v24, v[23:24], off
	global_load_dword v19, v[19:20], off
	;; [unrolled: 1-line block ×3, first 2 shown]
	s_clause 0x2
	global_load_dword v23, v[31:32], off
	global_load_dword v20, v[27:28], off
	;; [unrolled: 1-line block ×3, first 2 shown]
.LBB37_5:                               ;   in Loop: Header=BB37_3 Depth=1
	s_waitcnt vmcnt(3)
	v_add_f32_e32 v13, v13, v14
	v_add_f32_e32 v13, v13, v24
	s_waitcnt vmcnt(2)
	v_add_f32_e32 v13, v23, v13
	v_mul_f32_e32 v14, 0xbfb8aa3b, v13
	v_cmp_nlt_f32_e32 vcc_lo, 0x42ce8ed0, v13
	v_fma_f32 v23, 0xbfb8aa3b, v13, -v14
	v_rndne_f32_e32 v24, v14
	v_fmac_f32_e32 v23, 0xb2a5705f, v13
	v_sub_f32_e32 v14, v14, v24
	v_add_f32_e32 v14, v14, v23
	v_cvt_i32_f32_e32 v23, v24
	v_exp_f32_e32 v14, v14
	v_ldexp_f32 v14, v14, v23
	v_cndmask_b32_e32 v14, 0, v14, vcc_lo
	v_cmp_ngt_f32_e32 vcc_lo, 0xc2b17218, v13
	v_cndmask_b32_e32 v13, 0x7f800000, v14, vcc_lo
	v_add_f32_e32 v13, 1.0, v13
	v_div_scale_f32 v14, null, v13, v13, 1.0
	v_div_scale_f32 v25, vcc_lo, 1.0, v13, 1.0
	v_rcp_f32_e32 v23, v14
	v_fma_f32 v24, -v14, v23, 1.0
	v_fmac_f32_e32 v23, v24, v23
	v_mul_f32_e32 v24, v25, v23
	v_fma_f32 v26, -v14, v24, v25
	v_fmac_f32_e32 v24, v26, v23
	v_fma_f32 v14, -v14, v24, v25
	v_div_fmas_f32 v23, v14, v23, v24
	v_add_f32_e32 v14, v12, v21
	s_waitcnt vmcnt(0)
	v_add_f32_e32 v12, v16, v22
                                        ; implicit-def: $vgpr16
	v_div_fixup_f32 v13, v23, v13, 1.0
	v_fmac_f32_e32 v14, v12, v13
	v_cmp_ngt_f32_e64 s0, 0x3f200000, |v14|
	s_and_saveexec_b32 s1, s0
	s_xor_b32 s0, exec_lo, s1
	s_cbranch_execz .LBB37_7
; %bb.6:                                ;   in Loop: Header=BB37_3 Depth=1
	v_add_f32_e64 v16, |v14|, |v14|
	v_mul_f32_e32 v21, 0x3fb8aa3b, v16
	v_cmp_ngt_f32_e32 vcc_lo, 0xc2ce8ed0, v16
	v_rndne_f32_e32 v22, v21
	v_fma_f32 v23, 0x3fb8aa3b, v16, -v21
	v_sub_f32_e32 v21, v21, v22
	v_fmac_f32_e32 v23, 0x32a5705f, v16
	v_cvt_i32_f32_e32 v22, v22
	v_add_f32_e32 v21, v21, v23
	v_exp_f32_e32 v21, v21
	v_ldexp_f32 v21, v21, v22
	v_cndmask_b32_e32 v21, 0, v21, vcc_lo
	v_cmp_nlt_f32_e32 vcc_lo, 0x42b17218, v16
	v_cndmask_b32_e32 v16, 0x7f800000, v21, vcc_lo
	v_add_f32_e32 v16, 1.0, v16
	v_rcp_f32_e32 v16, v16
	v_fma_f32 v16, v16, -2.0, 1.0
.LBB37_7:                               ;   in Loop: Header=BB37_3 Depth=1
	s_andn2_saveexec_b32 s0, s0
	s_cbranch_execz .LBB37_2
; %bb.8:                                ;   in Loop: Header=BB37_3 Depth=1
	v_mul_f32_e32 v16, v14, v14
	v_fmaak_f32 v21, s55, v16, 0x3ca908c9
	v_fmaak_f32 v21, v16, v21, 0xbd5c1c4e
	;; [unrolled: 1-line block ×4, first 2 shown]
	v_mul_f32_e64 v21, |v14|, v21
	v_fma_f32 v16, v16, v21, |v14|
	s_branch .LBB37_2
.LBB37_9:
	s_endpgm
	.section	.rodata,"a",@progbits
	.p2align	6, 0x0
	.amdhsa_kernel _ZN2at6native12_GLOBAL__N_16kernel16gru_cell_forwardIffiLi2EEEvNS_4cuda6detail10TensorInfoIT_T1_EES9_S9_S9_S9_S9_S9_S8_S8_
		.amdhsa_group_segment_fixed_size 0
		.amdhsa_private_segment_fixed_size 0
		.amdhsa_kernarg_size 1776
		.amdhsa_user_sgpr_count 6
		.amdhsa_user_sgpr_private_segment_buffer 1
		.amdhsa_user_sgpr_dispatch_ptr 0
		.amdhsa_user_sgpr_queue_ptr 0
		.amdhsa_user_sgpr_kernarg_segment_ptr 1
		.amdhsa_user_sgpr_dispatch_id 0
		.amdhsa_user_sgpr_flat_scratch_init 0
		.amdhsa_user_sgpr_private_segment_size 0
		.amdhsa_wavefront_size32 1
		.amdhsa_uses_dynamic_stack 0
		.amdhsa_system_sgpr_private_segment_wavefront_offset 0
		.amdhsa_system_sgpr_workgroup_id_x 1
		.amdhsa_system_sgpr_workgroup_id_y 0
		.amdhsa_system_sgpr_workgroup_id_z 0
		.amdhsa_system_sgpr_workgroup_info 0
		.amdhsa_system_vgpr_workitem_id 0
		.amdhsa_next_free_vgpr 44
		.amdhsa_next_free_sgpr 56
		.amdhsa_reserve_vcc 1
		.amdhsa_reserve_flat_scratch 0
		.amdhsa_float_round_mode_32 0
		.amdhsa_float_round_mode_16_64 0
		.amdhsa_float_denorm_mode_32 3
		.amdhsa_float_denorm_mode_16_64 3
		.amdhsa_dx10_clamp 1
		.amdhsa_ieee_mode 1
		.amdhsa_fp16_overflow 0
		.amdhsa_workgroup_processor_mode 1
		.amdhsa_memory_ordered 1
		.amdhsa_forward_progress 1
		.amdhsa_shared_vgpr_count 0
		.amdhsa_exception_fp_ieee_invalid_op 0
		.amdhsa_exception_fp_denorm_src 0
		.amdhsa_exception_fp_ieee_div_zero 0
		.amdhsa_exception_fp_ieee_overflow 0
		.amdhsa_exception_fp_ieee_underflow 0
		.amdhsa_exception_fp_ieee_inexact 0
		.amdhsa_exception_int_div_zero 0
	.end_amdhsa_kernel
	.section	.text._ZN2at6native12_GLOBAL__N_16kernel16gru_cell_forwardIffiLi2EEEvNS_4cuda6detail10TensorInfoIT_T1_EES9_S9_S9_S9_S9_S9_S8_S8_,"axG",@progbits,_ZN2at6native12_GLOBAL__N_16kernel16gru_cell_forwardIffiLi2EEEvNS_4cuda6detail10TensorInfoIT_T1_EES9_S9_S9_S9_S9_S9_S8_S8_,comdat
.Lfunc_end37:
	.size	_ZN2at6native12_GLOBAL__N_16kernel16gru_cell_forwardIffiLi2EEEvNS_4cuda6detail10TensorInfoIT_T1_EES9_S9_S9_S9_S9_S9_S8_S8_, .Lfunc_end37-_ZN2at6native12_GLOBAL__N_16kernel16gru_cell_forwardIffiLi2EEEvNS_4cuda6detail10TensorInfoIT_T1_EES9_S9_S9_S9_S9_S9_S8_S8_
                                        ; -- End function
	.set _ZN2at6native12_GLOBAL__N_16kernel16gru_cell_forwardIffiLi2EEEvNS_4cuda6detail10TensorInfoIT_T1_EES9_S9_S9_S9_S9_S9_S8_S8_.num_vgpr, 44
	.set _ZN2at6native12_GLOBAL__N_16kernel16gru_cell_forwardIffiLi2EEEvNS_4cuda6detail10TensorInfoIT_T1_EES9_S9_S9_S9_S9_S9_S8_S8_.num_agpr, 0
	.set _ZN2at6native12_GLOBAL__N_16kernel16gru_cell_forwardIffiLi2EEEvNS_4cuda6detail10TensorInfoIT_T1_EES9_S9_S9_S9_S9_S9_S8_S8_.numbered_sgpr, 56
	.set _ZN2at6native12_GLOBAL__N_16kernel16gru_cell_forwardIffiLi2EEEvNS_4cuda6detail10TensorInfoIT_T1_EES9_S9_S9_S9_S9_S9_S8_S8_.num_named_barrier, 0
	.set _ZN2at6native12_GLOBAL__N_16kernel16gru_cell_forwardIffiLi2EEEvNS_4cuda6detail10TensorInfoIT_T1_EES9_S9_S9_S9_S9_S9_S8_S8_.private_seg_size, 0
	.set _ZN2at6native12_GLOBAL__N_16kernel16gru_cell_forwardIffiLi2EEEvNS_4cuda6detail10TensorInfoIT_T1_EES9_S9_S9_S9_S9_S9_S8_S8_.uses_vcc, 1
	.set _ZN2at6native12_GLOBAL__N_16kernel16gru_cell_forwardIffiLi2EEEvNS_4cuda6detail10TensorInfoIT_T1_EES9_S9_S9_S9_S9_S9_S8_S8_.uses_flat_scratch, 0
	.set _ZN2at6native12_GLOBAL__N_16kernel16gru_cell_forwardIffiLi2EEEvNS_4cuda6detail10TensorInfoIT_T1_EES9_S9_S9_S9_S9_S9_S8_S8_.has_dyn_sized_stack, 0
	.set _ZN2at6native12_GLOBAL__N_16kernel16gru_cell_forwardIffiLi2EEEvNS_4cuda6detail10TensorInfoIT_T1_EES9_S9_S9_S9_S9_S9_S8_S8_.has_recursion, 0
	.set _ZN2at6native12_GLOBAL__N_16kernel16gru_cell_forwardIffiLi2EEEvNS_4cuda6detail10TensorInfoIT_T1_EES9_S9_S9_S9_S9_S9_S8_S8_.has_indirect_call, 0
	.section	.AMDGPU.csdata,"",@progbits
; Kernel info:
; codeLenInByte = 3708
; TotalNumSgprs: 58
; NumVgprs: 44
; ScratchSize: 0
; MemoryBound: 0
; FloatMode: 240
; IeeeMode: 1
; LDSByteSize: 0 bytes/workgroup (compile time only)
; SGPRBlocks: 0
; VGPRBlocks: 5
; NumSGPRsForWavesPerEU: 58
; NumVGPRsForWavesPerEU: 44
; Occupancy: 16
; WaveLimiterHint : 1
; COMPUTE_PGM_RSRC2:SCRATCH_EN: 0
; COMPUTE_PGM_RSRC2:USER_SGPR: 6
; COMPUTE_PGM_RSRC2:TRAP_HANDLER: 0
; COMPUTE_PGM_RSRC2:TGID_X_EN: 1
; COMPUTE_PGM_RSRC2:TGID_Y_EN: 0
; COMPUTE_PGM_RSRC2:TGID_Z_EN: 0
; COMPUTE_PGM_RSRC2:TIDIG_COMP_CNT: 0
	.section	.text._ZN2at6native12_GLOBAL__N_16kernel16gru_cell_forwardIfflLi1EEEvNS_4cuda6detail10TensorInfoIT_T1_EES9_S9_S9_S9_S9_S9_S8_S8_,"axG",@progbits,_ZN2at6native12_GLOBAL__N_16kernel16gru_cell_forwardIfflLi1EEEvNS_4cuda6detail10TensorInfoIT_T1_EES9_S9_S9_S9_S9_S9_S8_S8_,comdat
	.globl	_ZN2at6native12_GLOBAL__N_16kernel16gru_cell_forwardIfflLi1EEEvNS_4cuda6detail10TensorInfoIT_T1_EES9_S9_S9_S9_S9_S9_S8_S8_ ; -- Begin function _ZN2at6native12_GLOBAL__N_16kernel16gru_cell_forwardIfflLi1EEEvNS_4cuda6detail10TensorInfoIT_T1_EES9_S9_S9_S9_S9_S9_S8_S8_
	.p2align	8
	.type	_ZN2at6native12_GLOBAL__N_16kernel16gru_cell_forwardIfflLi1EEEvNS_4cuda6detail10TensorInfoIT_T1_EES9_S9_S9_S9_S9_S9_S8_S8_,@function
_ZN2at6native12_GLOBAL__N_16kernel16gru_cell_forwardIfflLi1EEEvNS_4cuda6detail10TensorInfoIT_T1_EES9_S9_S9_S9_S9_S9_S8_S8_: ; @_ZN2at6native12_GLOBAL__N_16kernel16gru_cell_forwardIfflLi1EEEvNS_4cuda6detail10TensorInfoIT_T1_EES9_S9_S9_S9_S9_S9_S8_S8_
; %bb.0:
	s_clause 0x1
	s_load_dword s2, s[4:5], 0xb7c
	s_load_dwordx4 s[8:11], s[4:5], 0xb60
	v_mov_b32_e32 v1, 0
	s_add_u32 s0, s4, 0xb70
	s_addc_u32 s1, s5, 0
	s_waitcnt lgkmcnt(0)
	s_and_b32 s26, s2, 0xffff
	s_mov_b32 s2, exec_lo
	v_mad_u64_u32 v[3:4], null, s6, s26, v[0:1]
	v_mov_b32_e32 v4, v1
	v_cmpx_gt_i64_e64 s[10:11], v[3:4]
	s_cbranch_execz .LBB38_14
; %bb.1:
	s_clause 0x1
	s_load_dwordx2 s[30:31], s[4:5], 0x750
	s_load_dwordx2 s[2:3], s[4:5], 0x340
	s_load_dword s0, s[0:1], 0x0
	s_clause 0x6
	s_load_dwordx2 s[34:35], s[4:5], 0x680
	s_load_dwordx2 s[36:37], s[4:5], 0x8f0
	;; [unrolled: 1-line block ×7, first 2 shown]
	v_cvt_f32_u32_e32 v0, s8
	s_clause 0x4
	s_load_dwordx2 s[18:19], s[4:5], 0x410
	s_load_dwordx2 s[20:21], s[4:5], 0x4e0
	;; [unrolled: 1-line block ×5, first 2 shown]
	s_mov_b32 s1, 0
	v_rcp_iflag_f32_e32 v0, v0
	s_waitcnt lgkmcnt(0)
	v_mul_lo_u32 v2, 0, s30
	v_mul_lo_u32 v7, v3, s31
	v_mad_u64_u32 v[5:6], null, v3, s30, 0
	v_mul_lo_u32 v9, 0, s36
	v_mul_f32_e32 v0, 0x4f7ffffe, v0
	s_cmp_lg_u64 s[2:3], 0
	s_mul_i32 s33, s0, s26
	s_cselect_b32 s40, -1, 0
	s_lshl_b64 s[26:27], s[8:9], 1
	v_add3_u32 v6, v6, v7, v2
	v_mul_lo_u32 v2, v3, s37
	v_mad_u64_u32 v[7:8], null, v3, s36, 0
	v_cvt_u32_f32_e32 v0, v0
	s_lshl_b64 s[28:29], s[8:9], 2
	s_sub_u32 s41, 0, s8
	s_subb_u32 s42, 0, s9
	s_sub_i32 s43, 0, s8
	v_lshlrev_b64 v[5:6], 2, v[5:6]
	v_add3_u32 v8, v8, v2, v9
	v_mul_lo_u32 v2, s43, v0
	s_mul_i32 s0, s33, s31
	s_mul_hi_u32 s31, s33, s30
	s_mul_i32 s30, s33, s30
	v_lshlrev_b64 v[7:8], 2, v[7:8]
	v_add_co_u32 v5, vcc_lo, s34, v5
	v_add_co_ci_u32_e64 v6, null, s35, v6, vcc_lo
	v_mul_hi_u32 v2, v0, v2
	v_add_co_u32 v7, vcc_lo, s38, v7
	s_add_i32 s31, s31, s0
	s_mul_i32 s0, s33, s37
	s_mul_hi_u32 s34, s33, s36
	v_add_co_ci_u32_e64 v8, null, s39, v8, vcc_lo
	v_add_nc_u32_e32 v0, v0, v2
	s_add_i32 s35, s34, s0
	s_mul_i32 s34, s33, s36
	s_lshl_b64 s[30:31], s[30:31], 2
	s_lshl_b64 s[34:35], s[34:35], 2
	s_ashr_i32 s36, s9, 31
	s_mov_b32 s43, 0xbbbac73d
	s_branch .LBB38_3
.LBB38_2:                               ;   in Loop: Header=BB38_3 Depth=1
	s_or_b32 exec_lo, exec_lo, s0
	v_add_f32_e32 v13, v13, v14
	v_bfi_b32 v22, 0x7fffffff, v15, v16
	v_mul_lo_u32 v19, s29, v9
	v_add_co_u32 v5, vcc_lo, v5, s30
	v_add_f32_e32 v13, v13, v17
	v_add_co_ci_u32_e64 v6, null, s31, v6, vcc_lo
	v_sub_f32_e32 v23, v2, v22
	v_add_f32_e32 v21, v13, v18
	v_mad_u64_u32 v[13:14], null, s28, v9, v[3:4]
	v_mul_lo_u32 v18, s28, v10
	v_lshlrev_b64 v[9:10], 2, v[9:10]
	v_mul_f32_e32 v17, 0xbfb8aa3b, v21
	v_mul_lo_u32 v30, v13, s5
	v_fma_f32 v15, 0xbfb8aa3b, v21, -v17
	v_rndne_f32_e32 v16, v17
	v_add3_u32 v29, v19, v14, v18
	v_add_co_u32 v27, vcc_lo, v9, 4
	v_fmac_f32_e32 v15, 0xb2a5705f, v21
	v_sub_f32_e32 v17, v17, v16
	v_cvt_i32_f32_e32 v18, v16
	v_or_b32_e32 v25, 2, v9
	v_or_b32_e32 v26, 3, v9
	v_add_co_ci_u32_e64 v28, null, 0, v10, vcc_lo
	v_add_f32_e32 v15, v17, v15
	v_cmp_nlt_f32_e32 vcc_lo, 0x42ce8ed0, v21
	v_mul_lo_u32 v32, s9, v25
	v_or_b32_e32 v20, 1, v9
	v_mul_lo_u32 v24, s8, v10
	v_exp_f32_e32 v17, v15
	v_mad_u64_u32 v[15:16], null, s8, v25, v[3:4]
	v_mul_lo_u32 v25, s9, v26
	v_mad_u64_u32 v[9:10], null, v13, s4, 0
	v_mul_lo_u32 v31, s9, v20
	;; [unrolled: 2-line block ×3, first 2 shown]
	v_ldexp_f32 v19, v17, v18
	v_mad_u64_u32 v[17:18], null, s8, v26, v[3:4]
	v_mul_lo_u32 v26, s8, v28
	v_add3_u32 v32, v32, v16, v24
	v_cndmask_b32_e32 v28, 0, v19, vcc_lo
	v_cmp_ngt_f32_e32 vcc_lo, 0xc2b17218, v21
	v_mad_u64_u32 v[19:20], null, s8, v27, v[3:4]
	v_mul_lo_u32 v27, v29, s4
	v_mul_lo_u32 v34, v15, s5
	v_cndmask_b32_e32 v21, 0x7f800000, v28, vcc_lo
	v_add3_u32 v28, v31, v14, v24
	v_add_co_u32 v3, vcc_lo, v3, s33
	v_add_co_ci_u32_e64 v4, null, 0, v4, vcc_lo
	v_add_f32_e32 v21, 1.0, v21
	v_add3_u32 v10, v10, v30, v27
	v_mul_lo_u32 v27, v28, s4
	v_mul_lo_u32 v30, v32, s4
	v_add3_u32 v24, v25, v18, v24
	v_div_scale_f32 v31, null, v21, v21, 1.0
	v_div_scale_f32 v28, vcc_lo, 1.0, v21, 1.0
	v_mul_lo_u32 v25, v17, s5
	v_rcp_f32_e32 v35, v31
	v_mad_u64_u32 v[17:18], null, v17, s4, 0
	v_mul_lo_u32 v24, v24, s4
	v_add3_u32 v26, v33, v20, v26
	v_mad_u64_u32 v[15:16], null, v15, s4, 0
	v_mul_lo_u32 v29, v13, s5
	v_mad_u64_u32 v[13:14], null, v13, s4, 0
	v_fma_f32 v36, -v31, v35, 1.0
	v_mul_lo_u32 v33, v19, s5
	v_mad_u64_u32 v[19:20], null, v19, s4, 0
	v_mul_lo_u32 v26, v26, s4
	v_fmac_f32_e32 v35, v36, v35
	v_add3_u32 v18, v18, v25, v24
	v_add3_u32 v16, v16, v34, v30
	;; [unrolled: 1-line block ×3, first 2 shown]
	v_lshlrev_b64 v[9:10], 2, v[9:10]
	v_mul_f32_e32 v32, v28, v35
	v_lshlrev_b64 v[17:18], 2, v[17:18]
	v_add3_u32 v20, v20, v33, v26
	v_lshlrev_b64 v[15:16], 2, v[15:16]
	v_lshlrev_b64 v[13:14], 2, v[13:14]
	v_fma_f32 v36, -v31, v32, v28
	v_add_co_u32 v9, s0, s24, v9
	v_lshlrev_b64 v[19:20], 2, v[19:20]
	v_add_co_ci_u32_e64 v10, null, s25, v10, s0
	v_fmac_f32_e32 v32, v36, v35
	v_add_co_u32 v13, s0, s24, v13
	v_add_co_ci_u32_e64 v14, null, s25, v14, s0
	v_fma_f32 v24, -v31, v32, v28
	v_div_fmas_f32 v24, v24, v35, v32
	v_add_co_u32 v15, vcc_lo, s24, v15
	v_add_co_ci_u32_e64 v16, null, s25, v16, vcc_lo
	v_div_fixup_f32 v21, v24, v21, 1.0
	v_add_co_u32 v17, vcc_lo, s24, v17
	v_add_co_ci_u32_e64 v18, null, s25, v18, vcc_lo
	v_fma_f32 v23, v21, v23, v22
	v_add_co_u32 v19, vcc_lo, s24, v19
	v_add_co_ci_u32_e64 v20, null, s25, v20, vcc_lo
	v_cmp_le_i64_e32 vcc_lo, s[10:11], v[3:4]
	global_store_dword v[7:8], v23, off
	global_store_dword v[9:10], v12, off
	;; [unrolled: 1-line block ×3, first 2 shown]
	v_add_co_u32 v7, s0, v7, s34
	v_add_co_ci_u32_e64 v8, null, s35, v8, s0
	s_or_b32 s1, vcc_lo, s1
	global_store_dword v[15:16], v22, off
	global_store_dword v[17:18], v2, off
	;; [unrolled: 1-line block ×3, first 2 shown]
	s_andn2_b32 exec_lo, exec_lo, s1
	s_cbranch_execz .LBB38_14
.LBB38_3:                               ; =>This Inner Loop Header: Depth=1
	v_or_b32_e32 v2, s9, v4
                                        ; implicit-def: $vgpr9_vgpr10
	s_mov_b32 s0, exec_lo
	v_cmpx_ne_u64_e32 0, v[1:2]
	s_xor_b32 s44, exec_lo, s0
	s_cbranch_execz .LBB38_5
; %bb.4:                                ;   in Loop: Header=BB38_3 Depth=1
	s_add_u32 s38, s8, s36
	s_mov_b32 s37, s36
	s_addc_u32 s39, s9, s36
	v_ashrrev_i32_e32 v15, 31, v4
	s_xor_b64 s[38:39], s[38:39], s[36:37]
	v_cvt_f32_u32_e32 v2, s38
	v_cvt_f32_u32_e32 v9, s39
	s_sub_u32 s0, 0, s38
	s_subb_u32 s46, 0, s39
	v_add_co_u32 v10, vcc_lo, v3, v15
	v_fmac_f32_e32 v2, 0x4f800000, v9
	v_xor_b32_e32 v16, v10, v15
	v_rcp_f32_e32 v2, v2
	v_mul_f32_e32 v2, 0x5f7ffffc, v2
	v_mul_f32_e32 v9, 0x2f800000, v2
	v_trunc_f32_e32 v9, v9
	v_fmac_f32_e32 v2, 0xcf800000, v9
	v_cvt_u32_f32_e32 v9, v9
	v_cvt_u32_f32_e32 v2, v2
	v_readfirstlane_b32 s37, v9
	v_readfirstlane_b32 s45, v2
	s_mul_i32 s47, s0, s37
	v_add_co_ci_u32_e64 v2, null, v4, v15, vcc_lo
	s_mul_hi_u32 s49, s0, s45
	s_mul_i32 s48, s46, s45
	s_add_i32 s47, s49, s47
	s_mul_i32 s50, s0, s45
	s_add_i32 s47, s47, s48
	s_mul_hi_u32 s49, s45, s50
	s_mul_i32 s52, s45, s47
	s_mul_hi_u32 s51, s37, s50
	s_mul_i32 s48, s37, s50
	s_mul_hi_u32 s50, s45, s47
	s_add_u32 s49, s49, s52
	s_addc_u32 s50, 0, s50
	s_mul_hi_u32 s53, s37, s47
	s_add_u32 s48, s49, s48
	s_mul_i32 s47, s37, s47
	s_addc_u32 s48, s50, s51
	s_addc_u32 s49, s53, 0
	s_add_u32 s47, s48, s47
	s_addc_u32 s48, 0, s49
	s_add_u32 s45, s45, s47
	s_cselect_b32 s47, -1, 0
	s_mul_hi_u32 s49, s0, s45
	s_cmp_lg_u32 s47, 0
	s_mul_i32 s47, s0, s45
	s_addc_u32 s37, s37, s48
	s_mul_i32 s46, s46, s45
	s_mul_i32 s0, s0, s37
	s_mul_hi_u32 s48, s45, s47
	s_add_i32 s0, s49, s0
	s_mul_hi_u32 s49, s37, s47
	s_add_i32 s0, s0, s46
	s_mul_i32 s46, s37, s47
	s_mul_i32 s51, s45, s0
	s_mul_hi_u32 s50, s45, s0
	s_add_u32 s48, s48, s51
	s_addc_u32 s50, 0, s50
	s_mul_hi_u32 s47, s37, s0
	s_add_u32 s46, s48, s46
	s_mul_i32 s0, s37, s0
	s_addc_u32 s46, s50, s49
	s_addc_u32 s47, s47, 0
	s_add_u32 s0, s46, s0
	s_addc_u32 s46, 0, s47
	s_add_u32 s0, s45, s0
	s_cselect_b32 s45, -1, 0
	v_xor_b32_e32 v2, v2, v15
	s_cmp_lg_u32 s45, 0
	v_mul_hi_u32 v17, v16, s0
	s_addc_u32 s37, s37, s46
	v_mad_u64_u32 v[9:10], null, v16, s37, 0
	v_mad_u64_u32 v[11:12], null, v2, s0, 0
	;; [unrolled: 1-line block ×3, first 2 shown]
	v_add_co_u32 v9, vcc_lo, v17, v9
	v_add_co_ci_u32_e64 v10, null, 0, v10, vcc_lo
	v_add_co_u32 v9, vcc_lo, v9, v11
	v_add_co_ci_u32_e32 v9, vcc_lo, v10, v12, vcc_lo
	v_add_co_ci_u32_e32 v10, vcc_lo, 0, v14, vcc_lo
	v_add_co_u32 v11, vcc_lo, v9, v13
	v_add_co_ci_u32_e64 v12, null, 0, v10, vcc_lo
	v_mul_lo_u32 v13, s39, v11
	v_mad_u64_u32 v[9:10], null, s38, v11, 0
	v_mul_lo_u32 v14, s38, v12
	v_sub_co_u32 v9, vcc_lo, v16, v9
	v_add3_u32 v10, v10, v14, v13
	v_add_co_u32 v14, s0, v11, 2
	v_add_co_ci_u32_e64 v16, null, 0, v12, s0
	v_sub_nc_u32_e32 v13, v2, v10
	v_sub_co_u32 v17, s0, v9, s38
	v_sub_co_ci_u32_e64 v2, null, v2, v10, vcc_lo
	v_subrev_co_ci_u32_e64 v13, null, s39, v13, vcc_lo
	v_cmp_le_u32_e32 vcc_lo, s38, v17
	v_subrev_co_ci_u32_e64 v13, null, 0, v13, s0
	v_cndmask_b32_e64 v10, 0, -1, vcc_lo
	v_cmp_le_u32_e32 vcc_lo, s39, v13
	v_cndmask_b32_e64 v17, 0, -1, vcc_lo
	v_cmp_le_u32_e32 vcc_lo, s38, v9
	;; [unrolled: 2-line block ×3, first 2 shown]
	v_cndmask_b32_e64 v18, 0, -1, vcc_lo
	v_cmp_eq_u32_e32 vcc_lo, s39, v13
	v_cndmask_b32_e32 v10, v17, v10, vcc_lo
	v_add_co_u32 v13, vcc_lo, v11, 1
	v_add_co_ci_u32_e64 v17, null, 0, v12, vcc_lo
	v_cmp_eq_u32_e32 vcc_lo, s39, v2
	v_cndmask_b32_e32 v2, v18, v9, vcc_lo
	v_cmp_ne_u32_e32 vcc_lo, 0, v10
	v_xor_b32_e32 v10, s36, v15
	v_cmp_ne_u32_e64 s0, 0, v2
	v_cndmask_b32_e32 v2, v13, v14, vcc_lo
	v_cndmask_b32_e32 v9, v17, v16, vcc_lo
	v_cndmask_b32_e64 v2, v11, v2, s0
	v_cndmask_b32_e64 v9, v12, v9, s0
	v_xor_b32_e32 v2, v2, v10
	v_xor_b32_e32 v11, v9, v10
	v_sub_co_u32 v9, vcc_lo, v2, v10
	v_sub_co_ci_u32_e64 v10, null, v11, v10, vcc_lo
.LBB38_5:                               ;   in Loop: Header=BB38_3 Depth=1
	s_andn2_saveexec_b32 s0, s44
	s_cbranch_execz .LBB38_7
; %bb.6:                                ;   in Loop: Header=BB38_3 Depth=1
	v_mul_hi_u32 v2, v3, v0
	v_mul_lo_u32 v9, v2, s8
	v_add_nc_u32_e32 v10, 1, v2
	v_sub_nc_u32_e32 v9, v3, v9
	v_subrev_nc_u32_e32 v11, s8, v9
	v_cmp_le_u32_e32 vcc_lo, s8, v9
	v_cndmask_b32_e32 v9, v9, v11, vcc_lo
	v_cndmask_b32_e32 v2, v2, v10, vcc_lo
	v_cmp_le_u32_e32 vcc_lo, s8, v9
	v_add_nc_u32_e32 v10, 1, v2
	v_cndmask_b32_e32 v9, v2, v10, vcc_lo
	v_mov_b32_e32 v10, v1
.LBB38_7:                               ;   in Loop: Header=BB38_3 Depth=1
	s_or_b32 exec_lo, exec_lo, s0
	v_lshlrev_b64 v[13:14], 1, v[9:10]
	v_mad_u64_u32 v[11:12], null, s26, v9, v[3:4]
	v_mul_lo_u32 v2, s26, v10
	v_mul_lo_u32 v15, s27, v9
	v_or_b32_e32 v16, 1, v13
	v_mul_lo_u32 v17, s8, v14
	v_add_co_u32 v20, vcc_lo, v13, 2
	v_mul_lo_u32 v18, v11, s13
	v_mul_lo_u32 v19, s9, v16
	v_add3_u32 v2, v15, v12, v2
	v_mad_u64_u32 v[15:16], null, s8, v16, v[3:4]
	v_mad_u64_u32 v[12:13], null, v11, s12, 0
	v_mul_lo_u32 v21, v2, s12
	v_add_co_ci_u32_e64 v14, null, 0, v14, vcc_lo
	v_mul_lo_u32 v22, s9, v20
	v_add3_u32 v23, v19, v16, v17
	v_mad_u64_u32 v[16:17], null, s8, v20, v[3:4]
	v_mul_lo_u32 v14, s8, v14
	v_add3_u32 v13, v13, v18, v21
	v_mul_lo_u32 v20, v23, s12
	v_mul_lo_u32 v21, v15, s13
	v_mad_u64_u32 v[18:19], null, v15, s12, 0
	v_mul_lo_u32 v25, v16, s13
	v_mul_lo_u32 v26, v11, s17
	v_add3_u32 v24, v22, v17, v14
	v_mul_lo_u32 v2, v2, s16
	v_lshlrev_b64 v[12:13], 2, v[12:13]
	v_add3_u32 v19, v19, v21, v20
	v_mul_lo_u32 v14, v24, s12
	v_mad_u64_u32 v[21:22], null, v11, s16, 0
	v_mul_lo_u32 v11, v23, s16
	v_lshlrev_b64 v[17:18], 2, v[18:19]
	v_mad_u64_u32 v[19:20], null, v16, s12, 0
	v_add_co_u32 v12, vcc_lo, s6, v12
	v_add3_u32 v22, v22, v26, v2
	v_mul_lo_u32 v2, v24, s16
	v_mul_lo_u32 v26, v16, s17
	v_mad_u64_u32 v[23:24], null, v16, s16, 0
	v_add3_u32 v20, v20, v25, v14
	v_mul_lo_u32 v25, v15, s17
	v_mad_u64_u32 v[14:15], null, v15, s16, 0
	v_lshlrev_b64 v[21:22], 2, v[21:22]
	v_lshlrev_b64 v[19:20], 2, v[19:20]
	v_add3_u32 v24, v24, v26, v2
	v_add_co_ci_u32_e64 v13, null, s7, v13, vcc_lo
	v_add_co_u32 v17, vcc_lo, s6, v17
	v_add3_u32 v15, v15, v25, v11
	v_add_co_ci_u32_e64 v18, null, s7, v18, vcc_lo
	v_add_co_u32 v19, vcc_lo, s6, v19
	v_lshlrev_b64 v[14:15], 2, v[14:15]
	v_lshlrev_b64 v[23:24], 2, v[23:24]
	v_add_co_ci_u32_e64 v20, null, s7, v20, vcc_lo
	v_add_co_u32 v21, vcc_lo, s14, v21
	v_add_co_ci_u32_e64 v22, null, s15, v22, vcc_lo
	v_add_co_u32 v14, vcc_lo, s14, v14
	;; [unrolled: 2-line block ×3, first 2 shown]
	v_add_co_ci_u32_e64 v24, null, s15, v24, vcc_lo
	s_clause 0x2
	global_load_dword v12, v[12:13], off
	global_load_dword v13, v[17:18], off
	;; [unrolled: 1-line block ×3, first 2 shown]
	s_clause 0x2
	global_load_dword v16, v[21:22], off
	global_load_dword v14, v[14:15], off
	global_load_dword v15, v[23:24], off
	global_load_dword v2, v[5:6], off
	s_andn2_b32 vcc_lo, exec_lo, s40
	s_cbranch_vccnz .LBB38_9
; %bb.8:                                ;   in Loop: Header=BB38_3 Depth=1
	v_mad_u64_u32 v[17:18], null, s41, v9, v[3:4]
	v_mul_lo_u32 v19, s41, v10
	v_mul_lo_u32 v20, s42, v9
	v_sub_co_u32 v21, vcc_lo, 1, v9
	v_sub_co_ci_u32_e64 v22, null, 0, v10, vcc_lo
	v_mul_lo_u32 v23, v17, s19
	v_mul_lo_u32 v24, s9, v21
	;; [unrolled: 1-line block ×3, first 2 shown]
	v_add3_u32 v26, v20, v18, v19
	v_mad_u64_u32 v[18:19], null, v17, s18, 0
	v_mul_lo_u32 v22, s8, v22
	v_mad_u64_u32 v[20:21], null, s8, v21, v[3:4]
	v_mul_lo_u32 v25, v26, s18
	v_mul_lo_u32 v35, v26, s22
	v_add3_u32 v30, v24, v21, v22
	v_mul_lo_u32 v27, v20, s19
	v_add3_u32 v19, v19, v23, v25
	v_sub_co_u32 v23, vcc_lo, 2, v9
	v_sub_co_ci_u32_e64 v24, null, 0, v10, vcc_lo
	v_mul_lo_u32 v25, v30, s18
	v_mad_u64_u32 v[21:22], null, v20, s18, 0
	v_mul_lo_u32 v28, s8, v24
	v_mul_lo_u32 v29, s9, v23
	v_mad_u64_u32 v[23:24], null, s8, v23, v[3:4]
	v_lshlrev_b64 v[18:19], 2, v[18:19]
	v_add3_u32 v22, v22, v27, v25
	v_mad_u64_u32 v[26:27], null, v17, s22, 0
	v_mul_lo_u32 v17, v30, s22
	v_add3_u32 v31, v29, v24, v28
	v_lshlrev_b64 v[21:22], 2, v[21:22]
	v_mul_lo_u32 v33, v23, s19
	v_mad_u64_u32 v[24:25], null, v23, s18, 0
	v_mul_lo_u32 v32, v31, s18
	v_add_co_u32 v18, vcc_lo, s2, v18
	v_add_co_ci_u32_e64 v19, null, s3, v19, vcc_lo
	v_add_co_u32 v28, vcc_lo, s2, v21
	v_mul_lo_u32 v30, v20, s23
	v_mad_u64_u32 v[20:21], null, v20, s22, 0
	v_add_co_ci_u32_e64 v29, null, s3, v22, vcc_lo
	v_add3_u32 v25, v25, v33, v32
	v_mul_lo_u32 v31, v31, s22
	v_mul_lo_u32 v32, v23, s23
	v_mad_u64_u32 v[22:23], null, v23, s22, 0
	v_add3_u32 v27, v27, v34, v35
	v_add3_u32 v21, v21, v30, v17
	v_lshlrev_b64 v[24:25], 2, v[24:25]
	v_lshlrev_b64 v[26:27], 2, v[26:27]
	v_add3_u32 v23, v23, v32, v31
	v_lshlrev_b64 v[20:21], 2, v[20:21]
	v_add_co_u32 v24, vcc_lo, s2, v24
	v_add_co_ci_u32_e64 v25, null, s3, v25, vcc_lo
	v_lshlrev_b64 v[22:23], 2, v[22:23]
	v_add_co_u32 v26, vcc_lo, s20, v26
	v_add_co_ci_u32_e64 v27, null, s21, v27, vcc_lo
	v_add_co_u32 v30, vcc_lo, s20, v20
	v_add_co_ci_u32_e64 v31, null, s21, v21, vcc_lo
	;; [unrolled: 2-line block ×3, first 2 shown]
	s_clause 0x2
	global_load_dword v22, v[18:19], off
	global_load_dword v17, v[28:29], off
	;; [unrolled: 1-line block ×3, first 2 shown]
	s_clause 0x2
	global_load_dword v21, v[26:27], off
	global_load_dword v18, v[30:31], off
	;; [unrolled: 1-line block ×3, first 2 shown]
	s_branch .LBB38_10
.LBB38_9:                               ;   in Loop: Header=BB38_3 Depth=1
	v_mov_b32_e32 v17, 0
	v_mov_b32_e32 v19, 0
	;; [unrolled: 1-line block ×6, first 2 shown]
.LBB38_10:                              ;   in Loop: Header=BB38_3 Depth=1
	s_waitcnt vmcnt(3)
	v_add_f32_e32 v12, v12, v16
	v_add_f32_e32 v12, v12, v22
	s_waitcnt vmcnt(2)
	v_add_f32_e32 v12, v21, v12
	v_mul_f32_e32 v16, 0xbfb8aa3b, v12
	v_cmp_nlt_f32_e32 vcc_lo, 0x42ce8ed0, v12
	v_fma_f32 v21, 0xbfb8aa3b, v12, -v16
	v_rndne_f32_e32 v22, v16
	v_fmac_f32_e32 v21, 0xb2a5705f, v12
	v_sub_f32_e32 v16, v16, v22
	v_add_f32_e32 v16, v16, v21
	v_cvt_i32_f32_e32 v21, v22
	v_exp_f32_e32 v16, v16
	v_ldexp_f32 v16, v16, v21
	v_cndmask_b32_e32 v16, 0, v16, vcc_lo
	v_cmp_ngt_f32_e32 vcc_lo, 0xc2b17218, v12
	v_cndmask_b32_e32 v12, 0x7f800000, v16, vcc_lo
	v_add_f32_e32 v12, 1.0, v12
	v_div_scale_f32 v16, null, v12, v12, 1.0
	v_div_scale_f32 v23, vcc_lo, 1.0, v12, 1.0
	v_rcp_f32_e32 v21, v16
	v_fma_f32 v22, -v16, v21, 1.0
	v_fmac_f32_e32 v21, v22, v21
	v_mul_f32_e32 v22, v23, v21
	v_fma_f32 v24, -v16, v22, v23
	v_fmac_f32_e32 v22, v24, v21
	v_fma_f32 v16, -v16, v22, v23
	v_div_fmas_f32 v21, v16, v21, v22
	v_add_f32_e32 v16, v11, v19
	s_waitcnt vmcnt(0)
	v_add_f32_e32 v11, v15, v20
                                        ; implicit-def: $vgpr15
	v_div_fixup_f32 v12, v21, v12, 1.0
	v_fmac_f32_e32 v16, v11, v12
	v_cmp_ngt_f32_e64 s0, 0x3f200000, |v16|
	s_and_saveexec_b32 s37, s0
	s_xor_b32 s0, exec_lo, s37
	s_cbranch_execz .LBB38_12
; %bb.11:                               ;   in Loop: Header=BB38_3 Depth=1
	v_add_f32_e64 v15, |v16|, |v16|
	v_mul_f32_e32 v19, 0x3fb8aa3b, v15
	v_cmp_ngt_f32_e32 vcc_lo, 0xc2ce8ed0, v15
	v_rndne_f32_e32 v20, v19
	v_fma_f32 v21, 0x3fb8aa3b, v15, -v19
	v_sub_f32_e32 v19, v19, v20
	v_fmac_f32_e32 v21, 0x32a5705f, v15
	v_cvt_i32_f32_e32 v20, v20
	v_add_f32_e32 v19, v19, v21
	v_exp_f32_e32 v19, v19
	v_ldexp_f32 v19, v19, v20
	v_cndmask_b32_e32 v19, 0, v19, vcc_lo
	v_cmp_nlt_f32_e32 vcc_lo, 0x42b17218, v15
	v_cndmask_b32_e32 v15, 0x7f800000, v19, vcc_lo
	v_add_f32_e32 v15, 1.0, v15
	v_rcp_f32_e32 v15, v15
	v_fma_f32 v15, v15, -2.0, 1.0
.LBB38_12:                              ;   in Loop: Header=BB38_3 Depth=1
	s_andn2_saveexec_b32 s0, s0
	s_cbranch_execz .LBB38_2
; %bb.13:                               ;   in Loop: Header=BB38_3 Depth=1
	v_mul_f32_e32 v15, v16, v16
	v_fmaak_f32 v19, s43, v15, 0x3ca908c9
	v_fmaak_f32 v19, v15, v19, 0xbd5c1c4e
	;; [unrolled: 1-line block ×4, first 2 shown]
	v_mul_f32_e64 v19, |v16|, v19
	v_fma_f32 v15, v15, v19, |v16|
	s_branch .LBB38_2
.LBB38_14:
	s_endpgm
	.section	.rodata,"a",@progbits
	.p2align	6, 0x0
	.amdhsa_kernel _ZN2at6native12_GLOBAL__N_16kernel16gru_cell_forwardIfflLi1EEEvNS_4cuda6detail10TensorInfoIT_T1_EES9_S9_S9_S9_S9_S9_S8_S8_
		.amdhsa_group_segment_fixed_size 0
		.amdhsa_private_segment_fixed_size 0
		.amdhsa_kernarg_size 3184
		.amdhsa_user_sgpr_count 6
		.amdhsa_user_sgpr_private_segment_buffer 1
		.amdhsa_user_sgpr_dispatch_ptr 0
		.amdhsa_user_sgpr_queue_ptr 0
		.amdhsa_user_sgpr_kernarg_segment_ptr 1
		.amdhsa_user_sgpr_dispatch_id 0
		.amdhsa_user_sgpr_flat_scratch_init 0
		.amdhsa_user_sgpr_private_segment_size 0
		.amdhsa_wavefront_size32 1
		.amdhsa_uses_dynamic_stack 0
		.amdhsa_system_sgpr_private_segment_wavefront_offset 0
		.amdhsa_system_sgpr_workgroup_id_x 1
		.amdhsa_system_sgpr_workgroup_id_y 0
		.amdhsa_system_sgpr_workgroup_id_z 0
		.amdhsa_system_sgpr_workgroup_info 0
		.amdhsa_system_vgpr_workitem_id 0
		.amdhsa_next_free_vgpr 37
		.amdhsa_next_free_sgpr 54
		.amdhsa_reserve_vcc 1
		.amdhsa_reserve_flat_scratch 0
		.amdhsa_float_round_mode_32 0
		.amdhsa_float_round_mode_16_64 0
		.amdhsa_float_denorm_mode_32 3
		.amdhsa_float_denorm_mode_16_64 3
		.amdhsa_dx10_clamp 1
		.amdhsa_ieee_mode 1
		.amdhsa_fp16_overflow 0
		.amdhsa_workgroup_processor_mode 1
		.amdhsa_memory_ordered 1
		.amdhsa_forward_progress 1
		.amdhsa_shared_vgpr_count 0
		.amdhsa_exception_fp_ieee_invalid_op 0
		.amdhsa_exception_fp_denorm_src 0
		.amdhsa_exception_fp_ieee_div_zero 0
		.amdhsa_exception_fp_ieee_overflow 0
		.amdhsa_exception_fp_ieee_underflow 0
		.amdhsa_exception_fp_ieee_inexact 0
		.amdhsa_exception_int_div_zero 0
	.end_amdhsa_kernel
	.section	.text._ZN2at6native12_GLOBAL__N_16kernel16gru_cell_forwardIfflLi1EEEvNS_4cuda6detail10TensorInfoIT_T1_EES9_S9_S9_S9_S9_S9_S8_S8_,"axG",@progbits,_ZN2at6native12_GLOBAL__N_16kernel16gru_cell_forwardIfflLi1EEEvNS_4cuda6detail10TensorInfoIT_T1_EES9_S9_S9_S9_S9_S9_S8_S8_,comdat
.Lfunc_end38:
	.size	_ZN2at6native12_GLOBAL__N_16kernel16gru_cell_forwardIfflLi1EEEvNS_4cuda6detail10TensorInfoIT_T1_EES9_S9_S9_S9_S9_S9_S8_S8_, .Lfunc_end38-_ZN2at6native12_GLOBAL__N_16kernel16gru_cell_forwardIfflLi1EEEvNS_4cuda6detail10TensorInfoIT_T1_EES9_S9_S9_S9_S9_S9_S8_S8_
                                        ; -- End function
	.set _ZN2at6native12_GLOBAL__N_16kernel16gru_cell_forwardIfflLi1EEEvNS_4cuda6detail10TensorInfoIT_T1_EES9_S9_S9_S9_S9_S9_S8_S8_.num_vgpr, 37
	.set _ZN2at6native12_GLOBAL__N_16kernel16gru_cell_forwardIfflLi1EEEvNS_4cuda6detail10TensorInfoIT_T1_EES9_S9_S9_S9_S9_S9_S8_S8_.num_agpr, 0
	.set _ZN2at6native12_GLOBAL__N_16kernel16gru_cell_forwardIfflLi1EEEvNS_4cuda6detail10TensorInfoIT_T1_EES9_S9_S9_S9_S9_S9_S8_S8_.numbered_sgpr, 54
	.set _ZN2at6native12_GLOBAL__N_16kernel16gru_cell_forwardIfflLi1EEEvNS_4cuda6detail10TensorInfoIT_T1_EES9_S9_S9_S9_S9_S9_S8_S8_.num_named_barrier, 0
	.set _ZN2at6native12_GLOBAL__N_16kernel16gru_cell_forwardIfflLi1EEEvNS_4cuda6detail10TensorInfoIT_T1_EES9_S9_S9_S9_S9_S9_S8_S8_.private_seg_size, 0
	.set _ZN2at6native12_GLOBAL__N_16kernel16gru_cell_forwardIfflLi1EEEvNS_4cuda6detail10TensorInfoIT_T1_EES9_S9_S9_S9_S9_S9_S8_S8_.uses_vcc, 1
	.set _ZN2at6native12_GLOBAL__N_16kernel16gru_cell_forwardIfflLi1EEEvNS_4cuda6detail10TensorInfoIT_T1_EES9_S9_S9_S9_S9_S9_S8_S8_.uses_flat_scratch, 0
	.set _ZN2at6native12_GLOBAL__N_16kernel16gru_cell_forwardIfflLi1EEEvNS_4cuda6detail10TensorInfoIT_T1_EES9_S9_S9_S9_S9_S9_S8_S8_.has_dyn_sized_stack, 0
	.set _ZN2at6native12_GLOBAL__N_16kernel16gru_cell_forwardIfflLi1EEEvNS_4cuda6detail10TensorInfoIT_T1_EES9_S9_S9_S9_S9_S9_S8_S8_.has_recursion, 0
	.set _ZN2at6native12_GLOBAL__N_16kernel16gru_cell_forwardIfflLi1EEEvNS_4cuda6detail10TensorInfoIT_T1_EES9_S9_S9_S9_S9_S9_S8_S8_.has_indirect_call, 0
	.section	.AMDGPU.csdata,"",@progbits
; Kernel info:
; codeLenInByte = 3416
; TotalNumSgprs: 56
; NumVgprs: 37
; ScratchSize: 0
; MemoryBound: 0
; FloatMode: 240
; IeeeMode: 1
; LDSByteSize: 0 bytes/workgroup (compile time only)
; SGPRBlocks: 0
; VGPRBlocks: 4
; NumSGPRsForWavesPerEU: 56
; NumVGPRsForWavesPerEU: 37
; Occupancy: 16
; WaveLimiterHint : 1
; COMPUTE_PGM_RSRC2:SCRATCH_EN: 0
; COMPUTE_PGM_RSRC2:USER_SGPR: 6
; COMPUTE_PGM_RSRC2:TRAP_HANDLER: 0
; COMPUTE_PGM_RSRC2:TGID_X_EN: 1
; COMPUTE_PGM_RSRC2:TGID_Y_EN: 0
; COMPUTE_PGM_RSRC2:TGID_Z_EN: 0
; COMPUTE_PGM_RSRC2:TIDIG_COMP_CNT: 0
	.section	.text._ZN2at6native12_GLOBAL__N_16kernel16gru_cell_forwardIfflLi2EEEvNS_4cuda6detail10TensorInfoIT_T1_EES9_S9_S9_S9_S9_S9_S8_S8_,"axG",@progbits,_ZN2at6native12_GLOBAL__N_16kernel16gru_cell_forwardIfflLi2EEEvNS_4cuda6detail10TensorInfoIT_T1_EES9_S9_S9_S9_S9_S9_S8_S8_,comdat
	.globl	_ZN2at6native12_GLOBAL__N_16kernel16gru_cell_forwardIfflLi2EEEvNS_4cuda6detail10TensorInfoIT_T1_EES9_S9_S9_S9_S9_S9_S8_S8_ ; -- Begin function _ZN2at6native12_GLOBAL__N_16kernel16gru_cell_forwardIfflLi2EEEvNS_4cuda6detail10TensorInfoIT_T1_EES9_S9_S9_S9_S9_S9_S8_S8_
	.p2align	8
	.type	_ZN2at6native12_GLOBAL__N_16kernel16gru_cell_forwardIfflLi2EEEvNS_4cuda6detail10TensorInfoIT_T1_EES9_S9_S9_S9_S9_S9_S8_S8_,@function
_ZN2at6native12_GLOBAL__N_16kernel16gru_cell_forwardIfflLi2EEEvNS_4cuda6detail10TensorInfoIT_T1_EES9_S9_S9_S9_S9_S9_S8_S8_: ; @_ZN2at6native12_GLOBAL__N_16kernel16gru_cell_forwardIfflLi2EEEvNS_4cuda6detail10TensorInfoIT_T1_EES9_S9_S9_S9_S9_S9_S8_S8_
; %bb.0:
	s_clause 0x1
	s_load_dword s2, s[4:5], 0xb7c
	s_load_dwordx4 s[8:11], s[4:5], 0xb60
	v_mov_b32_e32 v1, 0
	s_add_u32 s0, s4, 0xb70
	s_addc_u32 s1, s5, 0
	s_waitcnt lgkmcnt(0)
	s_and_b32 s33, s2, 0xffff
	s_mov_b32 s2, exec_lo
	v_mad_u64_u32 v[3:4], null, s6, s33, v[0:1]
	v_mov_b32_e32 v4, v1
	v_cmpx_gt_i64_e64 s[10:11], v[3:4]
	s_cbranch_execz .LBB39_66
; %bb.1:
	v_cvt_f32_u32_e32 v0, s8
	s_clause 0x4
	s_load_dwordx2 s[2:3], s[4:5], 0x0
	s_load_dwordx2 s[28:29], s[4:5], 0x10
	;; [unrolled: 1-line block ×3, first 2 shown]
	s_load_dwordx4 s[12:15], s[4:5], 0xd0
	s_load_dwordx2 s[34:35], s[4:5], 0x1a0
	s_load_dword s0, s[0:1], 0x0
	s_clause 0xd
	s_load_dwordx2 s[36:37], s[4:5], 0x1b0
	s_load_dwordx4 s[16:19], s[4:5], 0x270
	s_load_dwordx2 s[38:39], s[4:5], 0x410
	s_load_dwordx2 s[40:41], s[4:5], 0x4e0
	;; [unrolled: 1-line block ×5, first 2 shown]
	s_load_dwordx4 s[20:23], s[4:5], 0x750
	s_load_dwordx2 s[48:49], s[4:5], 0x820
	s_load_dwordx2 s[50:51], s[4:5], 0x830
	s_load_dwordx4 s[24:27], s[4:5], 0x8f0
	s_load_dwordx2 s[52:53], s[4:5], 0x9c0
	s_load_dwordx2 s[54:55], s[4:5], 0x9d0
	s_load_dwordx4 s[4:7], s[4:5], 0xa90
	s_mov_b32 s66, 0
	s_mov_b32 s73, 0xbbbac73d
	v_rcp_iflag_f32_e32 v0, v0
	s_waitcnt lgkmcnt(0)
	s_cmp_lg_u64 s[30:31], 0
	s_cselect_b32 s1, -1, 0
	s_lshl_b64 s[56:57], s[8:9], 1
	s_lshl_b64 s[58:59], s[8:9], 2
	s_sub_u32 s67, 0, s8
	s_subb_u32 s68, 0, s9
	v_mul_f32_e32 v0, 0x4f7ffffe, v0
	s_mul_i32 s33, s0, s33
	s_sub_u32 s69, 0, s46
	s_subb_u32 s70, 0, s47
	v_cvt_u32_f32_e32 v0, v0
	s_sub_u32 s71, 0, s50
	s_subb_u32 s72, 0, s51
	s_ashr_i32 s60, s9, 31
	s_branch .LBB39_3
.LBB39_2:                               ;   in Loop: Header=BB39_3 Depth=1
	s_or_b32 exec_lo, exec_lo, s0
	v_mul_lo_u32 v2, v8, s54
	v_mul_lo_u32 v11, v7, s55
	v_mad_u64_u32 v[9:10], null, v7, s54, 0
	v_mul_lo_u32 v12, v8, s4
	v_add3_u32 v2, v10, v11, v2
	v_sub_co_u32 v5, vcc_lo, v5, v9
	v_mul_lo_u32 v9, v7, s5
	v_sub_co_ci_u32_e64 v2, null, v6, v2, vcc_lo
	v_add_co_u32 v8, vcc_lo, v3, v5
	v_mad_u64_u32 v[5:6], null, v7, s4, 0
	v_add_co_ci_u32_e64 v2, null, v4, v2, vcc_lo
	v_mul_lo_u32 v10, v8, s7
	v_mad_u64_u32 v[7:8], null, v8, s6, 0
	v_mul_lo_u32 v2, v2, s6
	v_add3_u32 v6, v6, v9, v12
	v_add_co_u32 v3, vcc_lo, v3, s33
	v_add_co_ci_u32_e64 v4, null, 0, v4, vcc_lo
	v_lshlrev_b64 v[5:6], 2, v[5:6]
	v_add3_u32 v8, v8, v10, v2
	v_add_co_u32 v2, vcc_lo, s52, v5
	v_lshlrev_b64 v[7:8], 2, v[7:8]
	v_add_co_ci_u32_e64 v6, null, s53, v6, vcc_lo
	v_cmp_le_i64_e32 vcc_lo, s[10:11], v[3:4]
	v_add_co_u32 v5, s0, v2, v7
	v_add_co_ci_u32_e64 v6, null, v6, v8, s0
	s_or_b32 s66, vcc_lo, s66
	global_store_dword v[5:6], v14, off
	s_andn2_b32 exec_lo, exec_lo, s66
	s_cbranch_execz .LBB39_66
.LBB39_3:                               ; =>This Inner Loop Header: Depth=1
	v_or_b32_e32 v2, s9, v4
	v_ashrrev_i32_e32 v15, 31, v4
                                        ; implicit-def: $vgpr5_vgpr6
	s_mov_b32 s0, exec_lo
	v_cmpx_ne_u64_e32 0, v[1:2]
	s_xor_b32 s64, exec_lo, s0
	s_cbranch_execz .LBB39_5
; %bb.4:                                ;   in Loop: Header=BB39_3 Depth=1
	s_add_u32 s62, s8, s60
	s_mov_b32 s61, s60
	s_addc_u32 s63, s9, s60
	v_add_co_u32 v6, vcc_lo, v3, v15
	s_xor_b64 s[62:63], s[62:63], s[60:61]
	v_add_co_ci_u32_e64 v7, null, v4, v15, vcc_lo
	v_cvt_f32_u32_e32 v2, s62
	v_cvt_f32_u32_e32 v5, s63
	s_sub_u32 s65, 0, s62
	s_subb_u32 s74, 0, s63
	v_xor_b32_e32 v11, v7, v15
	v_fmac_f32_e32 v2, 0x4f800000, v5
	v_rcp_f32_e32 v2, v2
	v_mul_f32_e32 v2, 0x5f7ffffc, v2
	v_mul_f32_e32 v5, 0x2f800000, v2
	v_trunc_f32_e32 v5, v5
	v_fmac_f32_e32 v2, 0xcf800000, v5
	v_cvt_u32_f32_e32 v5, v5
	v_cvt_u32_f32_e32 v2, v2
	v_readfirstlane_b32 s0, v5
	v_readfirstlane_b32 s61, v2
	s_mul_i32 s75, s65, s0
	v_xor_b32_e32 v2, v6, v15
	s_mul_hi_u32 s77, s65, s61
	s_mul_i32 s76, s74, s61
	s_add_i32 s75, s77, s75
	s_mul_i32 s78, s65, s61
	s_add_i32 s75, s75, s76
	s_mul_hi_u32 s77, s61, s78
	s_mul_i32 s80, s61, s75
	s_mul_hi_u32 s79, s0, s78
	s_mul_i32 s76, s0, s78
	s_mul_hi_u32 s78, s61, s75
	s_add_u32 s77, s77, s80
	s_addc_u32 s78, 0, s78
	s_mul_hi_u32 s81, s0, s75
	s_add_u32 s76, s77, s76
	s_mul_i32 s75, s0, s75
	s_addc_u32 s76, s78, s79
	s_addc_u32 s77, s81, 0
	s_add_u32 s75, s76, s75
	s_addc_u32 s76, 0, s77
	s_add_u32 s61, s61, s75
	s_cselect_b32 s75, -1, 0
	s_mul_hi_u32 s77, s65, s61
	s_cmp_lg_u32 s75, 0
	s_mul_i32 s75, s65, s61
	s_addc_u32 s0, s0, s76
	s_mul_i32 s74, s74, s61
	s_mul_i32 s65, s65, s0
	s_mul_hi_u32 s76, s61, s75
	s_add_i32 s65, s77, s65
	s_mul_hi_u32 s77, s0, s75
	s_add_i32 s65, s65, s74
	s_mul_i32 s74, s0, s75
	s_mul_i32 s79, s61, s65
	s_mul_hi_u32 s78, s61, s65
	s_add_u32 s76, s76, s79
	s_addc_u32 s78, 0, s78
	s_mul_hi_u32 s75, s0, s65
	s_add_u32 s74, s76, s74
	s_mul_i32 s65, s0, s65
	s_addc_u32 s74, s78, s77
	s_addc_u32 s75, s75, 0
	s_add_u32 s65, s74, s65
	s_addc_u32 s74, 0, s75
	s_add_u32 s61, s61, s65
	s_cselect_b32 s65, -1, 0
	v_mul_hi_u32 v12, v2, s61
	s_cmp_lg_u32 s65, 0
	v_mad_u64_u32 v[7:8], null, v11, s61, 0
	s_addc_u32 s0, s0, s74
	v_mad_u64_u32 v[5:6], null, v2, s0, 0
	v_mad_u64_u32 v[9:10], null, v11, s0, 0
	v_add_co_u32 v5, vcc_lo, v12, v5
	v_add_co_ci_u32_e64 v6, null, 0, v6, vcc_lo
	v_add_co_u32 v5, vcc_lo, v5, v7
	v_add_co_ci_u32_e32 v5, vcc_lo, v6, v8, vcc_lo
	v_add_co_ci_u32_e32 v6, vcc_lo, 0, v10, vcc_lo
	v_add_co_u32 v7, vcc_lo, v5, v9
	v_add_co_ci_u32_e64 v8, null, 0, v6, vcc_lo
	v_mul_lo_u32 v9, s63, v7
	v_mad_u64_u32 v[5:6], null, s62, v7, 0
	v_mul_lo_u32 v10, s62, v8
	v_sub_co_u32 v2, vcc_lo, v2, v5
	v_add3_u32 v6, v6, v10, v9
	v_sub_nc_u32_e32 v9, v11, v6
	v_sub_co_ci_u32_e64 v6, null, v11, v6, vcc_lo
	v_subrev_co_ci_u32_e64 v5, null, s63, v9, vcc_lo
	v_add_co_u32 v9, s0, v7, 2
	v_add_co_ci_u32_e64 v10, null, 0, v8, s0
	v_sub_co_u32 v12, s0, v2, s62
	v_subrev_co_ci_u32_e64 v5, null, 0, v5, s0
	v_cmp_le_u32_e32 vcc_lo, s62, v12
	v_cndmask_b32_e64 v11, 0, -1, vcc_lo
	v_cmp_le_u32_e32 vcc_lo, s63, v5
	v_cndmask_b32_e64 v12, 0, -1, vcc_lo
	;; [unrolled: 2-line block ×4, first 2 shown]
	v_cmp_eq_u32_e32 vcc_lo, s63, v5
	v_cndmask_b32_e32 v5, v12, v11, vcc_lo
	v_add_co_u32 v11, vcc_lo, v7, 1
	v_add_co_ci_u32_e64 v12, null, 0, v8, vcc_lo
	v_cmp_eq_u32_e32 vcc_lo, s63, v6
	v_xor_b32_e32 v6, s60, v15
	v_cndmask_b32_e32 v2, v13, v2, vcc_lo
	v_cmp_ne_u32_e32 vcc_lo, 0, v5
	v_cmp_ne_u32_e64 s0, 0, v2
	v_cndmask_b32_e32 v2, v11, v9, vcc_lo
	v_cndmask_b32_e32 v5, v12, v10, vcc_lo
	v_cndmask_b32_e64 v2, v7, v2, s0
	v_cndmask_b32_e64 v5, v8, v5, s0
	v_xor_b32_e32 v2, v2, v6
	v_xor_b32_e32 v7, v5, v6
	v_sub_co_u32 v5, vcc_lo, v2, v6
	v_sub_co_ci_u32_e64 v6, null, v7, v6, vcc_lo
.LBB39_5:                               ;   in Loop: Header=BB39_3 Depth=1
	s_andn2_saveexec_b32 s0, s64
	s_cbranch_execz .LBB39_7
; %bb.6:                                ;   in Loop: Header=BB39_3 Depth=1
	s_sub_i32 s61, 0, s8
	v_mul_lo_u32 v2, s61, v0
	v_mul_hi_u32 v2, v0, v2
	v_add_nc_u32_e32 v2, v0, v2
	v_mul_hi_u32 v2, v3, v2
	v_mul_lo_u32 v5, v2, s8
	v_add_nc_u32_e32 v6, 1, v2
	v_sub_nc_u32_e32 v5, v3, v5
	v_subrev_nc_u32_e32 v7, s8, v5
	v_cmp_le_u32_e32 vcc_lo, s8, v5
	v_cndmask_b32_e32 v5, v5, v7, vcc_lo
	v_cndmask_b32_e32 v2, v2, v6, vcc_lo
	v_cmp_le_u32_e32 vcc_lo, s8, v5
	v_add_nc_u32_e32 v6, 1, v2
	v_cndmask_b32_e32 v5, v2, v6, vcc_lo
	v_mov_b32_e32 v6, v1
.LBB39_7:                               ;   in Loop: Header=BB39_3 Depth=1
	s_or_b32 exec_lo, exec_lo, s0
	v_mul_lo_u32 v2, s57, v5
	v_mul_lo_u32 v9, s56, v6
	v_mad_u64_u32 v[7:8], null, s56, v5, 0
	s_mov_b32 s0, exec_lo
	v_add3_u32 v8, v8, v9, v2
	v_add_co_u32 v22, vcc_lo, v3, v7
                                        ; implicit-def: $vgpr9_vgpr10
	v_add_co_ci_u32_e64 v25, null, v4, v8, vcc_lo
	v_or_b32_e32 v2, s29, v25
	v_ashrrev_i32_e32 v19, 31, v25
	v_cmpx_ne_u64_e32 0, v[1:2]
	s_xor_b32 s61, exec_lo, s0
	s_cbranch_execz .LBB39_9
; %bb.8:                                ;   in Loop: Header=BB39_3 Depth=1
	s_ashr_i32 s62, s29, 31
	v_add_co_u32 v10, vcc_lo, v22, v19
	s_add_u32 s64, s28, s62
	s_mov_b32 s63, s62
	s_addc_u32 s65, s29, s62
	v_add_co_ci_u32_e64 v11, null, v25, v19, vcc_lo
	s_xor_b64 s[64:65], s[64:65], s[62:63]
	v_cvt_f32_u32_e32 v2, s64
	v_cvt_f32_u32_e32 v9, s65
	s_sub_u32 s74, 0, s64
	s_subb_u32 s75, 0, s65
	v_xor_b32_e32 v16, v11, v19
	v_fmac_f32_e32 v2, 0x4f800000, v9
	v_rcp_f32_e32 v2, v2
	v_mul_f32_e32 v2, 0x5f7ffffc, v2
	v_mul_f32_e32 v9, 0x2f800000, v2
	v_trunc_f32_e32 v9, v9
	v_fmac_f32_e32 v2, 0xcf800000, v9
	v_cvt_u32_f32_e32 v9, v9
	v_cvt_u32_f32_e32 v2, v2
	v_readfirstlane_b32 s0, v9
	v_readfirstlane_b32 s63, v2
	s_mul_i32 s76, s74, s0
	v_xor_b32_e32 v2, v10, v19
	s_mul_hi_u32 s78, s74, s63
	s_mul_i32 s77, s75, s63
	s_add_i32 s76, s78, s76
	s_mul_i32 s79, s74, s63
	s_add_i32 s76, s76, s77
	s_mul_hi_u32 s78, s63, s79
	s_mul_i32 s81, s63, s76
	s_mul_hi_u32 s80, s0, s79
	s_mul_i32 s77, s0, s79
	s_mul_hi_u32 s79, s63, s76
	s_add_u32 s78, s78, s81
	s_addc_u32 s79, 0, s79
	s_mul_hi_u32 s82, s0, s76
	s_add_u32 s77, s78, s77
	s_mul_i32 s76, s0, s76
	s_addc_u32 s77, s79, s80
	s_addc_u32 s78, s82, 0
	s_add_u32 s76, s77, s76
	s_addc_u32 s77, 0, s78
	s_add_u32 s63, s63, s76
	s_cselect_b32 s76, -1, 0
	s_mul_hi_u32 s78, s74, s63
	s_cmp_lg_u32 s76, 0
	s_mul_i32 s76, s74, s63
	s_addc_u32 s0, s0, s77
	s_mul_i32 s75, s75, s63
	s_mul_i32 s74, s74, s0
	s_mul_hi_u32 s77, s63, s76
	s_add_i32 s74, s78, s74
	s_mul_hi_u32 s78, s0, s76
	s_add_i32 s74, s74, s75
	s_mul_i32 s75, s0, s76
	s_mul_i32 s80, s63, s74
	s_mul_hi_u32 s79, s63, s74
	s_add_u32 s77, s77, s80
	s_addc_u32 s79, 0, s79
	s_mul_hi_u32 s76, s0, s74
	s_add_u32 s75, s77, s75
	s_mul_i32 s74, s0, s74
	s_addc_u32 s75, s79, s78
	s_addc_u32 s76, s76, 0
	s_add_u32 s74, s75, s74
	s_addc_u32 s75, 0, s76
	s_add_u32 s63, s63, s74
	s_cselect_b32 s74, -1, 0
	v_mul_hi_u32 v17, v2, s63
	s_cmp_lg_u32 s74, 0
	v_mad_u64_u32 v[11:12], null, v16, s63, 0
	s_addc_u32 s0, s0, s75
	v_mad_u64_u32 v[9:10], null, v2, s0, 0
	v_mad_u64_u32 v[13:14], null, v16, s0, 0
	v_add_co_u32 v9, vcc_lo, v17, v9
	v_add_co_ci_u32_e64 v10, null, 0, v10, vcc_lo
	v_add_co_u32 v9, vcc_lo, v9, v11
	v_add_co_ci_u32_e32 v9, vcc_lo, v10, v12, vcc_lo
	v_add_co_ci_u32_e32 v10, vcc_lo, 0, v14, vcc_lo
	v_add_co_u32 v11, vcc_lo, v9, v13
	v_add_co_ci_u32_e64 v12, null, 0, v10, vcc_lo
	v_mul_lo_u32 v13, s65, v11
	v_mad_u64_u32 v[9:10], null, s64, v11, 0
	v_mul_lo_u32 v14, s64, v12
	v_sub_co_u32 v2, vcc_lo, v2, v9
	v_add3_u32 v10, v10, v14, v13
	v_sub_nc_u32_e32 v13, v16, v10
	v_sub_co_ci_u32_e64 v10, null, v16, v10, vcc_lo
	v_subrev_co_ci_u32_e64 v9, null, s65, v13, vcc_lo
	v_add_co_u32 v13, s0, v11, 2
	v_add_co_ci_u32_e64 v14, null, 0, v12, s0
	v_sub_co_u32 v17, s0, v2, s64
	v_subrev_co_ci_u32_e64 v9, null, 0, v9, s0
	v_cmp_le_u32_e32 vcc_lo, s64, v17
	v_cndmask_b32_e64 v16, 0, -1, vcc_lo
	v_cmp_le_u32_e32 vcc_lo, s65, v9
	v_cndmask_b32_e64 v17, 0, -1, vcc_lo
	;; [unrolled: 2-line block ×4, first 2 shown]
	v_cmp_eq_u32_e32 vcc_lo, s65, v9
	v_cndmask_b32_e32 v9, v17, v16, vcc_lo
	v_add_co_u32 v16, vcc_lo, v11, 1
	v_add_co_ci_u32_e64 v17, null, 0, v12, vcc_lo
	v_cmp_eq_u32_e32 vcc_lo, s65, v10
	v_xor_b32_e32 v10, s62, v19
	v_cndmask_b32_e32 v2, v18, v2, vcc_lo
	v_cmp_ne_u32_e32 vcc_lo, 0, v9
	v_cmp_ne_u32_e64 s0, 0, v2
	v_cndmask_b32_e32 v2, v16, v13, vcc_lo
	v_cndmask_b32_e32 v9, v17, v14, vcc_lo
	v_cndmask_b32_e64 v2, v11, v2, s0
	v_cndmask_b32_e64 v9, v12, v9, s0
	v_xor_b32_e32 v2, v2, v10
	v_xor_b32_e32 v11, v9, v10
	v_sub_co_u32 v9, vcc_lo, v2, v10
	v_sub_co_ci_u32_e64 v10, null, v11, v10, vcc_lo
.LBB39_9:                               ;   in Loop: Header=BB39_3 Depth=1
	s_or_saveexec_b32 s0, s61
	v_cvt_f32_u32_e32 v18, s28
	s_xor_b32 exec_lo, exec_lo, s0
	s_cbranch_execz .LBB39_11
; %bb.10:                               ;   in Loop: Header=BB39_3 Depth=1
	v_rcp_iflag_f32_e32 v2, v18
	s_sub_i32 s61, 0, s28
	v_mul_f32_e32 v2, 0x4f7ffffe, v2
	v_cvt_u32_f32_e32 v2, v2
	v_mul_lo_u32 v9, s61, v2
	v_mul_hi_u32 v9, v2, v9
	v_add_nc_u32_e32 v2, v2, v9
	v_mul_hi_u32 v2, v22, v2
	v_mul_lo_u32 v9, v2, s28
	v_add_nc_u32_e32 v10, 1, v2
	v_sub_nc_u32_e32 v9, v22, v9
	v_subrev_nc_u32_e32 v11, s28, v9
	v_cmp_le_u32_e32 vcc_lo, s28, v9
	v_cndmask_b32_e32 v9, v9, v11, vcc_lo
	v_cndmask_b32_e32 v2, v2, v10, vcc_lo
	v_cmp_le_u32_e32 vcc_lo, s28, v9
	v_add_nc_u32_e32 v10, 1, v2
	v_cndmask_b32_e32 v9, v2, v10, vcc_lo
	v_mov_b32_e32 v10, v1
.LBB39_11:                              ;   in Loop: Header=BB39_3 Depth=1
	s_or_b32 exec_lo, exec_lo, s0
	v_mul_lo_u32 v2, v10, s28
	v_mul_lo_u32 v13, v9, s29
	v_mad_u64_u32 v[11:12], null, v9, s28, 0
	v_mul_lo_u32 v14, v9, s13
	s_mov_b32 s0, exec_lo
	v_add3_u32 v2, v12, v13, v2
	v_mul_lo_u32 v13, v10, s12
	v_sub_co_u32 v10, vcc_lo, v7, v11
	v_sub_co_ci_u32_e64 v2, null, v8, v2, vcc_lo
	v_add_co_u32 v11, vcc_lo, v3, v10
	v_mad_u64_u32 v[9:10], null, v9, s12, 0
	v_add_co_ci_u32_e64 v2, null, v4, v2, vcc_lo
	v_mul_lo_u32 v16, v11, s15
	v_mad_u64_u32 v[11:12], null, v11, s14, 0
	v_mul_lo_u32 v2, v2, s14
	v_add3_u32 v10, v10, v14, v13
	v_lshlrev_b64 v[9:10], 2, v[9:10]
	v_add3_u32 v12, v12, v16, v2
	v_add_co_u32 v2, vcc_lo, s2, v9
	v_lshlrev_b64 v[11:12], 2, v[11:12]
	v_add_co_ci_u32_e64 v10, null, s3, v10, vcc_lo
	v_add_co_u32 v9, vcc_lo, v2, v11
	v_add_co_ci_u32_e64 v10, null, v10, v12, vcc_lo
	v_lshlrev_b64 v[11:12], 1, v[5:6]
	v_alignbit_b32 v2, v6, v5, 31
	global_load_dword v16, v[9:10], off
	v_mul_lo_u32 v2, s8, v2
	v_mul_lo_u32 v13, s9, v11
	v_mad_u64_u32 v[9:10], null, s8, v11, s[8:9]
	v_add3_u32 v10, v13, v10, v2
	v_add_co_u32 v23, vcc_lo, v3, v9
                                        ; implicit-def: $vgpr13_vgpr14
	v_add_co_ci_u32_e64 v26, null, v4, v10, vcc_lo
	v_or_b32_e32 v2, s29, v26
	v_ashrrev_i32_e32 v20, 31, v26
	v_cmpx_ne_u64_e32 0, v[1:2]
	s_xor_b32 s61, exec_lo, s0
	s_cbranch_execz .LBB39_13
; %bb.12:                               ;   in Loop: Header=BB39_3 Depth=1
	s_ashr_i32 s62, s29, 31
	v_add_co_u32 v14, vcc_lo, v23, v20
	s_add_u32 s64, s28, s62
	s_mov_b32 s63, s62
	s_addc_u32 s65, s29, s62
	v_add_co_ci_u32_e64 v17, null, v26, v20, vcc_lo
	s_xor_b64 s[64:65], s[64:65], s[62:63]
	v_cvt_f32_u32_e32 v2, s64
	v_cvt_f32_u32_e32 v13, s65
	s_sub_u32 s74, 0, s64
	s_subb_u32 s75, 0, s65
	v_xor_b32_e32 v17, v17, v20
	v_fmac_f32_e32 v2, 0x4f800000, v13
	v_rcp_f32_e32 v2, v2
	v_mul_f32_e32 v2, 0x5f7ffffc, v2
	v_mul_f32_e32 v13, 0x2f800000, v2
	v_trunc_f32_e32 v13, v13
	v_fmac_f32_e32 v2, 0xcf800000, v13
	v_cvt_u32_f32_e32 v13, v13
	v_cvt_u32_f32_e32 v2, v2
	v_readfirstlane_b32 s0, v13
	v_readfirstlane_b32 s63, v2
	s_mul_i32 s76, s74, s0
	v_xor_b32_e32 v2, v14, v20
	s_mul_hi_u32 s78, s74, s63
	s_mul_i32 s77, s75, s63
	s_add_i32 s76, s78, s76
	s_mul_i32 s79, s74, s63
	s_add_i32 s76, s76, s77
	s_mul_hi_u32 s78, s63, s79
	s_mul_i32 s81, s63, s76
	s_mul_hi_u32 s80, s0, s79
	s_mul_i32 s77, s0, s79
	s_mul_hi_u32 s79, s63, s76
	s_add_u32 s78, s78, s81
	s_addc_u32 s79, 0, s79
	s_mul_hi_u32 s82, s0, s76
	s_add_u32 s77, s78, s77
	s_mul_i32 s76, s0, s76
	s_addc_u32 s77, s79, s80
	s_addc_u32 s78, s82, 0
	s_add_u32 s76, s77, s76
	s_addc_u32 s77, 0, s78
	s_add_u32 s63, s63, s76
	s_cselect_b32 s76, -1, 0
	s_mul_hi_u32 s78, s74, s63
	s_cmp_lg_u32 s76, 0
	s_mul_i32 s76, s74, s63
	s_addc_u32 s0, s0, s77
	s_mul_i32 s75, s75, s63
	s_mul_i32 s74, s74, s0
	s_mul_hi_u32 s77, s63, s76
	s_add_i32 s74, s78, s74
	s_mul_hi_u32 s78, s0, s76
	s_add_i32 s74, s74, s75
	s_mul_i32 s75, s0, s76
	s_mul_i32 s80, s63, s74
	s_mul_hi_u32 s79, s63, s74
	s_add_u32 s77, s77, s80
	s_addc_u32 s79, 0, s79
	s_mul_hi_u32 s76, s0, s74
	s_add_u32 s75, s77, s75
	s_mul_i32 s74, s0, s74
	s_addc_u32 s75, s79, s78
	s_addc_u32 s76, s76, 0
	s_add_u32 s74, s75, s74
	s_addc_u32 s75, 0, s76
	s_add_u32 s63, s63, s74
	s_cselect_b32 s74, -1, 0
	v_mul_hi_u32 v21, v2, s63
	s_cmp_lg_u32 s74, 0
	v_mad_u64_u32 v[27:28], null, v17, s63, 0
	s_addc_u32 s0, s0, s75
	v_mad_u64_u32 v[13:14], null, v2, s0, 0
	v_mad_u64_u32 v[29:30], null, v17, s0, 0
	v_add_co_u32 v13, vcc_lo, v21, v13
	v_add_co_ci_u32_e64 v14, null, 0, v14, vcc_lo
	v_add_co_u32 v13, vcc_lo, v13, v27
	v_add_co_ci_u32_e32 v13, vcc_lo, v14, v28, vcc_lo
	v_add_co_ci_u32_e32 v14, vcc_lo, 0, v30, vcc_lo
	v_add_co_u32 v21, vcc_lo, v13, v29
	v_add_co_ci_u32_e64 v24, null, 0, v14, vcc_lo
	v_mul_lo_u32 v27, s65, v21
	v_mad_u64_u32 v[13:14], null, s64, v21, 0
	v_mul_lo_u32 v28, s64, v24
	v_sub_co_u32 v2, vcc_lo, v2, v13
	v_add3_u32 v14, v14, v28, v27
	v_sub_nc_u32_e32 v27, v17, v14
	v_sub_co_ci_u32_e64 v14, null, v17, v14, vcc_lo
	v_subrev_co_ci_u32_e64 v13, null, s65, v27, vcc_lo
	v_add_co_u32 v27, s0, v21, 2
	v_add_co_ci_u32_e64 v28, null, 0, v24, s0
	v_sub_co_u32 v29, s0, v2, s64
	v_subrev_co_ci_u32_e64 v13, null, 0, v13, s0
	v_cmp_le_u32_e32 vcc_lo, s64, v29
	v_cndmask_b32_e64 v17, 0, -1, vcc_lo
	v_cmp_le_u32_e32 vcc_lo, s65, v13
	v_cndmask_b32_e64 v29, 0, -1, vcc_lo
	;; [unrolled: 2-line block ×4, first 2 shown]
	v_cmp_eq_u32_e32 vcc_lo, s65, v13
	v_cndmask_b32_e32 v13, v29, v17, vcc_lo
	v_add_co_u32 v17, vcc_lo, v21, 1
	v_add_co_ci_u32_e64 v29, null, 0, v24, vcc_lo
	v_cmp_eq_u32_e32 vcc_lo, s65, v14
	v_xor_b32_e32 v14, s62, v20
	v_cndmask_b32_e32 v2, v30, v2, vcc_lo
	v_cmp_ne_u32_e32 vcc_lo, 0, v13
	v_cmp_ne_u32_e64 s0, 0, v2
	v_cndmask_b32_e32 v2, v17, v27, vcc_lo
	v_cndmask_b32_e32 v13, v29, v28, vcc_lo
	v_cndmask_b32_e64 v2, v21, v2, s0
	v_cndmask_b32_e64 v13, v24, v13, s0
	v_xor_b32_e32 v2, v2, v14
	v_xor_b32_e32 v17, v13, v14
	v_sub_co_u32 v13, vcc_lo, v2, v14
	v_sub_co_ci_u32_e64 v14, null, v17, v14, vcc_lo
.LBB39_13:                              ;   in Loop: Header=BB39_3 Depth=1
	s_andn2_saveexec_b32 s0, s61
	s_cbranch_execz .LBB39_15
; %bb.14:                               ;   in Loop: Header=BB39_3 Depth=1
	v_rcp_iflag_f32_e32 v2, v18
	s_sub_i32 s61, 0, s28
	v_mul_f32_e32 v2, 0x4f7ffffe, v2
	v_cvt_u32_f32_e32 v2, v2
	v_mul_lo_u32 v13, s61, v2
	v_mul_hi_u32 v13, v2, v13
	v_add_nc_u32_e32 v2, v2, v13
	v_mul_hi_u32 v2, v23, v2
	v_mul_lo_u32 v13, v2, s28
	v_add_nc_u32_e32 v14, 1, v2
	v_sub_nc_u32_e32 v13, v23, v13
	v_subrev_nc_u32_e32 v17, s28, v13
	v_cmp_le_u32_e32 vcc_lo, s28, v13
	v_cndmask_b32_e32 v13, v13, v17, vcc_lo
	v_cndmask_b32_e32 v2, v2, v14, vcc_lo
	v_cmp_le_u32_e32 vcc_lo, s28, v13
	v_add_nc_u32_e32 v14, 1, v2
	v_cndmask_b32_e32 v13, v2, v14, vcc_lo
	v_mov_b32_e32 v14, v1
.LBB39_15:                              ;   in Loop: Header=BB39_3 Depth=1
	s_or_b32 exec_lo, exec_lo, s0
	v_mul_lo_u32 v2, v14, s28
	v_mul_lo_u32 v17, v13, s29
	v_mad_u64_u32 v[27:28], null, v13, s28, 0
	v_mul_lo_u32 v21, v13, s13
	s_mov_b32 s0, exec_lo
	v_add3_u32 v2, v28, v17, v2
	v_mul_lo_u32 v17, v14, s12
	v_sub_co_u32 v14, vcc_lo, v9, v27
	v_sub_co_ci_u32_e64 v2, null, v10, v2, vcc_lo
	v_add_co_u32 v24, vcc_lo, v3, v14
	v_mad_u64_u32 v[13:14], null, v13, s12, 0
	v_add_co_ci_u32_e64 v2, null, v4, v2, vcc_lo
	v_mul_lo_u32 v29, v24, s15
	v_mad_u64_u32 v[27:28], null, v24, s14, 0
	v_mul_lo_u32 v2, v2, s14
	v_add3_u32 v14, v14, v21, v17
	v_lshlrev_b64 v[13:14], 2, v[13:14]
	v_add3_u32 v28, v28, v29, v2
	v_add_co_u32 v2, vcc_lo, s2, v13
	v_lshlrev_b64 v[27:28], 2, v[27:28]
	v_add_co_ci_u32_e64 v14, null, s3, v14, vcc_lo
	v_add_co_u32 v13, vcc_lo, v2, v27
	v_add_co_ci_u32_e64 v14, null, v14, v28, vcc_lo
	v_add_co_u32 v2, vcc_lo, v11, 2
	v_add_co_ci_u32_e64 v11, null, 0, v12, vcc_lo
	global_load_dword v17, v[13:14], off
	v_mul_lo_u32 v13, s9, v2
	v_mul_lo_u32 v14, s8, v11
	v_mad_u64_u32 v[11:12], null, s8, v2, 0
	v_add3_u32 v12, v12, v14, v13
	v_add_co_u32 v24, vcc_lo, v3, v11
                                        ; implicit-def: $vgpr13_vgpr14
	v_add_co_ci_u32_e64 v27, null, v4, v12, vcc_lo
	v_or_b32_e32 v2, s29, v27
	v_ashrrev_i32_e32 v21, 31, v27
	v_cmpx_ne_u64_e32 0, v[1:2]
	s_xor_b32 s61, exec_lo, s0
	s_cbranch_execz .LBB39_17
; %bb.16:                               ;   in Loop: Header=BB39_3 Depth=1
	s_ashr_i32 s62, s29, 31
	v_add_co_u32 v14, vcc_lo, v24, v21
	s_add_u32 s64, s28, s62
	s_mov_b32 s63, s62
	s_addc_u32 s65, s29, s62
	v_add_co_ci_u32_e64 v18, null, v27, v21, vcc_lo
	s_xor_b64 s[64:65], s[64:65], s[62:63]
	v_cvt_f32_u32_e32 v2, s64
	v_cvt_f32_u32_e32 v13, s65
	s_sub_u32 s74, 0, s64
	s_subb_u32 s75, 0, s65
	v_xor_b32_e32 v18, v18, v21
	v_fmac_f32_e32 v2, 0x4f800000, v13
	v_rcp_f32_e32 v2, v2
	v_mul_f32_e32 v2, 0x5f7ffffc, v2
	v_mul_f32_e32 v13, 0x2f800000, v2
	v_trunc_f32_e32 v13, v13
	v_fmac_f32_e32 v2, 0xcf800000, v13
	v_cvt_u32_f32_e32 v13, v13
	v_cvt_u32_f32_e32 v2, v2
	v_readfirstlane_b32 s0, v13
	v_readfirstlane_b32 s63, v2
	s_mul_i32 s76, s74, s0
	v_xor_b32_e32 v2, v14, v21
	s_mul_hi_u32 s78, s74, s63
	s_mul_i32 s77, s75, s63
	s_add_i32 s76, s78, s76
	s_mul_i32 s79, s74, s63
	s_add_i32 s76, s76, s77
	s_mul_hi_u32 s78, s63, s79
	s_mul_i32 s81, s63, s76
	s_mul_hi_u32 s80, s0, s79
	s_mul_i32 s77, s0, s79
	s_mul_hi_u32 s79, s63, s76
	s_add_u32 s78, s78, s81
	s_addc_u32 s79, 0, s79
	s_mul_hi_u32 s82, s0, s76
	s_add_u32 s77, s78, s77
	s_mul_i32 s76, s0, s76
	s_addc_u32 s77, s79, s80
	s_addc_u32 s78, s82, 0
	s_add_u32 s76, s77, s76
	s_addc_u32 s77, 0, s78
	s_add_u32 s63, s63, s76
	s_cselect_b32 s76, -1, 0
	s_mul_hi_u32 s78, s74, s63
	s_cmp_lg_u32 s76, 0
	s_mul_i32 s76, s74, s63
	s_addc_u32 s0, s0, s77
	s_mul_i32 s75, s75, s63
	s_mul_i32 s74, s74, s0
	s_mul_hi_u32 s77, s63, s76
	s_add_i32 s74, s78, s74
	s_mul_hi_u32 s78, s0, s76
	s_add_i32 s74, s74, s75
	s_mul_i32 s75, s0, s76
	s_mul_i32 s80, s63, s74
	s_mul_hi_u32 s79, s63, s74
	s_add_u32 s77, s77, s80
	s_addc_u32 s79, 0, s79
	s_mul_hi_u32 s76, s0, s74
	s_add_u32 s75, s77, s75
	s_mul_i32 s74, s0, s74
	s_addc_u32 s75, s79, s78
	s_addc_u32 s76, s76, 0
	s_add_u32 s74, s75, s74
	s_addc_u32 s75, 0, s76
	s_add_u32 s63, s63, s74
	s_cselect_b32 s74, -1, 0
	v_mul_hi_u32 v32, v2, s63
	s_cmp_lg_u32 s74, 0
	v_mad_u64_u32 v[28:29], null, v18, s63, 0
	s_addc_u32 s0, s0, s75
	v_mad_u64_u32 v[13:14], null, v2, s0, 0
	v_mad_u64_u32 v[30:31], null, v18, s0, 0
	v_add_co_u32 v13, vcc_lo, v32, v13
	v_add_co_ci_u32_e64 v14, null, 0, v14, vcc_lo
	v_add_co_u32 v13, vcc_lo, v13, v28
	v_add_co_ci_u32_e32 v13, vcc_lo, v14, v29, vcc_lo
	v_add_co_ci_u32_e32 v14, vcc_lo, 0, v31, vcc_lo
	v_add_co_u32 v28, vcc_lo, v13, v30
	v_add_co_ci_u32_e64 v29, null, 0, v14, vcc_lo
	v_mul_lo_u32 v30, s65, v28
	v_mad_u64_u32 v[13:14], null, s64, v28, 0
	v_mul_lo_u32 v31, s64, v29
	v_sub_co_u32 v2, vcc_lo, v2, v13
	v_add3_u32 v14, v14, v31, v30
	v_sub_nc_u32_e32 v30, v18, v14
	v_sub_co_ci_u32_e64 v14, null, v18, v14, vcc_lo
	v_subrev_co_ci_u32_e64 v13, null, s65, v30, vcc_lo
	v_add_co_u32 v30, s0, v28, 2
	v_add_co_ci_u32_e64 v31, null, 0, v29, s0
	v_sub_co_u32 v32, s0, v2, s64
	v_subrev_co_ci_u32_e64 v13, null, 0, v13, s0
	v_cmp_le_u32_e32 vcc_lo, s64, v32
	v_cndmask_b32_e64 v18, 0, -1, vcc_lo
	v_cmp_le_u32_e32 vcc_lo, s65, v13
	v_cndmask_b32_e64 v32, 0, -1, vcc_lo
	;; [unrolled: 2-line block ×4, first 2 shown]
	v_cmp_eq_u32_e32 vcc_lo, s65, v13
	v_cndmask_b32_e32 v13, v32, v18, vcc_lo
	v_add_co_u32 v18, vcc_lo, v28, 1
	v_add_co_ci_u32_e64 v32, null, 0, v29, vcc_lo
	v_cmp_eq_u32_e32 vcc_lo, s65, v14
	v_xor_b32_e32 v14, s62, v21
	v_cndmask_b32_e32 v2, v33, v2, vcc_lo
	v_cmp_ne_u32_e32 vcc_lo, 0, v13
	v_cmp_ne_u32_e64 s0, 0, v2
	v_cndmask_b32_e32 v2, v18, v30, vcc_lo
	v_cndmask_b32_e32 v13, v32, v31, vcc_lo
	v_cndmask_b32_e64 v2, v28, v2, s0
	v_cndmask_b32_e64 v13, v29, v13, s0
	v_xor_b32_e32 v2, v2, v14
	v_xor_b32_e32 v18, v13, v14
	v_sub_co_u32 v13, vcc_lo, v2, v14
	v_sub_co_ci_u32_e64 v14, null, v18, v14, vcc_lo
                                        ; implicit-def: $vgpr18
.LBB39_17:                              ;   in Loop: Header=BB39_3 Depth=1
	s_andn2_saveexec_b32 s0, s61
	s_cbranch_execz .LBB39_19
; %bb.18:                               ;   in Loop: Header=BB39_3 Depth=1
	v_rcp_iflag_f32_e32 v2, v18
	s_sub_i32 s61, 0, s28
	v_mul_f32_e32 v2, 0x4f7ffffe, v2
	v_cvt_u32_f32_e32 v2, v2
	v_mul_lo_u32 v13, s61, v2
	v_mul_hi_u32 v13, v2, v13
	v_add_nc_u32_e32 v2, v2, v13
	v_mul_hi_u32 v2, v24, v2
	v_mul_lo_u32 v13, v2, s28
	v_add_nc_u32_e32 v14, 1, v2
	v_sub_nc_u32_e32 v13, v24, v13
	v_subrev_nc_u32_e32 v18, s28, v13
	v_cmp_le_u32_e32 vcc_lo, s28, v13
	v_cndmask_b32_e32 v13, v13, v18, vcc_lo
	v_cndmask_b32_e32 v2, v2, v14, vcc_lo
	v_cmp_le_u32_e32 vcc_lo, s28, v13
	v_add_nc_u32_e32 v14, 1, v2
	v_cndmask_b32_e32 v13, v2, v14, vcc_lo
	v_mov_b32_e32 v14, v1
.LBB39_19:                              ;   in Loop: Header=BB39_3 Depth=1
	s_or_b32 exec_lo, exec_lo, s0
	v_mul_lo_u32 v2, v14, s28
	v_mul_lo_u32 v18, v13, s29
	v_mad_u64_u32 v[28:29], null, v13, s28, 0
	v_mul_lo_u32 v30, v13, s13
	s_mov_b32 s0, exec_lo
	v_add3_u32 v2, v29, v18, v2
	v_mul_lo_u32 v18, v14, s12
	v_sub_co_u32 v14, vcc_lo, v11, v28
	v_sub_co_ci_u32_e64 v2, null, v12, v2, vcc_lo
	v_add_co_u32 v28, vcc_lo, v3, v14
	v_mad_u64_u32 v[13:14], null, v13, s12, 0
	v_add_co_ci_u32_e64 v2, null, v4, v2, vcc_lo
	v_mul_lo_u32 v31, v28, s15
	v_mad_u64_u32 v[28:29], null, v28, s14, 0
	v_mul_lo_u32 v2, v2, s14
	v_add3_u32 v14, v14, v30, v18
	v_lshlrev_b64 v[13:14], 2, v[13:14]
	v_add3_u32 v29, v29, v31, v2
	v_add_co_u32 v2, vcc_lo, s2, v13
	v_lshlrev_b64 v[28:29], 2, v[28:29]
	v_add_co_ci_u32_e64 v14, null, s3, v14, vcc_lo
	v_add_co_u32 v13, vcc_lo, v2, v28
	v_add_co_ci_u32_e64 v14, null, v14, v29, vcc_lo
	v_or_b32_e32 v2, s37, v25
	global_load_dword v18, v[13:14], off
                                        ; implicit-def: $vgpr13_vgpr14
	v_cmpx_ne_u64_e32 0, v[1:2]
	s_xor_b32 s61, exec_lo, s0
	s_cbranch_execz .LBB39_21
; %bb.20:                               ;   in Loop: Header=BB39_3 Depth=1
	s_ashr_i32 s62, s37, 31
	v_add_co_u32 v14, vcc_lo, v22, v19
	s_add_u32 s64, s36, s62
	s_mov_b32 s63, s62
	s_addc_u32 s65, s37, s62
	v_add_co_ci_u32_e64 v22, null, v25, v19, vcc_lo
	s_xor_b64 s[64:65], s[64:65], s[62:63]
	v_cvt_f32_u32_e32 v2, s64
	v_cvt_f32_u32_e32 v13, s65
	s_sub_u32 s74, 0, s64
	s_subb_u32 s75, 0, s65
	v_xor_b32_e32 v22, v22, v19
	v_fmac_f32_e32 v2, 0x4f800000, v13
	v_rcp_f32_e32 v2, v2
	v_mul_f32_e32 v2, 0x5f7ffffc, v2
	v_mul_f32_e32 v13, 0x2f800000, v2
	v_trunc_f32_e32 v13, v13
	v_fmac_f32_e32 v2, 0xcf800000, v13
	v_cvt_u32_f32_e32 v13, v13
	v_cvt_u32_f32_e32 v2, v2
	v_readfirstlane_b32 s0, v13
	v_readfirstlane_b32 s63, v2
	s_mul_i32 s76, s74, s0
	v_xor_b32_e32 v2, v14, v19
	s_mul_hi_u32 s78, s74, s63
	s_mul_i32 s77, s75, s63
	s_add_i32 s76, s78, s76
	s_mul_i32 s79, s74, s63
	s_add_i32 s76, s76, s77
	s_mul_hi_u32 s78, s63, s79
	s_mul_i32 s81, s63, s76
	s_mul_hi_u32 s80, s0, s79
	s_mul_i32 s77, s0, s79
	s_mul_hi_u32 s79, s63, s76
	s_add_u32 s78, s78, s81
	s_addc_u32 s79, 0, s79
	s_mul_hi_u32 s82, s0, s76
	s_add_u32 s77, s78, s77
	s_mul_i32 s76, s0, s76
	s_addc_u32 s77, s79, s80
	s_addc_u32 s78, s82, 0
	s_add_u32 s76, s77, s76
	s_addc_u32 s77, 0, s78
	s_add_u32 s63, s63, s76
	s_cselect_b32 s76, -1, 0
	s_mul_hi_u32 s78, s74, s63
	s_cmp_lg_u32 s76, 0
	s_mul_i32 s76, s74, s63
	s_addc_u32 s0, s0, s77
	s_mul_i32 s75, s75, s63
	s_mul_i32 s74, s74, s0
	s_mul_hi_u32 s77, s63, s76
	s_add_i32 s74, s78, s74
	s_mul_hi_u32 s78, s0, s76
	s_add_i32 s74, s74, s75
	s_mul_i32 s75, s0, s76
	s_mul_i32 s80, s63, s74
	s_mul_hi_u32 s79, s63, s74
	s_add_u32 s77, s77, s80
	s_addc_u32 s79, 0, s79
	s_mul_hi_u32 s76, s0, s74
	s_add_u32 s75, s77, s75
	s_mul_i32 s74, s0, s74
	s_addc_u32 s75, s79, s78
	s_addc_u32 s76, s76, 0
	s_add_u32 s74, s75, s74
	s_addc_u32 s75, 0, s76
	s_add_u32 s63, s63, s74
	s_cselect_b32 s74, -1, 0
	v_mul_hi_u32 v25, v2, s63
	s_cmp_lg_u32 s74, 0
	v_mad_u64_u32 v[28:29], null, v22, s63, 0
	s_addc_u32 s0, s0, s75
	v_mad_u64_u32 v[13:14], null, v2, s0, 0
	v_mad_u64_u32 v[30:31], null, v22, s0, 0
	v_add_co_u32 v13, vcc_lo, v25, v13
	v_add_co_ci_u32_e64 v14, null, 0, v14, vcc_lo
	v_add_co_u32 v13, vcc_lo, v13, v28
	v_add_co_ci_u32_e32 v13, vcc_lo, v14, v29, vcc_lo
	v_add_co_ci_u32_e32 v14, vcc_lo, 0, v31, vcc_lo
	v_add_co_u32 v25, vcc_lo, v13, v30
	v_add_co_ci_u32_e64 v28, null, 0, v14, vcc_lo
	v_mul_lo_u32 v29, s65, v25
	v_mad_u64_u32 v[13:14], null, s64, v25, 0
	v_mul_lo_u32 v30, s64, v28
	v_sub_co_u32 v2, vcc_lo, v2, v13
	v_add3_u32 v14, v14, v30, v29
	v_sub_nc_u32_e32 v29, v22, v14
	v_sub_co_ci_u32_e64 v14, null, v22, v14, vcc_lo
	v_subrev_co_ci_u32_e64 v13, null, s65, v29, vcc_lo
	v_add_co_u32 v29, s0, v25, 2
	v_add_co_ci_u32_e64 v30, null, 0, v28, s0
	v_sub_co_u32 v31, s0, v2, s64
	v_subrev_co_ci_u32_e64 v13, null, 0, v13, s0
	v_cmp_le_u32_e32 vcc_lo, s64, v31
	v_cndmask_b32_e64 v22, 0, -1, vcc_lo
	v_cmp_le_u32_e32 vcc_lo, s65, v13
	v_cndmask_b32_e64 v31, 0, -1, vcc_lo
	;; [unrolled: 2-line block ×4, first 2 shown]
	v_cmp_eq_u32_e32 vcc_lo, s65, v13
	v_cndmask_b32_e32 v13, v31, v22, vcc_lo
	v_add_co_u32 v22, vcc_lo, v25, 1
	v_add_co_ci_u32_e64 v31, null, 0, v28, vcc_lo
	v_cmp_eq_u32_e32 vcc_lo, s65, v14
	v_xor_b32_e32 v14, s62, v19
	v_cndmask_b32_e32 v2, v32, v2, vcc_lo
	v_cmp_ne_u32_e32 vcc_lo, 0, v13
	v_cmp_ne_u32_e64 s0, 0, v2
	v_cndmask_b32_e32 v2, v22, v29, vcc_lo
	v_cndmask_b32_e32 v13, v31, v30, vcc_lo
                                        ; implicit-def: $vgpr22
	v_cndmask_b32_e64 v2, v25, v2, s0
	v_cndmask_b32_e64 v13, v28, v13, s0
	v_xor_b32_e32 v2, v2, v14
	v_xor_b32_e32 v19, v13, v14
	v_sub_co_u32 v13, vcc_lo, v2, v14
	v_sub_co_ci_u32_e64 v14, null, v19, v14, vcc_lo
.LBB39_21:                              ;   in Loop: Header=BB39_3 Depth=1
	s_or_saveexec_b32 s0, s61
	v_cvt_f32_u32_e32 v19, s36
	s_xor_b32 exec_lo, exec_lo, s0
	s_cbranch_execz .LBB39_23
; %bb.22:                               ;   in Loop: Header=BB39_3 Depth=1
	v_rcp_iflag_f32_e32 v2, v19
	s_sub_i32 s61, 0, s36
	v_mul_f32_e32 v2, 0x4f7ffffe, v2
	v_cvt_u32_f32_e32 v2, v2
	v_mul_lo_u32 v13, s61, v2
	v_mul_hi_u32 v13, v2, v13
	v_add_nc_u32_e32 v2, v2, v13
	v_mul_hi_u32 v2, v22, v2
	v_mul_lo_u32 v13, v2, s36
	v_add_nc_u32_e32 v14, 1, v2
	v_sub_nc_u32_e32 v13, v22, v13
	v_subrev_nc_u32_e32 v22, s36, v13
	v_cmp_le_u32_e32 vcc_lo, s36, v13
	v_cndmask_b32_e32 v13, v13, v22, vcc_lo
	v_cndmask_b32_e32 v2, v2, v14, vcc_lo
	v_cmp_le_u32_e32 vcc_lo, s36, v13
	v_add_nc_u32_e32 v14, 1, v2
	v_cndmask_b32_e32 v13, v2, v14, vcc_lo
	v_mov_b32_e32 v14, v1
.LBB39_23:                              ;   in Loop: Header=BB39_3 Depth=1
	s_or_b32 exec_lo, exec_lo, s0
	v_mul_lo_u32 v2, v14, s36
	v_mul_lo_u32 v22, v13, s37
	v_mad_u64_u32 v[28:29], null, v13, s36, 0
	v_mul_lo_u32 v25, v13, s17
	s_mov_b32 s0, exec_lo
	v_add3_u32 v2, v29, v22, v2
	v_sub_co_u32 v7, vcc_lo, v7, v28
	v_mul_lo_u32 v22, v14, s16
	v_sub_co_ci_u32_e64 v2, null, v8, v2, vcc_lo
	v_add_co_u32 v14, vcc_lo, v3, v7
	v_mad_u64_u32 v[7:8], null, v13, s16, 0
	v_add_co_ci_u32_e64 v2, null, v4, v2, vcc_lo
	v_mul_lo_u32 v28, v14, s19
	v_mad_u64_u32 v[13:14], null, v14, s18, 0
	v_mul_lo_u32 v2, v2, s18
	v_add3_u32 v8, v8, v25, v22
	v_lshlrev_b64 v[7:8], 2, v[7:8]
	v_add3_u32 v14, v14, v28, v2
	v_add_co_u32 v2, vcc_lo, s34, v7
	v_lshlrev_b64 v[13:14], 2, v[13:14]
	v_add_co_ci_u32_e64 v8, null, s35, v8, vcc_lo
	v_add_co_u32 v7, vcc_lo, v2, v13
	v_add_co_ci_u32_e64 v8, null, v8, v14, vcc_lo
	v_or_b32_e32 v2, s37, v26
	global_load_dword v14, v[7:8], off
                                        ; implicit-def: $vgpr7_vgpr8
	v_cmpx_ne_u64_e32 0, v[1:2]
	s_xor_b32 s61, exec_lo, s0
	s_cbranch_execz .LBB39_25
; %bb.24:                               ;   in Loop: Header=BB39_3 Depth=1
	s_ashr_i32 s62, s37, 31
	v_add_co_u32 v8, vcc_lo, v23, v20
	s_add_u32 s64, s36, s62
	s_mov_b32 s63, s62
	s_addc_u32 s65, s37, s62
	v_add_co_ci_u32_e64 v13, null, v26, v20, vcc_lo
	s_xor_b64 s[64:65], s[64:65], s[62:63]
	v_cvt_f32_u32_e32 v2, s64
	v_cvt_f32_u32_e32 v7, s65
	s_sub_u32 s74, 0, s64
	s_subb_u32 s75, 0, s65
	v_xor_b32_e32 v13, v13, v20
	v_fmac_f32_e32 v2, 0x4f800000, v7
	v_rcp_f32_e32 v2, v2
	v_mul_f32_e32 v2, 0x5f7ffffc, v2
	v_mul_f32_e32 v7, 0x2f800000, v2
	v_trunc_f32_e32 v7, v7
	v_fmac_f32_e32 v2, 0xcf800000, v7
	v_cvt_u32_f32_e32 v7, v7
	v_cvt_u32_f32_e32 v2, v2
	v_readfirstlane_b32 s0, v7
	v_readfirstlane_b32 s63, v2
	s_mul_i32 s76, s74, s0
	v_xor_b32_e32 v2, v8, v20
	s_mul_hi_u32 s78, s74, s63
	s_mul_i32 s77, s75, s63
	s_add_i32 s76, s78, s76
	s_mul_i32 s79, s74, s63
	s_add_i32 s76, s76, s77
	s_mul_hi_u32 s78, s63, s79
	s_mul_i32 s81, s63, s76
	s_mul_hi_u32 s80, s0, s79
	s_mul_i32 s77, s0, s79
	s_mul_hi_u32 s79, s63, s76
	s_add_u32 s78, s78, s81
	s_addc_u32 s79, 0, s79
	s_mul_hi_u32 s82, s0, s76
	s_add_u32 s77, s78, s77
	s_mul_i32 s76, s0, s76
	s_addc_u32 s77, s79, s80
	s_addc_u32 s78, s82, 0
	s_add_u32 s76, s77, s76
	s_addc_u32 s77, 0, s78
	s_add_u32 s63, s63, s76
	s_cselect_b32 s76, -1, 0
	s_mul_hi_u32 s78, s74, s63
	s_cmp_lg_u32 s76, 0
	s_mul_i32 s76, s74, s63
	s_addc_u32 s0, s0, s77
	s_mul_i32 s75, s75, s63
	s_mul_i32 s74, s74, s0
	s_mul_hi_u32 s77, s63, s76
	s_add_i32 s74, s78, s74
	s_mul_hi_u32 s78, s0, s76
	s_add_i32 s74, s74, s75
	s_mul_i32 s75, s0, s76
	s_mul_i32 s80, s63, s74
	s_mul_hi_u32 s79, s63, s74
	s_add_u32 s77, s77, s80
	s_addc_u32 s79, 0, s79
	s_mul_hi_u32 s76, s0, s74
	s_add_u32 s75, s77, s75
	s_mul_i32 s74, s0, s74
	s_addc_u32 s75, s79, s78
	s_addc_u32 s76, s76, 0
	s_add_u32 s74, s75, s74
	s_addc_u32 s75, 0, s76
	s_add_u32 s63, s63, s74
	s_cselect_b32 s74, -1, 0
	v_mul_hi_u32 v28, v2, s63
	s_cmp_lg_u32 s74, 0
	v_mad_u64_u32 v[22:23], null, v13, s63, 0
	s_addc_u32 s0, s0, s75
	v_mad_u64_u32 v[7:8], null, v2, s0, 0
	v_mad_u64_u32 v[25:26], null, v13, s0, 0
	v_add_co_u32 v7, vcc_lo, v28, v7
	v_add_co_ci_u32_e64 v8, null, 0, v8, vcc_lo
	v_add_co_u32 v7, vcc_lo, v7, v22
	v_add_co_ci_u32_e32 v7, vcc_lo, v8, v23, vcc_lo
	v_add_co_ci_u32_e32 v8, vcc_lo, 0, v26, vcc_lo
	v_add_co_u32 v22, vcc_lo, v7, v25
	v_add_co_ci_u32_e64 v23, null, 0, v8, vcc_lo
	v_mul_lo_u32 v25, s65, v22
	v_mad_u64_u32 v[7:8], null, s64, v22, 0
	v_mul_lo_u32 v26, s64, v23
	v_sub_co_u32 v2, vcc_lo, v2, v7
	v_add3_u32 v8, v8, v26, v25
	v_sub_nc_u32_e32 v25, v13, v8
	v_sub_co_ci_u32_e64 v8, null, v13, v8, vcc_lo
	v_subrev_co_ci_u32_e64 v7, null, s65, v25, vcc_lo
	v_add_co_u32 v25, s0, v22, 2
	v_add_co_ci_u32_e64 v26, null, 0, v23, s0
	v_sub_co_u32 v28, s0, v2, s64
	v_subrev_co_ci_u32_e64 v7, null, 0, v7, s0
	v_cmp_le_u32_e32 vcc_lo, s64, v28
	v_cndmask_b32_e64 v13, 0, -1, vcc_lo
	v_cmp_le_u32_e32 vcc_lo, s65, v7
	v_cndmask_b32_e64 v28, 0, -1, vcc_lo
	;; [unrolled: 2-line block ×4, first 2 shown]
	v_cmp_eq_u32_e32 vcc_lo, s65, v7
	v_cndmask_b32_e32 v7, v28, v13, vcc_lo
	v_add_co_u32 v13, vcc_lo, v22, 1
	v_add_co_ci_u32_e64 v28, null, 0, v23, vcc_lo
	v_cmp_eq_u32_e32 vcc_lo, s65, v8
	v_xor_b32_e32 v8, s62, v20
	v_cndmask_b32_e32 v2, v29, v2, vcc_lo
	v_cmp_ne_u32_e32 vcc_lo, 0, v7
	v_cmp_ne_u32_e64 s0, 0, v2
	v_cndmask_b32_e32 v2, v13, v25, vcc_lo
	v_cndmask_b32_e32 v7, v28, v26, vcc_lo
	v_cndmask_b32_e64 v2, v22, v2, s0
	v_cndmask_b32_e64 v7, v23, v7, s0
                                        ; implicit-def: $vgpr23
	v_xor_b32_e32 v2, v2, v8
	v_xor_b32_e32 v13, v7, v8
	v_sub_co_u32 v7, vcc_lo, v2, v8
	v_sub_co_ci_u32_e64 v8, null, v13, v8, vcc_lo
.LBB39_25:                              ;   in Loop: Header=BB39_3 Depth=1
	s_andn2_saveexec_b32 s0, s61
	s_cbranch_execz .LBB39_27
; %bb.26:                               ;   in Loop: Header=BB39_3 Depth=1
	v_rcp_iflag_f32_e32 v2, v19
	s_sub_i32 s61, 0, s36
	v_mul_f32_e32 v2, 0x4f7ffffe, v2
	v_cvt_u32_f32_e32 v2, v2
	v_mul_lo_u32 v7, s61, v2
	v_mul_hi_u32 v7, v2, v7
	v_add_nc_u32_e32 v2, v2, v7
	v_mul_hi_u32 v2, v23, v2
	v_mul_lo_u32 v7, v2, s36
	v_add_nc_u32_e32 v8, 1, v2
	v_sub_nc_u32_e32 v7, v23, v7
	v_subrev_nc_u32_e32 v13, s36, v7
	v_cmp_le_u32_e32 vcc_lo, s36, v7
	v_cndmask_b32_e32 v7, v7, v13, vcc_lo
	v_cndmask_b32_e32 v2, v2, v8, vcc_lo
	v_cmp_le_u32_e32 vcc_lo, s36, v7
	v_add_nc_u32_e32 v8, 1, v2
	v_cndmask_b32_e32 v7, v2, v8, vcc_lo
	v_mov_b32_e32 v8, v1
.LBB39_27:                              ;   in Loop: Header=BB39_3 Depth=1
	s_or_b32 exec_lo, exec_lo, s0
	v_mul_lo_u32 v2, v8, s36
	v_mul_lo_u32 v13, v7, s37
	v_mad_u64_u32 v[22:23], null, v7, s36, 0
	v_mul_lo_u32 v20, v7, s17
	s_mov_b32 s0, exec_lo
	v_add3_u32 v2, v23, v13, v2
	v_mul_lo_u32 v13, v8, s16
	v_sub_co_u32 v8, vcc_lo, v9, v22
	v_sub_co_ci_u32_e64 v2, null, v10, v2, vcc_lo
	v_add_co_u32 v9, vcc_lo, v3, v8
	v_mad_u64_u32 v[7:8], null, v7, s16, 0
	v_add_co_ci_u32_e64 v2, null, v4, v2, vcc_lo
	v_mul_lo_u32 v22, v9, s19
	v_mad_u64_u32 v[9:10], null, v9, s18, 0
	v_mul_lo_u32 v2, v2, s18
	v_add3_u32 v8, v8, v20, v13
	v_lshlrev_b64 v[7:8], 2, v[7:8]
	v_add3_u32 v10, v10, v22, v2
	v_add_co_u32 v2, vcc_lo, s34, v7
	v_lshlrev_b64 v[9:10], 2, v[9:10]
	v_add_co_ci_u32_e64 v8, null, s35, v8, vcc_lo
	v_add_co_u32 v7, vcc_lo, v2, v9
	v_add_co_ci_u32_e64 v8, null, v8, v10, vcc_lo
	v_or_b32_e32 v2, s37, v27
	global_load_dword v9, v[7:8], off
                                        ; implicit-def: $vgpr7_vgpr8
	v_cmpx_ne_u64_e32 0, v[1:2]
	s_xor_b32 s61, exec_lo, s0
	s_cbranch_execz .LBB39_29
; %bb.28:                               ;   in Loop: Header=BB39_3 Depth=1
	s_ashr_i32 s62, s37, 31
	v_add_co_u32 v8, vcc_lo, v24, v21
	s_add_u32 s64, s36, s62
	s_mov_b32 s63, s62
	s_addc_u32 s65, s37, s62
	v_add_co_ci_u32_e64 v10, null, v27, v21, vcc_lo
	s_xor_b64 s[64:65], s[64:65], s[62:63]
	v_cvt_f32_u32_e32 v2, s64
	v_cvt_f32_u32_e32 v7, s65
	s_sub_u32 s74, 0, s64
	s_subb_u32 s75, 0, s65
	v_xor_b32_e32 v10, v10, v21
	v_fmac_f32_e32 v2, 0x4f800000, v7
	v_rcp_f32_e32 v2, v2
	v_mul_f32_e32 v2, 0x5f7ffffc, v2
	v_mul_f32_e32 v7, 0x2f800000, v2
	v_trunc_f32_e32 v7, v7
	v_fmac_f32_e32 v2, 0xcf800000, v7
	v_cvt_u32_f32_e32 v7, v7
	v_cvt_u32_f32_e32 v2, v2
	v_readfirstlane_b32 s0, v7
	v_readfirstlane_b32 s63, v2
	s_mul_i32 s76, s74, s0
	v_xor_b32_e32 v2, v8, v21
	s_mul_hi_u32 s78, s74, s63
	s_mul_i32 s77, s75, s63
	s_add_i32 s76, s78, s76
	s_mul_i32 s79, s74, s63
	s_add_i32 s76, s76, s77
	s_mul_hi_u32 s78, s63, s79
	s_mul_i32 s81, s63, s76
	s_mul_hi_u32 s80, s0, s79
	s_mul_i32 s77, s0, s79
	s_mul_hi_u32 s79, s63, s76
	s_add_u32 s78, s78, s81
	s_addc_u32 s79, 0, s79
	s_mul_hi_u32 s82, s0, s76
	s_add_u32 s77, s78, s77
	s_mul_i32 s76, s0, s76
	s_addc_u32 s77, s79, s80
	s_addc_u32 s78, s82, 0
	s_add_u32 s76, s77, s76
	s_addc_u32 s77, 0, s78
	s_add_u32 s63, s63, s76
	s_cselect_b32 s76, -1, 0
	s_mul_hi_u32 s78, s74, s63
	s_cmp_lg_u32 s76, 0
	s_mul_i32 s76, s74, s63
	s_addc_u32 s0, s0, s77
	s_mul_i32 s75, s75, s63
	s_mul_i32 s74, s74, s0
	s_mul_hi_u32 s77, s63, s76
	s_add_i32 s74, s78, s74
	s_mul_hi_u32 s78, s0, s76
	s_add_i32 s74, s74, s75
	s_mul_i32 s75, s0, s76
	s_mul_i32 s80, s63, s74
	s_mul_hi_u32 s79, s63, s74
	s_add_u32 s77, s77, s80
	s_addc_u32 s79, 0, s79
	s_mul_hi_u32 s76, s0, s74
	s_add_u32 s75, s77, s75
	s_mul_i32 s74, s0, s74
	s_addc_u32 s75, s79, s78
	s_addc_u32 s76, s76, 0
	s_add_u32 s74, s75, s74
	s_addc_u32 s75, 0, s76
	s_add_u32 s63, s63, s74
	s_cselect_b32 s74, -1, 0
	v_mul_hi_u32 v13, v2, s63
	s_cmp_lg_u32 s74, 0
	v_mad_u64_u32 v[19:20], null, v10, s63, 0
	s_addc_u32 s0, s0, s75
	v_mad_u64_u32 v[7:8], null, v2, s0, 0
	v_mad_u64_u32 v[22:23], null, v10, s0, 0
	v_add_co_u32 v7, vcc_lo, v13, v7
	v_add_co_ci_u32_e64 v8, null, 0, v8, vcc_lo
	v_add_co_u32 v7, vcc_lo, v7, v19
	v_add_co_ci_u32_e32 v7, vcc_lo, v8, v20, vcc_lo
	v_add_co_ci_u32_e32 v8, vcc_lo, 0, v23, vcc_lo
	v_add_co_u32 v13, vcc_lo, v7, v22
	v_add_co_ci_u32_e64 v19, null, 0, v8, vcc_lo
	v_mul_lo_u32 v20, s65, v13
	v_mad_u64_u32 v[7:8], null, s64, v13, 0
	v_mul_lo_u32 v22, s64, v19
	v_sub_co_u32 v2, vcc_lo, v2, v7
	v_add3_u32 v8, v8, v22, v20
	v_sub_nc_u32_e32 v20, v10, v8
	v_sub_co_ci_u32_e64 v8, null, v10, v8, vcc_lo
	v_subrev_co_ci_u32_e64 v7, null, s65, v20, vcc_lo
	v_add_co_u32 v20, s0, v13, 2
	v_add_co_ci_u32_e64 v22, null, 0, v19, s0
	v_sub_co_u32 v23, s0, v2, s64
	v_subrev_co_ci_u32_e64 v7, null, 0, v7, s0
	v_cmp_le_u32_e32 vcc_lo, s64, v23
	v_cndmask_b32_e64 v10, 0, -1, vcc_lo
	v_cmp_le_u32_e32 vcc_lo, s65, v7
	v_cndmask_b32_e64 v23, 0, -1, vcc_lo
	;; [unrolled: 2-line block ×4, first 2 shown]
	v_cmp_eq_u32_e32 vcc_lo, s65, v7
	v_cndmask_b32_e32 v7, v23, v10, vcc_lo
	v_add_co_u32 v10, vcc_lo, v13, 1
	v_add_co_ci_u32_e64 v23, null, 0, v19, vcc_lo
	v_cmp_eq_u32_e32 vcc_lo, s65, v8
	v_xor_b32_e32 v8, s62, v21
	v_cndmask_b32_e32 v2, v24, v2, vcc_lo
	v_cmp_ne_u32_e32 vcc_lo, 0, v7
                                        ; implicit-def: $vgpr24
	v_cmp_ne_u32_e64 s0, 0, v2
	v_cndmask_b32_e32 v2, v10, v20, vcc_lo
	v_cndmask_b32_e32 v7, v23, v22, vcc_lo
	v_cndmask_b32_e64 v2, v13, v2, s0
	v_cndmask_b32_e64 v7, v19, v7, s0
                                        ; implicit-def: $vgpr19
	v_xor_b32_e32 v2, v2, v8
	v_xor_b32_e32 v10, v7, v8
	v_sub_co_u32 v7, vcc_lo, v2, v8
	v_sub_co_ci_u32_e64 v8, null, v10, v8, vcc_lo
.LBB39_29:                              ;   in Loop: Header=BB39_3 Depth=1
	s_andn2_saveexec_b32 s0, s61
	s_cbranch_execz .LBB39_31
; %bb.30:                               ;   in Loop: Header=BB39_3 Depth=1
	v_rcp_iflag_f32_e32 v2, v19
	s_sub_i32 s61, 0, s36
	v_mul_f32_e32 v2, 0x4f7ffffe, v2
	v_cvt_u32_f32_e32 v2, v2
	v_mul_lo_u32 v7, s61, v2
	v_mul_hi_u32 v7, v2, v7
	v_add_nc_u32_e32 v2, v2, v7
	v_mul_hi_u32 v2, v24, v2
	v_mul_lo_u32 v7, v2, s36
	v_add_nc_u32_e32 v8, 1, v2
	v_sub_nc_u32_e32 v7, v24, v7
	v_subrev_nc_u32_e32 v10, s36, v7
	v_cmp_le_u32_e32 vcc_lo, s36, v7
	v_cndmask_b32_e32 v7, v7, v10, vcc_lo
	v_cndmask_b32_e32 v2, v2, v8, vcc_lo
	v_cmp_le_u32_e32 vcc_lo, s36, v7
	v_add_nc_u32_e32 v8, 1, v2
	v_cndmask_b32_e32 v7, v2, v8, vcc_lo
	v_mov_b32_e32 v8, v1
.LBB39_31:                              ;   in Loop: Header=BB39_3 Depth=1
	s_or_b32 exec_lo, exec_lo, s0
	v_mul_lo_u32 v2, v8, s36
	v_mul_lo_u32 v10, v7, s37
	v_mad_u64_u32 v[19:20], null, v7, s36, 0
	v_mul_lo_u32 v13, v8, s16
	s_mov_b32 s0, exec_lo
	v_add3_u32 v2, v20, v10, v2
	v_sub_co_u32 v8, vcc_lo, v11, v19
	v_sub_co_ci_u32_e64 v2, null, v12, v2, vcc_lo
	v_add_co_u32 v10, vcc_lo, v3, v8
	v_mul_lo_u32 v12, v7, s17
	v_add_co_ci_u32_e64 v2, null, v4, v2, vcc_lo
	v_mad_u64_u32 v[7:8], null, v7, s16, 0
	v_mul_lo_u32 v19, v10, s19
	v_mad_u64_u32 v[10:11], null, v10, s18, 0
	v_mul_lo_u32 v2, v2, s18
	v_add3_u32 v8, v8, v12, v13
	v_add3_u32 v11, v11, v19, v2
	v_lshlrev_b64 v[7:8], 2, v[7:8]
	v_lshlrev_b64 v[10:11], 2, v[10:11]
	v_add_co_u32 v2, vcc_lo, s34, v7
	v_add_co_ci_u32_e64 v8, null, s35, v8, vcc_lo
	v_add_co_u32 v7, vcc_lo, v2, v10
	v_add_co_ci_u32_e64 v8, null, v8, v11, vcc_lo
	v_or_b32_e32 v2, s47, v4
	global_load_dword v10, v[7:8], off
                                        ; implicit-def: $vgpr7_vgpr8
	v_cmpx_ne_u64_e32 0, v[1:2]
	s_xor_b32 s61, exec_lo, s0
	s_cbranch_execz .LBB39_33
; %bb.32:                               ;   in Loop: Header=BB39_3 Depth=1
	s_ashr_i32 s62, s47, 31
	v_add_co_u32 v8, vcc_lo, v3, v15
	s_add_u32 s64, s46, s62
	s_mov_b32 s63, s62
	s_addc_u32 s65, s47, s62
	v_add_co_ci_u32_e64 v11, null, v4, v15, vcc_lo
	s_xor_b64 s[64:65], s[64:65], s[62:63]
	v_cvt_f32_u32_e32 v2, s64
	v_cvt_f32_u32_e32 v7, s65
	s_sub_u32 s74, 0, s64
	s_subb_u32 s75, 0, s65
	v_xor_b32_e32 v13, v11, v15
	v_fmac_f32_e32 v2, 0x4f800000, v7
	v_rcp_f32_e32 v2, v2
	v_mul_f32_e32 v2, 0x5f7ffffc, v2
	v_mul_f32_e32 v7, 0x2f800000, v2
	v_trunc_f32_e32 v7, v7
	v_fmac_f32_e32 v2, 0xcf800000, v7
	v_cvt_u32_f32_e32 v7, v7
	v_cvt_u32_f32_e32 v2, v2
	v_readfirstlane_b32 s0, v7
	v_readfirstlane_b32 s63, v2
	s_mul_i32 s76, s74, s0
	v_xor_b32_e32 v2, v8, v15
	s_mul_hi_u32 s78, s74, s63
	s_mul_i32 s77, s75, s63
	s_add_i32 s76, s78, s76
	s_mul_i32 s79, s74, s63
	s_add_i32 s76, s76, s77
	s_mul_hi_u32 s78, s63, s79
	s_mul_i32 s81, s63, s76
	s_mul_hi_u32 s80, s0, s79
	s_mul_i32 s77, s0, s79
	s_mul_hi_u32 s79, s63, s76
	s_add_u32 s78, s78, s81
	s_addc_u32 s79, 0, s79
	s_mul_hi_u32 s82, s0, s76
	s_add_u32 s77, s78, s77
	s_mul_i32 s76, s0, s76
	s_addc_u32 s77, s79, s80
	s_addc_u32 s78, s82, 0
	s_add_u32 s76, s77, s76
	s_addc_u32 s77, 0, s78
	s_add_u32 s63, s63, s76
	s_cselect_b32 s76, -1, 0
	s_mul_hi_u32 s78, s74, s63
	s_cmp_lg_u32 s76, 0
	s_mul_i32 s76, s74, s63
	s_addc_u32 s0, s0, s77
	s_mul_i32 s75, s75, s63
	s_mul_i32 s74, s74, s0
	s_mul_hi_u32 s77, s63, s76
	s_add_i32 s74, s78, s74
	s_mul_hi_u32 s78, s0, s76
	s_add_i32 s74, s74, s75
	s_mul_i32 s75, s0, s76
	s_mul_i32 s80, s63, s74
	s_mul_hi_u32 s79, s63, s74
	s_add_u32 s77, s77, s80
	s_addc_u32 s79, 0, s79
	s_mul_hi_u32 s76, s0, s74
	s_add_u32 s75, s77, s75
	s_mul_i32 s74, s0, s74
	s_addc_u32 s75, s79, s78
	s_addc_u32 s76, s76, 0
	s_add_u32 s74, s75, s74
	s_addc_u32 s75, 0, s76
	s_add_u32 s63, s63, s74
	s_cselect_b32 s74, -1, 0
	v_mul_hi_u32 v21, v2, s63
	s_cmp_lg_u32 s74, 0
	v_mad_u64_u32 v[11:12], null, v13, s63, 0
	s_addc_u32 s0, s0, s75
	v_mad_u64_u32 v[7:8], null, v2, s0, 0
	v_mad_u64_u32 v[19:20], null, v13, s0, 0
	v_add_co_u32 v7, vcc_lo, v21, v7
	v_add_co_ci_u32_e64 v8, null, 0, v8, vcc_lo
	v_add_co_u32 v7, vcc_lo, v7, v11
	v_add_co_ci_u32_e32 v7, vcc_lo, v8, v12, vcc_lo
	v_add_co_ci_u32_e32 v8, vcc_lo, 0, v20, vcc_lo
	v_add_co_u32 v11, vcc_lo, v7, v19
	v_add_co_ci_u32_e64 v12, null, 0, v8, vcc_lo
	v_mul_lo_u32 v19, s65, v11
	v_mad_u64_u32 v[7:8], null, s64, v11, 0
	v_mul_lo_u32 v20, s64, v12
	v_sub_co_u32 v2, vcc_lo, v2, v7
	v_add3_u32 v8, v8, v20, v19
	v_sub_nc_u32_e32 v19, v13, v8
	v_sub_co_ci_u32_e64 v8, null, v13, v8, vcc_lo
	v_subrev_co_ci_u32_e64 v7, null, s65, v19, vcc_lo
	v_add_co_u32 v19, s0, v11, 2
	v_add_co_ci_u32_e64 v20, null, 0, v12, s0
	v_sub_co_u32 v21, s0, v2, s64
	v_subrev_co_ci_u32_e64 v7, null, 0, v7, s0
	v_cmp_le_u32_e32 vcc_lo, s64, v21
	v_cndmask_b32_e64 v13, 0, -1, vcc_lo
	v_cmp_le_u32_e32 vcc_lo, s65, v7
	v_cndmask_b32_e64 v21, 0, -1, vcc_lo
	;; [unrolled: 2-line block ×4, first 2 shown]
	v_cmp_eq_u32_e32 vcc_lo, s65, v7
	v_cndmask_b32_e32 v7, v21, v13, vcc_lo
	v_add_co_u32 v13, vcc_lo, v11, 1
	v_add_co_ci_u32_e64 v21, null, 0, v12, vcc_lo
	v_cmp_eq_u32_e32 vcc_lo, s65, v8
	v_xor_b32_e32 v8, s62, v15
	v_cndmask_b32_e32 v2, v22, v2, vcc_lo
	v_cmp_ne_u32_e32 vcc_lo, 0, v7
	v_cmp_ne_u32_e64 s0, 0, v2
	v_cndmask_b32_e32 v2, v13, v19, vcc_lo
	v_cndmask_b32_e32 v7, v21, v20, vcc_lo
	v_cndmask_b32_e64 v2, v11, v2, s0
	v_cndmask_b32_e64 v7, v12, v7, s0
	v_xor_b32_e32 v2, v2, v8
	v_xor_b32_e32 v11, v7, v8
	v_sub_co_u32 v7, vcc_lo, v2, v8
	v_sub_co_ci_u32_e64 v8, null, v11, v8, vcc_lo
.LBB39_33:                              ;   in Loop: Header=BB39_3 Depth=1
	s_andn2_saveexec_b32 s0, s61
	s_cbranch_execz .LBB39_35
; %bb.34:                               ;   in Loop: Header=BB39_3 Depth=1
	v_cvt_f32_u32_e32 v2, s46
	s_sub_i32 s61, 0, s46
	v_rcp_iflag_f32_e32 v2, v2
	v_mul_f32_e32 v2, 0x4f7ffffe, v2
	v_cvt_u32_f32_e32 v2, v2
	v_mul_lo_u32 v7, s61, v2
	v_mul_hi_u32 v7, v2, v7
	v_add_nc_u32_e32 v2, v2, v7
	v_mul_hi_u32 v2, v3, v2
	v_mul_lo_u32 v7, v2, s46
	v_add_nc_u32_e32 v8, 1, v2
	v_sub_nc_u32_e32 v7, v3, v7
	v_subrev_nc_u32_e32 v11, s46, v7
	v_cmp_le_u32_e32 vcc_lo, s46, v7
	v_cndmask_b32_e32 v7, v7, v11, vcc_lo
	v_cndmask_b32_e32 v2, v2, v8, vcc_lo
	v_cmp_le_u32_e32 vcc_lo, s46, v7
	v_add_nc_u32_e32 v8, 1, v2
	v_cndmask_b32_e32 v7, v2, v8, vcc_lo
	v_mov_b32_e32 v8, v1
.LBB39_35:                              ;   in Loop: Header=BB39_3 Depth=1
	s_or_b32 exec_lo, exec_lo, s0
	v_mad_u64_u32 v[11:12], null, s69, v7, v[3:4]
	v_mul_lo_u32 v2, s69, v8
	v_mul_lo_u32 v13, s70, v7
	;; [unrolled: 1-line block ×4, first 2 shown]
	v_mad_u64_u32 v[7:8], null, v7, s20, 0
	s_mov_b32 s0, exec_lo
	v_add3_u32 v2, v13, v12, v2
	v_mul_lo_u32 v13, v11, s23
	v_mad_u64_u32 v[11:12], null, v11, s22, 0
	v_add3_u32 v8, v8, v20, v19
	v_mul_lo_u32 v2, v2, s22
	v_lshlrev_b64 v[7:8], 2, v[7:8]
	v_add3_u32 v12, v12, v13, v2
	v_add_co_u32 v2, vcc_lo, s44, v7
	v_add_co_ci_u32_e64 v8, null, s45, v8, vcc_lo
	v_lshlrev_b64 v[11:12], 2, v[11:12]
	v_add_co_u32 v7, vcc_lo, v2, v11
	v_add_co_ci_u32_e64 v8, null, v8, v12, vcc_lo
	v_or_b32_e32 v2, s51, v4
	global_load_dword v13, v[7:8], off
                                        ; implicit-def: $vgpr7_vgpr8
	v_cmpx_ne_u64_e32 0, v[1:2]
	s_xor_b32 s61, exec_lo, s0
	s_cbranch_execnz .LBB39_39
; %bb.36:                               ;   in Loop: Header=BB39_3 Depth=1
	s_andn2_saveexec_b32 s0, s61
	s_cbranch_execnz .LBB39_40
.LBB39_37:                              ;   in Loop: Header=BB39_3 Depth=1
	s_or_b32 exec_lo, exec_lo, s0
	s_andn2_b32 vcc_lo, exec_lo, s1
	s_cbranch_vccnz .LBB39_41
.LBB39_38:                              ;   in Loop: Header=BB39_3 Depth=1
	v_mad_u64_u32 v[11:12], null, s67, v5, v[3:4]
	v_mul_lo_u32 v2, s67, v6
	v_mul_lo_u32 v15, s68, v5
	v_sub_co_u32 v21, vcc_lo, 1, v5
	v_sub_co_ci_u32_e64 v22, null, 0, v6, vcc_lo
	v_mad_u64_u32 v[19:20], null, v11, s38, 0
	v_mul_lo_u32 v23, s9, v21
	v_add3_u32 v2, v15, v12, v2
	v_mul_lo_u32 v12, v11, s39
	v_mul_lo_u32 v15, s8, v22
	v_mad_u64_u32 v[21:22], null, s8, v21, v[3:4]
	v_mul_lo_u32 v24, v2, s38
	v_mul_lo_u32 v30, v11, s43
	;; [unrolled: 1-line block ×3, first 2 shown]
	v_add3_u32 v15, v23, v22, v15
	v_mul_lo_u32 v27, v21, s39
	v_add3_u32 v20, v20, v12, v24
	v_sub_co_u32 v12, vcc_lo, 2, v5
	v_sub_co_ci_u32_e64 v24, null, 0, v6, vcc_lo
	v_mul_lo_u32 v26, v15, s38
	v_mul_lo_u32 v29, s9, v12
	v_mad_u64_u32 v[22:23], null, v21, s38, 0
	v_mul_lo_u32 v28, s8, v24
	v_mad_u64_u32 v[24:25], null, s8, v12, v[3:4]
	v_mad_u64_u32 v[11:12], null, v11, s42, 0
	v_mul_lo_u32 v15, v15, s42
	v_add3_u32 v23, v23, v27, v26
	v_mul_lo_u32 v31, v21, s43
	v_lshlrev_b64 v[19:20], 2, v[19:20]
	v_add3_u32 v29, v29, v25, v28
	v_mul_lo_u32 v28, v24, s39
	v_mad_u64_u32 v[25:26], null, v24, s38, 0
	v_add3_u32 v12, v12, v30, v2
	v_mul_lo_u32 v27, v29, s38
	v_mul_lo_u32 v2, v29, s42
	v_mad_u64_u32 v[29:30], null, v24, s42, 0
	v_lshlrev_b64 v[22:23], 2, v[22:23]
	v_add_co_u32 v19, vcc_lo, s30, v19
	v_lshlrev_b64 v[11:12], 2, v[11:12]
	v_add3_u32 v26, v26, v28, v27
	v_mad_u64_u32 v[27:28], null, v21, s42, 0
	v_mul_lo_u32 v21, v24, s43
	v_add_co_ci_u32_e64 v20, null, s31, v20, vcc_lo
	v_lshlrev_b64 v[25:26], 2, v[25:26]
	v_add_co_u32 v22, vcc_lo, s30, v22
	v_add3_u32 v28, v28, v31, v15
	v_add_co_ci_u32_e64 v23, null, s31, v23, vcc_lo
	v_add3_u32 v30, v30, v21, v2
	v_add_co_u32 v24, vcc_lo, s30, v25
	v_add_co_ci_u32_e64 v25, null, s31, v26, vcc_lo
	v_lshlrev_b64 v[26:27], 2, v[27:28]
	v_add_co_u32 v31, vcc_lo, s40, v11
	v_add_co_ci_u32_e64 v32, null, s41, v12, vcc_lo
	v_lshlrev_b64 v[11:12], 2, v[29:30]
	v_add_co_u32 v26, vcc_lo, s40, v26
	v_add_co_ci_u32_e64 v27, null, s41, v27, vcc_lo
	v_add_co_u32 v28, vcc_lo, s40, v11
	v_add_co_ci_u32_e64 v29, null, s41, v12, vcc_lo
	s_clause 0x2
	global_load_dword v20, v[19:20], off
	global_load_dword v11, v[22:23], off
	global_load_dword v2, v[24:25], off
	s_clause 0x2
	global_load_dword v19, v[31:32], off
	global_load_dword v12, v[26:27], off
	;; [unrolled: 1-line block ×3, first 2 shown]
	s_branch .LBB39_42
.LBB39_39:                              ;   in Loop: Header=BB39_3 Depth=1
	s_ashr_i32 s62, s51, 31
	v_add_co_u32 v8, vcc_lo, v3, v15
	s_add_u32 s64, s50, s62
	s_mov_b32 s63, s62
	s_addc_u32 s65, s51, s62
	v_add_co_ci_u32_e64 v11, null, v4, v15, vcc_lo
	s_xor_b64 s[64:65], s[64:65], s[62:63]
	v_cvt_f32_u32_e32 v2, s64
	v_cvt_f32_u32_e32 v7, s65
	s_sub_u32 s74, 0, s64
	s_subb_u32 s75, 0, s65
	v_xor_b32_e32 v21, v11, v15
	v_fmac_f32_e32 v2, 0x4f800000, v7
	v_rcp_f32_e32 v2, v2
	v_mul_f32_e32 v2, 0x5f7ffffc, v2
	v_mul_f32_e32 v7, 0x2f800000, v2
	v_trunc_f32_e32 v7, v7
	v_fmac_f32_e32 v2, 0xcf800000, v7
	v_cvt_u32_f32_e32 v7, v7
	v_cvt_u32_f32_e32 v2, v2
	v_readfirstlane_b32 s0, v7
	v_readfirstlane_b32 s63, v2
	s_mul_i32 s76, s74, s0
	v_xor_b32_e32 v2, v8, v15
	s_mul_hi_u32 s78, s74, s63
	s_mul_i32 s77, s75, s63
	s_add_i32 s76, s78, s76
	s_mul_i32 s79, s74, s63
	s_add_i32 s76, s76, s77
	s_mul_hi_u32 s78, s63, s79
	s_mul_i32 s81, s63, s76
	s_mul_hi_u32 s80, s0, s79
	s_mul_i32 s77, s0, s79
	s_mul_hi_u32 s79, s63, s76
	s_add_u32 s78, s78, s81
	s_addc_u32 s79, 0, s79
	s_mul_hi_u32 s82, s0, s76
	s_add_u32 s77, s78, s77
	s_mul_i32 s76, s0, s76
	s_addc_u32 s77, s79, s80
	s_addc_u32 s78, s82, 0
	s_add_u32 s76, s77, s76
	s_addc_u32 s77, 0, s78
	s_add_u32 s63, s63, s76
	s_cselect_b32 s76, -1, 0
	s_mul_hi_u32 s78, s74, s63
	s_cmp_lg_u32 s76, 0
	s_mul_i32 s76, s74, s63
	s_addc_u32 s0, s0, s77
	s_mul_i32 s75, s75, s63
	s_mul_i32 s74, s74, s0
	s_mul_hi_u32 s77, s63, s76
	s_add_i32 s74, s78, s74
	s_mul_hi_u32 s78, s0, s76
	s_add_i32 s74, s74, s75
	s_mul_i32 s75, s0, s76
	s_mul_i32 s80, s63, s74
	s_mul_hi_u32 s79, s63, s74
	s_add_u32 s77, s77, s80
	s_addc_u32 s79, 0, s79
	s_mul_hi_u32 s76, s0, s74
	s_add_u32 s75, s77, s75
	s_mul_i32 s74, s0, s74
	s_addc_u32 s75, s79, s78
	s_addc_u32 s76, s76, 0
	s_add_u32 s74, s75, s74
	s_addc_u32 s75, 0, s76
	s_add_u32 s63, s63, s74
	s_cselect_b32 s74, -1, 0
	v_mul_hi_u32 v22, v2, s63
	s_cmp_lg_u32 s74, 0
	v_mad_u64_u32 v[11:12], null, v21, s63, 0
	s_addc_u32 s0, s0, s75
	v_mad_u64_u32 v[7:8], null, v2, s0, 0
	v_mad_u64_u32 v[19:20], null, v21, s0, 0
	v_add_co_u32 v7, vcc_lo, v22, v7
	v_add_co_ci_u32_e64 v8, null, 0, v8, vcc_lo
	v_add_co_u32 v7, vcc_lo, v7, v11
	v_add_co_ci_u32_e32 v7, vcc_lo, v8, v12, vcc_lo
	v_add_co_ci_u32_e32 v8, vcc_lo, 0, v20, vcc_lo
	v_add_co_u32 v11, vcc_lo, v7, v19
	v_add_co_ci_u32_e64 v12, null, 0, v8, vcc_lo
	v_mul_lo_u32 v19, s65, v11
	v_mad_u64_u32 v[7:8], null, s64, v11, 0
	v_mul_lo_u32 v20, s64, v12
	v_sub_co_u32 v2, vcc_lo, v2, v7
	v_add3_u32 v8, v8, v20, v19
	v_sub_nc_u32_e32 v19, v21, v8
	v_sub_co_ci_u32_e64 v8, null, v21, v8, vcc_lo
	v_subrev_co_ci_u32_e64 v7, null, s65, v19, vcc_lo
	v_add_co_u32 v19, s0, v11, 2
	v_add_co_ci_u32_e64 v20, null, 0, v12, s0
	v_sub_co_u32 v22, s0, v2, s64
	v_subrev_co_ci_u32_e64 v7, null, 0, v7, s0
	v_cmp_le_u32_e32 vcc_lo, s64, v22
	v_cndmask_b32_e64 v21, 0, -1, vcc_lo
	v_cmp_le_u32_e32 vcc_lo, s65, v7
	v_cndmask_b32_e64 v22, 0, -1, vcc_lo
	;; [unrolled: 2-line block ×4, first 2 shown]
	v_cmp_eq_u32_e32 vcc_lo, s65, v7
	v_cndmask_b32_e32 v7, v22, v21, vcc_lo
	v_add_co_u32 v21, vcc_lo, v11, 1
	v_add_co_ci_u32_e64 v22, null, 0, v12, vcc_lo
	v_cmp_eq_u32_e32 vcc_lo, s65, v8
	v_xor_b32_e32 v8, s62, v15
	v_cndmask_b32_e32 v2, v23, v2, vcc_lo
	v_cmp_ne_u32_e32 vcc_lo, 0, v7
	v_cmp_ne_u32_e64 s0, 0, v2
	v_cndmask_b32_e32 v2, v21, v19, vcc_lo
	v_cndmask_b32_e32 v7, v22, v20, vcc_lo
	v_cndmask_b32_e64 v2, v11, v2, s0
	v_cndmask_b32_e64 v7, v12, v7, s0
	v_xor_b32_e32 v2, v2, v8
	v_xor_b32_e32 v11, v7, v8
	v_sub_co_u32 v7, vcc_lo, v2, v8
	v_sub_co_ci_u32_e64 v8, null, v11, v8, vcc_lo
	s_andn2_saveexec_b32 s0, s61
	s_cbranch_execz .LBB39_37
.LBB39_40:                              ;   in Loop: Header=BB39_3 Depth=1
	v_cvt_f32_u32_e32 v2, s50
	s_sub_i32 s61, 0, s50
	v_rcp_iflag_f32_e32 v2, v2
	v_mul_f32_e32 v2, 0x4f7ffffe, v2
	v_cvt_u32_f32_e32 v2, v2
	v_mul_lo_u32 v7, s61, v2
	v_mul_hi_u32 v7, v2, v7
	v_add_nc_u32_e32 v2, v2, v7
	v_mul_hi_u32 v2, v3, v2
	v_mul_lo_u32 v7, v2, s50
	v_add_nc_u32_e32 v8, 1, v2
	v_sub_nc_u32_e32 v7, v3, v7
	v_subrev_nc_u32_e32 v11, s50, v7
	v_cmp_le_u32_e32 vcc_lo, s50, v7
	v_cndmask_b32_e32 v7, v7, v11, vcc_lo
	v_cndmask_b32_e32 v2, v2, v8, vcc_lo
	v_cmp_le_u32_e32 vcc_lo, s50, v7
	v_add_nc_u32_e32 v8, 1, v2
	v_cndmask_b32_e32 v7, v2, v8, vcc_lo
	v_mov_b32_e32 v8, v1
	s_or_b32 exec_lo, exec_lo, s0
	s_andn2_b32 vcc_lo, exec_lo, s1
	s_cbranch_vccz .LBB39_38
.LBB39_41:                              ;   in Loop: Header=BB39_3 Depth=1
	v_mov_b32_e32 v11, 0
	v_mov_b32_e32 v2, 0
	v_mov_b32_e32 v19, 0
	v_mov_b32_e32 v12, 0
	v_mov_b32_e32 v15, 0
	v_mov_b32_e32 v20, 0
.LBB39_42:                              ;   in Loop: Header=BB39_3 Depth=1
	s_waitcnt vmcnt(3)
	v_add_f32_e32 v14, v16, v14
	v_add_f32_e32 v2, v18, v2
	;; [unrolled: 1-line block ×3, first 2 shown]
	s_waitcnt vmcnt(2)
	v_add_f32_e32 v14, v19, v14
	v_mul_f32_e32 v16, 0xbfb8aa3b, v14
	v_cmp_nlt_f32_e32 vcc_lo, 0x42ce8ed0, v14
	v_fma_f32 v19, 0xbfb8aa3b, v14, -v16
	v_rndne_f32_e32 v20, v16
	v_fmac_f32_e32 v19, 0xb2a5705f, v14
	v_sub_f32_e32 v16, v16, v20
	v_add_f32_e32 v16, v16, v19
	v_cvt_i32_f32_e32 v19, v20
	v_exp_f32_e32 v16, v16
	v_ldexp_f32 v16, v16, v19
	v_cndmask_b32_e32 v16, 0, v16, vcc_lo
	v_cmp_ngt_f32_e32 vcc_lo, 0xc2b17218, v14
	v_cndmask_b32_e32 v14, 0x7f800000, v16, vcc_lo
	v_add_f32_e32 v14, 1.0, v14
	v_div_scale_f32 v16, null, v14, v14, 1.0
	v_div_scale_f32 v21, vcc_lo, 1.0, v14, 1.0
	v_rcp_f32_e32 v19, v16
	v_fma_f32 v20, -v16, v19, 1.0
	v_fmac_f32_e32 v19, v20, v19
	v_mul_f32_e32 v20, v21, v19
	v_fma_f32 v22, -v16, v20, v21
	v_fmac_f32_e32 v20, v22, v19
	v_fma_f32 v16, -v16, v20, v21
	v_div_fmas_f32 v16, v16, v19, v20
	v_div_fixup_f32 v18, v16, v14, 1.0
	s_waitcnt vmcnt(0)
	v_add_f32_e32 v14, v10, v15
                                        ; implicit-def: $vgpr15
	v_fmac_f32_e32 v2, v14, v18
	v_cmp_ngt_f32_e64 s0, 0x3f200000, |v2|
	s_and_saveexec_b32 s61, s0
	s_xor_b32 s0, exec_lo, s61
	s_cbranch_execz .LBB39_44
; %bb.43:                               ;   in Loop: Header=BB39_3 Depth=1
	v_add_f32_e64 v10, |v2|, |v2|
	v_mul_f32_e32 v15, 0x3fb8aa3b, v10
	v_cmp_ngt_f32_e32 vcc_lo, 0xc2ce8ed0, v10
	v_rndne_f32_e32 v16, v15
	v_fma_f32 v19, 0x3fb8aa3b, v10, -v15
	v_sub_f32_e32 v15, v15, v16
	v_fmac_f32_e32 v19, 0x32a5705f, v10
	v_cvt_i32_f32_e32 v16, v16
	v_add_f32_e32 v15, v15, v19
	v_exp_f32_e32 v15, v15
	v_ldexp_f32 v15, v15, v16
	v_cndmask_b32_e32 v15, 0, v15, vcc_lo
	v_cmp_nlt_f32_e32 vcc_lo, 0x42b17218, v10
	v_cndmask_b32_e32 v10, 0x7f800000, v15, vcc_lo
	v_add_f32_e32 v10, 1.0, v10
	v_rcp_f32_e32 v10, v10
	v_fma_f32 v15, v10, -2.0, 1.0
.LBB39_44:                              ;   in Loop: Header=BB39_3 Depth=1
	s_andn2_saveexec_b32 s0, s0
	s_cbranch_execz .LBB39_46
; %bb.45:                               ;   in Loop: Header=BB39_3 Depth=1
	v_mul_f32_e32 v10, v2, v2
	v_fmaak_f32 v15, s73, v10, 0x3ca908c9
	v_fmaak_f32 v15, v10, v15, 0xbd5c1c4e
	;; [unrolled: 1-line block ×4, first 2 shown]
	v_mul_f32_e64 v15, |v2|, v15
	v_fma_f32 v15, v10, v15, |v2|
.LBB39_46:                              ;   in Loop: Header=BB39_3 Depth=1
	s_or_b32 exec_lo, exec_lo, s0
	v_add_f32_e32 v9, v17, v9
	v_mul_lo_u32 v25, s71, v8
	v_mul_lo_u32 v26, s72, v7
	v_mul_lo_u32 v8, v8, s24
	v_mul_lo_u32 v28, v7, s25
	v_add_f32_e32 v9, v9, v11
	v_mad_u64_u32 v[19:20], null, v7, s24, 0
	v_bfi_b32 v16, 0x7fffffff, v15, v2
	v_mul_lo_u32 v23, s59, v5
	v_add_f32_e32 v9, v9, v12
	v_mul_lo_u32 v24, s58, v6
	v_add3_u32 v20, v20, v28, v8
	v_mul_f32_e32 v10, 0xbfb8aa3b, v9
	v_cmp_nlt_f32_e32 vcc_lo, 0x42ce8ed0, v9
	v_lshlrev_b64 v[19:20], 2, v[19:20]
	v_fma_f32 v11, 0xbfb8aa3b, v9, -v10
	v_rndne_f32_e32 v12, v10
	v_fmac_f32_e32 v11, 0xb2a5705f, v9
	v_sub_f32_e32 v10, v10, v12
	v_add_f32_e32 v10, v10, v11
	v_cvt_i32_f32_e32 v11, v12
	v_exp_f32_e32 v10, v10
	v_ldexp_f32 v10, v10, v11
	v_mad_u64_u32 v[11:12], null, s71, v7, v[3:4]
	v_cndmask_b32_e32 v10, 0, v10, vcc_lo
	v_cmp_ngt_f32_e32 vcc_lo, 0xc2b17218, v9
	v_add3_u32 v2, v26, v12, v25
	v_mul_lo_u32 v15, v11, s27
	v_cndmask_b32_e32 v9, 0x7f800000, v10, vcc_lo
	v_mad_u64_u32 v[11:12], null, v11, s26, 0
	v_mul_lo_u32 v2, v2, s26
	v_add_f32_e32 v17, 1.0, v9
	v_div_scale_f32 v21, null, v17, v17, 1.0
	v_div_scale_f32 v27, vcc_lo, 1.0, v17, 1.0
	v_add3_u32 v12, v12, v15, v2
	v_rcp_f32_e32 v22, v21
	v_sub_f32_e32 v15, v13, v16
	v_lshlrev_b64 v[11:12], 2, v[11:12]
	v_fma_f32 v9, -v21, v22, 1.0
	v_fmac_f32_e32 v22, v9, v22
	v_mad_u64_u32 v[9:10], null, s58, v5, 0
	v_mul_f32_e32 v29, v27, v22
	v_add3_u32 v10, v10, v24, v23
	v_fma_f32 v7, -v21, v29, v27
	v_fmac_f32_e32 v29, v7, v22
	v_add_co_u32 v7, s0, v3, v9
	v_add_co_ci_u32_e64 v8, null, v4, v10, s0
	v_fma_f32 v21, -v21, v29, v27
	s_mov_b32 s0, exec_lo
	v_or_b32_e32 v2, s55, v8
	v_div_fmas_f32 v21, v21, v22, v29
	v_add_co_u32 v19, vcc_lo, s48, v19
	v_add_co_ci_u32_e64 v20, null, s49, v20, vcc_lo
	v_div_fixup_f32 v17, v21, v17, 1.0
	v_add_co_u32 v11, vcc_lo, v19, v11
	v_add_co_ci_u32_e64 v12, null, v20, v12, vcc_lo
	v_fma_f32 v15, v17, v15, v16
	global_store_dword v[11:12], v15, off
                                        ; implicit-def: $vgpr11_vgpr12
	v_cmpx_ne_u64_e32 0, v[1:2]
	s_xor_b32 s61, exec_lo, s0
	s_cbranch_execz .LBB39_48
; %bb.47:                               ;   in Loop: Header=BB39_3 Depth=1
	s_ashr_i32 s62, s55, 31
	v_ashrrev_i32_e32 v15, 31, v8
	s_add_u32 s64, s54, s62
	s_mov_b32 s63, s62
	s_addc_u32 s65, s55, s62
	s_xor_b64 s[64:65], s[64:65], s[62:63]
	v_add_co_u32 v7, vcc_lo, v7, v15
	v_cvt_f32_u32_e32 v2, s64
	v_cvt_f32_u32_e32 v11, s65
	s_sub_u32 s74, 0, s64
	s_subb_u32 s75, 0, s65
	v_add_co_ci_u32_e64 v8, null, v8, v15, vcc_lo
	v_fmac_f32_e32 v2, 0x4f800000, v11
	v_xor_b32_e32 v21, v8, v15
	v_rcp_f32_e32 v2, v2
	v_mul_f32_e32 v2, 0x5f7ffffc, v2
	v_mul_f32_e32 v11, 0x2f800000, v2
	v_trunc_f32_e32 v11, v11
	v_fmac_f32_e32 v2, 0xcf800000, v11
	v_cvt_u32_f32_e32 v11, v11
	v_cvt_u32_f32_e32 v2, v2
	v_readfirstlane_b32 s0, v11
	v_readfirstlane_b32 s63, v2
	s_mul_i32 s76, s74, s0
	v_xor_b32_e32 v2, v7, v15
	s_mul_hi_u32 s78, s74, s63
	s_mul_i32 s77, s75, s63
	s_add_i32 s76, s78, s76
	s_mul_i32 s79, s74, s63
	s_add_i32 s76, s76, s77
	s_mul_hi_u32 s78, s63, s79
	s_mul_i32 s81, s63, s76
	s_mul_hi_u32 s80, s0, s79
	s_mul_i32 s77, s0, s79
	s_mul_hi_u32 s79, s63, s76
	s_add_u32 s78, s78, s81
	s_addc_u32 s79, 0, s79
	s_mul_hi_u32 s82, s0, s76
	s_add_u32 s77, s78, s77
	s_mul_i32 s76, s0, s76
	s_addc_u32 s77, s79, s80
	s_addc_u32 s78, s82, 0
	s_add_u32 s76, s77, s76
	s_addc_u32 s77, 0, s78
	s_add_u32 s63, s63, s76
	s_cselect_b32 s76, -1, 0
	s_mul_hi_u32 s78, s74, s63
	s_cmp_lg_u32 s76, 0
	s_mul_i32 s76, s74, s63
	s_addc_u32 s0, s0, s77
	s_mul_i32 s75, s75, s63
	s_mul_i32 s74, s74, s0
	s_mul_hi_u32 s77, s63, s76
	s_add_i32 s74, s78, s74
	s_mul_hi_u32 s78, s0, s76
	s_add_i32 s74, s74, s75
	s_mul_i32 s75, s0, s76
	s_mul_i32 s80, s63, s74
	s_mul_hi_u32 s79, s63, s74
	s_add_u32 s77, s77, s80
	s_addc_u32 s79, 0, s79
	s_mul_hi_u32 s76, s0, s74
	s_add_u32 s75, s77, s75
	s_mul_i32 s74, s0, s74
	s_addc_u32 s75, s79, s78
	s_addc_u32 s76, s76, 0
	s_add_u32 s74, s75, s74
	s_addc_u32 s75, 0, s76
	s_add_u32 s63, s63, s74
	s_cselect_b32 s74, -1, 0
	v_mul_hi_u32 v22, v2, s63
	s_cmp_lg_u32 s74, 0
	v_mad_u64_u32 v[11:12], null, v21, s63, 0
	s_addc_u32 s0, s0, s75
	v_mad_u64_u32 v[7:8], null, v2, s0, 0
	v_mad_u64_u32 v[19:20], null, v21, s0, 0
	v_add_co_u32 v7, vcc_lo, v22, v7
	v_add_co_ci_u32_e64 v8, null, 0, v8, vcc_lo
	v_add_co_u32 v7, vcc_lo, v7, v11
	v_add_co_ci_u32_e32 v7, vcc_lo, v8, v12, vcc_lo
	v_add_co_ci_u32_e32 v8, vcc_lo, 0, v20, vcc_lo
	v_add_co_u32 v11, vcc_lo, v7, v19
	v_add_co_ci_u32_e64 v12, null, 0, v8, vcc_lo
	v_mul_lo_u32 v19, s65, v11
	v_mad_u64_u32 v[7:8], null, s64, v11, 0
	v_mul_lo_u32 v20, s64, v12
	v_sub_co_u32 v2, vcc_lo, v2, v7
	v_add3_u32 v8, v8, v20, v19
	v_sub_nc_u32_e32 v19, v21, v8
	v_sub_co_ci_u32_e64 v8, null, v21, v8, vcc_lo
	v_subrev_co_ci_u32_e64 v7, null, s65, v19, vcc_lo
	v_add_co_u32 v19, s0, v11, 2
	v_add_co_ci_u32_e64 v20, null, 0, v12, s0
	v_sub_co_u32 v22, s0, v2, s64
	v_subrev_co_ci_u32_e64 v7, null, 0, v7, s0
	v_cmp_le_u32_e32 vcc_lo, s64, v22
	v_cndmask_b32_e64 v21, 0, -1, vcc_lo
	v_cmp_le_u32_e32 vcc_lo, s65, v7
	v_cndmask_b32_e64 v22, 0, -1, vcc_lo
	;; [unrolled: 2-line block ×4, first 2 shown]
	v_cmp_eq_u32_e32 vcc_lo, s65, v7
	v_cndmask_b32_e32 v7, v22, v21, vcc_lo
	v_add_co_u32 v21, vcc_lo, v11, 1
	v_add_co_ci_u32_e64 v22, null, 0, v12, vcc_lo
	v_cmp_eq_u32_e32 vcc_lo, s65, v8
	v_xor_b32_e32 v8, s62, v15
	v_cndmask_b32_e32 v2, v23, v2, vcc_lo
	v_cmp_ne_u32_e32 vcc_lo, 0, v7
	v_cmp_ne_u32_e64 s0, 0, v2
	v_cndmask_b32_e32 v2, v21, v19, vcc_lo
	v_cndmask_b32_e32 v7, v22, v20, vcc_lo
	v_cndmask_b32_e64 v2, v11, v2, s0
	v_cndmask_b32_e64 v7, v12, v7, s0
	v_xor_b32_e32 v2, v2, v8
	v_xor_b32_e32 v7, v7, v8
	v_sub_co_u32 v11, vcc_lo, v2, v8
	v_sub_co_ci_u32_e64 v12, null, v7, v8, vcc_lo
                                        ; implicit-def: $vgpr7
.LBB39_48:                              ;   in Loop: Header=BB39_3 Depth=1
	s_or_saveexec_b32 s0, s61
	v_cvt_f32_u32_e32 v15, s54
	s_xor_b32 exec_lo, exec_lo, s0
	s_cbranch_execz .LBB39_50
; %bb.49:                               ;   in Loop: Header=BB39_3 Depth=1
	v_rcp_iflag_f32_e32 v2, v15
	s_sub_i32 s61, 0, s54
	v_mov_b32_e32 v12, v1
	v_mul_f32_e32 v2, 0x4f7ffffe, v2
	v_cvt_u32_f32_e32 v2, v2
	v_mul_lo_u32 v8, s61, v2
	v_mul_hi_u32 v8, v2, v8
	v_add_nc_u32_e32 v2, v2, v8
	v_mul_hi_u32 v2, v7, v2
	v_mul_lo_u32 v8, v2, s54
	v_sub_nc_u32_e32 v7, v7, v8
	v_add_nc_u32_e32 v8, 1, v2
	v_subrev_nc_u32_e32 v11, s54, v7
	v_cmp_le_u32_e32 vcc_lo, s54, v7
	v_cndmask_b32_e32 v7, v7, v11, vcc_lo
	v_cndmask_b32_e32 v2, v2, v8, vcc_lo
	v_cmp_le_u32_e32 vcc_lo, s54, v7
	v_add_nc_u32_e32 v8, 1, v2
	v_cndmask_b32_e32 v11, v2, v8, vcc_lo
.LBB39_50:                              ;   in Loop: Header=BB39_3 Depth=1
	s_or_b32 exec_lo, exec_lo, s0
	v_mul_lo_u32 v2, v12, s54
	v_mul_lo_u32 v7, v11, s55
	v_mad_u64_u32 v[19:20], null, v11, s54, 0
	v_mul_lo_u32 v12, v12, s4
	v_mul_lo_u32 v21, v11, s5
	s_mov_b32 s0, exec_lo
	v_add3_u32 v2, v20, v7, v2
	v_sub_co_u32 v9, vcc_lo, v9, v19
	v_lshlrev_b64 v[7:8], 2, v[5:6]
	v_alignbit_b32 v5, v6, v5, 30
	v_sub_co_ci_u32_e64 v2, null, v10, v2, vcc_lo
	v_add_co_u32 v19, vcc_lo, v3, v9
	v_mad_u64_u32 v[9:10], null, v11, s4, 0
	v_add_co_ci_u32_e64 v2, null, v4, v2, vcc_lo
	v_mul_lo_u32 v23, v19, s7
	v_mad_u64_u32 v[19:20], null, v19, s6, 0
	v_mul_lo_u32 v2, v2, s6
	v_mul_lo_u32 v11, s8, v5
	;; [unrolled: 1-line block ×3, first 2 shown]
	v_mad_u64_u32 v[5:6], null, s8, v7, s[8:9]
	v_add3_u32 v10, v10, v21, v12
	v_add3_u32 v20, v20, v23, v2
	v_lshlrev_b64 v[9:10], 2, v[9:10]
	v_add3_u32 v6, v22, v6, v11
	v_add_co_u32 v11, vcc_lo, v3, v5
	v_lshlrev_b64 v[19:20], 2, v[19:20]
	v_add_co_ci_u32_e64 v12, null, v4, v6, vcc_lo
	v_add_co_u32 v9, vcc_lo, s52, v9
	v_add_co_ci_u32_e64 v10, null, s53, v10, vcc_lo
	v_or_b32_e32 v2, s55, v12
	v_add_co_u32 v9, vcc_lo, v9, v19
	v_add_co_ci_u32_e64 v10, null, v10, v20, vcc_lo
	global_store_dword v[9:10], v18, off
                                        ; implicit-def: $vgpr9_vgpr10
	v_cmpx_ne_u64_e32 0, v[1:2]
	s_xor_b32 s61, exec_lo, s0
	s_cbranch_execz .LBB39_52
; %bb.51:                               ;   in Loop: Header=BB39_3 Depth=1
	s_ashr_i32 s62, s55, 31
	v_ashrrev_i32_e32 v20, 31, v12
	s_add_u32 s64, s54, s62
	s_mov_b32 s63, s62
	s_addc_u32 s65, s55, s62
	s_xor_b64 s[64:65], s[64:65], s[62:63]
	v_add_co_u32 v10, vcc_lo, v11, v20
	v_cvt_f32_u32_e32 v2, s64
	v_cvt_f32_u32_e32 v9, s65
	s_sub_u32 s74, 0, s64
	s_subb_u32 s75, 0, s65
	v_add_co_ci_u32_e64 v11, null, v12, v20, vcc_lo
	v_fmac_f32_e32 v2, 0x4f800000, v9
	v_xor_b32_e32 v21, v11, v20
	v_rcp_f32_e32 v2, v2
	v_mul_f32_e32 v2, 0x5f7ffffc, v2
	v_mul_f32_e32 v9, 0x2f800000, v2
	v_trunc_f32_e32 v9, v9
	v_fmac_f32_e32 v2, 0xcf800000, v9
	v_cvt_u32_f32_e32 v9, v9
	v_cvt_u32_f32_e32 v2, v2
	v_readfirstlane_b32 s0, v9
	v_readfirstlane_b32 s63, v2
	s_mul_i32 s76, s74, s0
	v_xor_b32_e32 v2, v10, v20
	s_mul_hi_u32 s78, s74, s63
	s_mul_i32 s77, s75, s63
	s_add_i32 s76, s78, s76
	s_mul_i32 s79, s74, s63
	s_add_i32 s76, s76, s77
	s_mul_hi_u32 s78, s63, s79
	s_mul_i32 s81, s63, s76
	s_mul_hi_u32 s80, s0, s79
	s_mul_i32 s77, s0, s79
	s_mul_hi_u32 s79, s63, s76
	s_add_u32 s78, s78, s81
	s_addc_u32 s79, 0, s79
	s_mul_hi_u32 s82, s0, s76
	s_add_u32 s77, s78, s77
	s_mul_i32 s76, s0, s76
	s_addc_u32 s77, s79, s80
	s_addc_u32 s78, s82, 0
	s_add_u32 s76, s77, s76
	s_addc_u32 s77, 0, s78
	s_add_u32 s63, s63, s76
	s_cselect_b32 s76, -1, 0
	s_mul_hi_u32 s78, s74, s63
	s_cmp_lg_u32 s76, 0
	s_mul_i32 s76, s74, s63
	s_addc_u32 s0, s0, s77
	s_mul_i32 s75, s75, s63
	s_mul_i32 s74, s74, s0
	s_mul_hi_u32 s77, s63, s76
	s_add_i32 s74, s78, s74
	s_mul_hi_u32 s78, s0, s76
	s_add_i32 s74, s74, s75
	s_mul_i32 s75, s0, s76
	s_mul_i32 s80, s63, s74
	s_mul_hi_u32 s79, s63, s74
	s_add_u32 s77, s77, s80
	s_addc_u32 s79, 0, s79
	s_mul_hi_u32 s76, s0, s74
	s_add_u32 s75, s77, s75
	s_mul_i32 s74, s0, s74
	s_addc_u32 s75, s79, s78
	s_addc_u32 s76, s76, 0
	s_add_u32 s74, s75, s74
	s_addc_u32 s75, 0, s76
	s_add_u32 s63, s63, s74
	s_cselect_b32 s74, -1, 0
	v_mul_hi_u32 v22, v2, s63
	s_cmp_lg_u32 s74, 0
	v_mad_u64_u32 v[11:12], null, v21, s63, 0
	s_addc_u32 s0, s0, s75
	v_mad_u64_u32 v[9:10], null, v2, s0, 0
	v_mad_u64_u32 v[18:19], null, v21, s0, 0
	v_add_co_u32 v9, vcc_lo, v22, v9
	v_add_co_ci_u32_e64 v10, null, 0, v10, vcc_lo
	v_add_co_u32 v9, vcc_lo, v9, v11
	v_add_co_ci_u32_e32 v9, vcc_lo, v10, v12, vcc_lo
	v_add_co_ci_u32_e32 v10, vcc_lo, 0, v19, vcc_lo
	v_add_co_u32 v11, vcc_lo, v9, v18
	v_add_co_ci_u32_e64 v12, null, 0, v10, vcc_lo
	v_mul_lo_u32 v18, s65, v11
	v_mad_u64_u32 v[9:10], null, s64, v11, 0
	v_mul_lo_u32 v19, s64, v12
	v_sub_co_u32 v2, vcc_lo, v2, v9
	v_add3_u32 v10, v10, v19, v18
	v_sub_nc_u32_e32 v18, v21, v10
	v_sub_co_ci_u32_e64 v10, null, v21, v10, vcc_lo
	v_subrev_co_ci_u32_e64 v9, null, s65, v18, vcc_lo
	v_add_co_u32 v18, s0, v11, 2
	v_add_co_ci_u32_e64 v19, null, 0, v12, s0
	v_sub_co_u32 v22, s0, v2, s64
	v_subrev_co_ci_u32_e64 v9, null, 0, v9, s0
	v_cmp_le_u32_e32 vcc_lo, s64, v22
	v_cndmask_b32_e64 v21, 0, -1, vcc_lo
	v_cmp_le_u32_e32 vcc_lo, s65, v9
	v_cndmask_b32_e64 v22, 0, -1, vcc_lo
	;; [unrolled: 2-line block ×4, first 2 shown]
	v_cmp_eq_u32_e32 vcc_lo, s65, v9
	v_cndmask_b32_e32 v9, v22, v21, vcc_lo
	v_add_co_u32 v21, vcc_lo, v11, 1
	v_add_co_ci_u32_e64 v22, null, 0, v12, vcc_lo
	v_cmp_eq_u32_e32 vcc_lo, s65, v10
	v_xor_b32_e32 v10, s62, v20
	v_cndmask_b32_e32 v2, v23, v2, vcc_lo
	v_cmp_ne_u32_e32 vcc_lo, 0, v9
	v_cmp_ne_u32_e64 s0, 0, v2
	v_cndmask_b32_e32 v2, v21, v18, vcc_lo
	v_cndmask_b32_e32 v9, v22, v19, vcc_lo
	v_cndmask_b32_e64 v2, v11, v2, s0
	v_cndmask_b32_e64 v9, v12, v9, s0
	v_xor_b32_e32 v2, v2, v10
	v_xor_b32_e32 v11, v9, v10
	v_sub_co_u32 v9, vcc_lo, v2, v10
	v_sub_co_ci_u32_e64 v10, null, v11, v10, vcc_lo
                                        ; implicit-def: $vgpr11
.LBB39_52:                              ;   in Loop: Header=BB39_3 Depth=1
	s_andn2_saveexec_b32 s0, s61
	s_cbranch_execz .LBB39_54
; %bb.53:                               ;   in Loop: Header=BB39_3 Depth=1
	v_rcp_iflag_f32_e32 v2, v15
	s_sub_i32 s61, 0, s54
	v_mul_f32_e32 v2, 0x4f7ffffe, v2
	v_cvt_u32_f32_e32 v2, v2
	v_mul_lo_u32 v9, s61, v2
	v_mul_hi_u32 v9, v2, v9
	v_add_nc_u32_e32 v2, v2, v9
	v_mul_hi_u32 v2, v11, v2
	v_mul_lo_u32 v9, v2, s54
	v_add_nc_u32_e32 v10, 1, v2
	v_sub_nc_u32_e32 v9, v11, v9
	v_subrev_nc_u32_e32 v11, s54, v9
	v_cmp_le_u32_e32 vcc_lo, s54, v9
	v_cndmask_b32_e32 v9, v9, v11, vcc_lo
	v_cndmask_b32_e32 v2, v2, v10, vcc_lo
	v_cmp_le_u32_e32 vcc_lo, s54, v9
	v_add_nc_u32_e32 v10, 1, v2
	v_cndmask_b32_e32 v9, v2, v10, vcc_lo
	v_mov_b32_e32 v10, v1
.LBB39_54:                              ;   in Loop: Header=BB39_3 Depth=1
	s_or_b32 exec_lo, exec_lo, s0
	v_mul_lo_u32 v2, v10, s54
	v_mul_lo_u32 v18, v9, s55
	v_mad_u64_u32 v[11:12], null, v9, s54, 0
	v_mul_lo_u32 v19, v10, s4
	s_mov_b32 s0, exec_lo
	v_add3_u32 v2, v12, v18, v2
	v_sub_co_u32 v5, vcc_lo, v5, v11
	v_mul_lo_u32 v18, v9, s5
	v_mad_u64_u32 v[9:10], null, v9, s4, 0
	v_sub_co_ci_u32_e64 v2, null, v6, v2, vcc_lo
	v_add_co_u32 v5, vcc_lo, v3, v5
	v_add_co_ci_u32_e64 v2, null, v4, v2, vcc_lo
	v_add_co_u32 v6, vcc_lo, v7, 2
	v_add_co_ci_u32_e64 v20, null, 0, v8, vcc_lo
	v_mul_lo_u32 v21, v5, s7
	v_mul_lo_u32 v2, v2, s6
	v_mad_u64_u32 v[11:12], null, v5, s6, 0
	v_mul_lo_u32 v22, s9, v6
	v_mul_lo_u32 v20, s8, v20
	v_mad_u64_u32 v[5:6], null, s8, v6, 0
	v_add3_u32 v10, v10, v18, v19
	v_add3_u32 v12, v12, v21, v2
	v_lshlrev_b64 v[9:10], 2, v[9:10]
	v_add3_u32 v6, v6, v20, v22
	v_lshlrev_b64 v[18:19], 2, v[11:12]
	v_add_co_u32 v11, vcc_lo, v3, v5
	v_add_co_ci_u32_e64 v12, null, v4, v6, vcc_lo
	v_add_co_u32 v9, vcc_lo, s52, v9
	v_add_co_ci_u32_e64 v10, null, s53, v10, vcc_lo
	v_or_b32_e32 v2, s55, v12
	v_add_co_u32 v9, vcc_lo, v9, v18
	v_add_co_ci_u32_e64 v10, null, v10, v19, vcc_lo
	global_store_dword v[9:10], v17, off
                                        ; implicit-def: $vgpr9_vgpr10
	v_cmpx_ne_u64_e32 0, v[1:2]
	s_xor_b32 s61, exec_lo, s0
	s_cbranch_execz .LBB39_56
; %bb.55:                               ;   in Loop: Header=BB39_3 Depth=1
	s_ashr_i32 s62, s55, 31
	v_ashrrev_i32_e32 v19, 31, v12
	s_add_u32 s64, s54, s62
	s_mov_b32 s63, s62
	s_addc_u32 s65, s55, s62
	s_xor_b64 s[64:65], s[64:65], s[62:63]
	v_add_co_u32 v10, vcc_lo, v11, v19
	v_cvt_f32_u32_e32 v2, s64
	v_cvt_f32_u32_e32 v9, s65
	s_sub_u32 s74, 0, s64
	s_subb_u32 s75, 0, s65
	v_add_co_ci_u32_e64 v11, null, v12, v19, vcc_lo
	v_fmac_f32_e32 v2, 0x4f800000, v9
	v_xor_b32_e32 v20, v11, v19
	v_rcp_f32_e32 v2, v2
	v_mul_f32_e32 v2, 0x5f7ffffc, v2
	v_mul_f32_e32 v9, 0x2f800000, v2
	v_trunc_f32_e32 v9, v9
	v_fmac_f32_e32 v2, 0xcf800000, v9
	v_cvt_u32_f32_e32 v9, v9
	v_cvt_u32_f32_e32 v2, v2
	v_readfirstlane_b32 s0, v9
	v_readfirstlane_b32 s63, v2
	s_mul_i32 s76, s74, s0
	v_xor_b32_e32 v2, v10, v19
	s_mul_hi_u32 s78, s74, s63
	s_mul_i32 s77, s75, s63
	s_add_i32 s76, s78, s76
	s_mul_i32 s79, s74, s63
	s_add_i32 s76, s76, s77
	s_mul_hi_u32 s78, s63, s79
	s_mul_i32 s81, s63, s76
	s_mul_hi_u32 s80, s0, s79
	s_mul_i32 s77, s0, s79
	s_mul_hi_u32 s79, s63, s76
	s_add_u32 s78, s78, s81
	s_addc_u32 s79, 0, s79
	s_mul_hi_u32 s82, s0, s76
	s_add_u32 s77, s78, s77
	s_mul_i32 s76, s0, s76
	s_addc_u32 s77, s79, s80
	s_addc_u32 s78, s82, 0
	s_add_u32 s76, s77, s76
	s_addc_u32 s77, 0, s78
	s_add_u32 s63, s63, s76
	s_cselect_b32 s76, -1, 0
	s_mul_hi_u32 s78, s74, s63
	s_cmp_lg_u32 s76, 0
	s_mul_i32 s76, s74, s63
	s_addc_u32 s0, s0, s77
	s_mul_i32 s75, s75, s63
	s_mul_i32 s74, s74, s0
	s_mul_hi_u32 s77, s63, s76
	s_add_i32 s74, s78, s74
	s_mul_hi_u32 s78, s0, s76
	s_add_i32 s74, s74, s75
	s_mul_i32 s75, s0, s76
	s_mul_i32 s80, s63, s74
	s_mul_hi_u32 s79, s63, s74
	s_add_u32 s77, s77, s80
	s_addc_u32 s79, 0, s79
	s_mul_hi_u32 s76, s0, s74
	s_add_u32 s75, s77, s75
	s_mul_i32 s74, s0, s74
	s_addc_u32 s75, s79, s78
	s_addc_u32 s76, s76, 0
	s_add_u32 s74, s75, s74
	s_addc_u32 s75, 0, s76
	s_add_u32 s63, s63, s74
	s_cselect_b32 s74, -1, 0
	v_mul_hi_u32 v21, v2, s63
	s_cmp_lg_u32 s74, 0
	v_mad_u64_u32 v[11:12], null, v20, s63, 0
	s_addc_u32 s0, s0, s75
	v_mad_u64_u32 v[9:10], null, v2, s0, 0
	v_mad_u64_u32 v[17:18], null, v20, s0, 0
	v_add_co_u32 v9, vcc_lo, v21, v9
	v_add_co_ci_u32_e64 v10, null, 0, v10, vcc_lo
	v_add_co_u32 v9, vcc_lo, v9, v11
	v_add_co_ci_u32_e32 v9, vcc_lo, v10, v12, vcc_lo
	v_add_co_ci_u32_e32 v10, vcc_lo, 0, v18, vcc_lo
	v_add_co_u32 v11, vcc_lo, v9, v17
	v_add_co_ci_u32_e64 v12, null, 0, v10, vcc_lo
	v_mul_lo_u32 v17, s65, v11
	v_mad_u64_u32 v[9:10], null, s64, v11, 0
	v_mul_lo_u32 v18, s64, v12
	v_sub_co_u32 v2, vcc_lo, v2, v9
	v_add3_u32 v10, v10, v18, v17
	v_sub_nc_u32_e32 v17, v20, v10
	v_sub_co_ci_u32_e64 v10, null, v20, v10, vcc_lo
	v_subrev_co_ci_u32_e64 v9, null, s65, v17, vcc_lo
	v_add_co_u32 v17, s0, v11, 2
	v_add_co_ci_u32_e64 v18, null, 0, v12, s0
	v_sub_co_u32 v21, s0, v2, s64
	v_subrev_co_ci_u32_e64 v9, null, 0, v9, s0
	v_cmp_le_u32_e32 vcc_lo, s64, v21
	v_cndmask_b32_e64 v20, 0, -1, vcc_lo
	v_cmp_le_u32_e32 vcc_lo, s65, v9
	v_cndmask_b32_e64 v21, 0, -1, vcc_lo
	;; [unrolled: 2-line block ×4, first 2 shown]
	v_cmp_eq_u32_e32 vcc_lo, s65, v9
	v_cndmask_b32_e32 v9, v21, v20, vcc_lo
	v_add_co_u32 v20, vcc_lo, v11, 1
	v_add_co_ci_u32_e64 v21, null, 0, v12, vcc_lo
	v_cmp_eq_u32_e32 vcc_lo, s65, v10
	v_xor_b32_e32 v10, s62, v19
	v_cndmask_b32_e32 v2, v22, v2, vcc_lo
	v_cmp_ne_u32_e32 vcc_lo, 0, v9
	v_cmp_ne_u32_e64 s0, 0, v2
	v_cndmask_b32_e32 v2, v20, v17, vcc_lo
	v_cndmask_b32_e32 v9, v21, v18, vcc_lo
	v_cndmask_b32_e64 v2, v11, v2, s0
	v_cndmask_b32_e64 v9, v12, v9, s0
	v_xor_b32_e32 v2, v2, v10
	v_xor_b32_e32 v11, v9, v10
	v_sub_co_u32 v9, vcc_lo, v2, v10
	v_sub_co_ci_u32_e64 v10, null, v11, v10, vcc_lo
                                        ; implicit-def: $vgpr11
.LBB39_56:                              ;   in Loop: Header=BB39_3 Depth=1
	s_andn2_saveexec_b32 s0, s61
	s_cbranch_execz .LBB39_58
; %bb.57:                               ;   in Loop: Header=BB39_3 Depth=1
	v_rcp_iflag_f32_e32 v2, v15
	s_sub_i32 s61, 0, s54
	v_mul_f32_e32 v2, 0x4f7ffffe, v2
	v_cvt_u32_f32_e32 v2, v2
	v_mul_lo_u32 v9, s61, v2
	v_mul_hi_u32 v9, v2, v9
	v_add_nc_u32_e32 v2, v2, v9
	v_mul_hi_u32 v2, v11, v2
	v_mul_lo_u32 v9, v2, s54
	v_add_nc_u32_e32 v10, 1, v2
	v_sub_nc_u32_e32 v9, v11, v9
	v_subrev_nc_u32_e32 v11, s54, v9
	v_cmp_le_u32_e32 vcc_lo, s54, v9
	v_cndmask_b32_e32 v9, v9, v11, vcc_lo
	v_cndmask_b32_e32 v2, v2, v10, vcc_lo
	v_cmp_le_u32_e32 vcc_lo, s54, v9
	v_add_nc_u32_e32 v10, 1, v2
	v_cndmask_b32_e32 v9, v2, v10, vcc_lo
	v_mov_b32_e32 v10, v1
.LBB39_58:                              ;   in Loop: Header=BB39_3 Depth=1
	s_or_b32 exec_lo, exec_lo, s0
	v_mul_lo_u32 v2, v10, s54
	v_mul_lo_u32 v17, v9, s55
	v_mad_u64_u32 v[11:12], null, v9, s54, 0
	v_mul_lo_u32 v18, v10, s4
	s_mov_b32 s0, exec_lo
	v_add3_u32 v2, v12, v17, v2
	v_sub_co_u32 v5, vcc_lo, v5, v11
	v_mul_lo_u32 v17, v9, s5
	v_mad_u64_u32 v[9:10], null, v9, s4, 0
	v_sub_co_ci_u32_e64 v2, null, v6, v2, vcc_lo
	v_add_co_u32 v5, vcc_lo, v3, v5
	v_add_co_ci_u32_e64 v2, null, v4, v2, vcc_lo
	v_add_co_u32 v6, vcc_lo, v7, 3
	v_add_co_ci_u32_e64 v19, null, 0, v8, vcc_lo
	v_mul_lo_u32 v20, v5, s7
	v_mul_lo_u32 v2, v2, s6
	v_mad_u64_u32 v[11:12], null, v5, s6, 0
	v_mul_lo_u32 v21, s9, v6
	v_mul_lo_u32 v19, s8, v19
	v_mad_u64_u32 v[5:6], null, s8, v6, 0
	v_add3_u32 v10, v10, v17, v18
	v_add3_u32 v12, v12, v20, v2
	v_lshlrev_b64 v[9:10], 2, v[9:10]
	v_add3_u32 v6, v6, v19, v21
	v_lshlrev_b64 v[17:18], 2, v[11:12]
	v_add_co_u32 v11, vcc_lo, v3, v5
	v_add_co_ci_u32_e64 v12, null, v4, v6, vcc_lo
	v_add_co_u32 v9, vcc_lo, s52, v9
	v_add_co_ci_u32_e64 v10, null, s53, v10, vcc_lo
	v_or_b32_e32 v2, s55, v12
	v_add_co_u32 v9, vcc_lo, v9, v17
	v_add_co_ci_u32_e64 v10, null, v10, v18, vcc_lo
	global_store_dword v[9:10], v16, off
                                        ; implicit-def: $vgpr9_vgpr10
	v_cmpx_ne_u64_e32 0, v[1:2]
	s_xor_b32 s61, exec_lo, s0
	s_cbranch_execz .LBB39_60
; %bb.59:                               ;   in Loop: Header=BB39_3 Depth=1
	s_ashr_i32 s62, s55, 31
	v_ashrrev_i32_e32 v18, 31, v12
	s_add_u32 s64, s54, s62
	s_mov_b32 s63, s62
	s_addc_u32 s65, s55, s62
	s_xor_b64 s[64:65], s[64:65], s[62:63]
	v_add_co_u32 v10, vcc_lo, v11, v18
	v_cvt_f32_u32_e32 v2, s64
	v_cvt_f32_u32_e32 v9, s65
	s_sub_u32 s74, 0, s64
	s_subb_u32 s75, 0, s65
	v_add_co_ci_u32_e64 v11, null, v12, v18, vcc_lo
	v_fmac_f32_e32 v2, 0x4f800000, v9
	v_xor_b32_e32 v19, v11, v18
	v_rcp_f32_e32 v2, v2
	v_mul_f32_e32 v2, 0x5f7ffffc, v2
	v_mul_f32_e32 v9, 0x2f800000, v2
	v_trunc_f32_e32 v9, v9
	v_fmac_f32_e32 v2, 0xcf800000, v9
	v_cvt_u32_f32_e32 v9, v9
	v_cvt_u32_f32_e32 v2, v2
	v_readfirstlane_b32 s0, v9
	v_readfirstlane_b32 s63, v2
	s_mul_i32 s76, s74, s0
	v_xor_b32_e32 v2, v10, v18
	s_mul_hi_u32 s78, s74, s63
	s_mul_i32 s77, s75, s63
	s_add_i32 s76, s78, s76
	s_mul_i32 s79, s74, s63
	s_add_i32 s76, s76, s77
	s_mul_hi_u32 s78, s63, s79
	s_mul_i32 s81, s63, s76
	s_mul_hi_u32 s80, s0, s79
	s_mul_i32 s77, s0, s79
	s_mul_hi_u32 s79, s63, s76
	s_add_u32 s78, s78, s81
	s_addc_u32 s79, 0, s79
	s_mul_hi_u32 s82, s0, s76
	s_add_u32 s77, s78, s77
	s_mul_i32 s76, s0, s76
	s_addc_u32 s77, s79, s80
	s_addc_u32 s78, s82, 0
	s_add_u32 s76, s77, s76
	s_addc_u32 s77, 0, s78
	s_add_u32 s63, s63, s76
	s_cselect_b32 s76, -1, 0
	s_mul_hi_u32 s78, s74, s63
	s_cmp_lg_u32 s76, 0
	s_mul_i32 s76, s74, s63
	s_addc_u32 s0, s0, s77
	s_mul_i32 s75, s75, s63
	s_mul_i32 s74, s74, s0
	s_mul_hi_u32 s77, s63, s76
	s_add_i32 s74, s78, s74
	s_mul_hi_u32 s78, s0, s76
	s_add_i32 s74, s74, s75
	s_mul_i32 s75, s0, s76
	s_mul_i32 s80, s63, s74
	s_mul_hi_u32 s79, s63, s74
	s_add_u32 s77, s77, s80
	s_addc_u32 s79, 0, s79
	s_mul_hi_u32 s76, s0, s74
	s_add_u32 s75, s77, s75
	s_mul_i32 s74, s0, s74
	s_addc_u32 s75, s79, s78
	s_addc_u32 s76, s76, 0
	s_add_u32 s74, s75, s74
	s_addc_u32 s75, 0, s76
	s_add_u32 s63, s63, s74
	s_cselect_b32 s74, -1, 0
	v_mul_hi_u32 v20, v2, s63
	s_cmp_lg_u32 s74, 0
	v_mad_u64_u32 v[11:12], null, v19, s63, 0
	s_addc_u32 s0, s0, s75
	v_mad_u64_u32 v[9:10], null, v2, s0, 0
	v_mad_u64_u32 v[16:17], null, v19, s0, 0
	v_add_co_u32 v9, vcc_lo, v20, v9
	v_add_co_ci_u32_e64 v10, null, 0, v10, vcc_lo
	v_add_co_u32 v9, vcc_lo, v9, v11
	v_add_co_ci_u32_e32 v9, vcc_lo, v10, v12, vcc_lo
	v_add_co_ci_u32_e32 v10, vcc_lo, 0, v17, vcc_lo
	v_add_co_u32 v11, vcc_lo, v9, v16
	v_add_co_ci_u32_e64 v12, null, 0, v10, vcc_lo
	v_mul_lo_u32 v16, s65, v11
	v_mad_u64_u32 v[9:10], null, s64, v11, 0
	v_mul_lo_u32 v17, s64, v12
	v_sub_co_u32 v2, vcc_lo, v2, v9
	v_add3_u32 v10, v10, v17, v16
	v_sub_nc_u32_e32 v16, v19, v10
	v_sub_co_ci_u32_e64 v10, null, v19, v10, vcc_lo
	v_subrev_co_ci_u32_e64 v9, null, s65, v16, vcc_lo
	v_add_co_u32 v16, s0, v11, 2
	v_add_co_ci_u32_e64 v17, null, 0, v12, s0
	v_sub_co_u32 v20, s0, v2, s64
	v_subrev_co_ci_u32_e64 v9, null, 0, v9, s0
	v_cmp_le_u32_e32 vcc_lo, s64, v20
	v_cndmask_b32_e64 v19, 0, -1, vcc_lo
	v_cmp_le_u32_e32 vcc_lo, s65, v9
	v_cndmask_b32_e64 v20, 0, -1, vcc_lo
	;; [unrolled: 2-line block ×4, first 2 shown]
	v_cmp_eq_u32_e32 vcc_lo, s65, v9
	v_cndmask_b32_e32 v9, v20, v19, vcc_lo
	v_add_co_u32 v19, vcc_lo, v11, 1
	v_add_co_ci_u32_e64 v20, null, 0, v12, vcc_lo
	v_cmp_eq_u32_e32 vcc_lo, s65, v10
	v_xor_b32_e32 v10, s62, v18
	v_cndmask_b32_e32 v2, v21, v2, vcc_lo
	v_cmp_ne_u32_e32 vcc_lo, 0, v9
	v_cmp_ne_u32_e64 s0, 0, v2
	v_cndmask_b32_e32 v2, v19, v16, vcc_lo
	v_cndmask_b32_e32 v9, v20, v17, vcc_lo
	v_cndmask_b32_e64 v2, v11, v2, s0
	v_cndmask_b32_e64 v9, v12, v9, s0
	v_xor_b32_e32 v2, v2, v10
	v_xor_b32_e32 v11, v9, v10
	v_sub_co_u32 v9, vcc_lo, v2, v10
	v_sub_co_ci_u32_e64 v10, null, v11, v10, vcc_lo
                                        ; implicit-def: $vgpr11
.LBB39_60:                              ;   in Loop: Header=BB39_3 Depth=1
	s_andn2_saveexec_b32 s0, s61
	s_cbranch_execz .LBB39_62
; %bb.61:                               ;   in Loop: Header=BB39_3 Depth=1
	v_rcp_iflag_f32_e32 v2, v15
	s_sub_i32 s61, 0, s54
	v_mul_f32_e32 v2, 0x4f7ffffe, v2
	v_cvt_u32_f32_e32 v2, v2
	v_mul_lo_u32 v9, s61, v2
	v_mul_hi_u32 v9, v2, v9
	v_add_nc_u32_e32 v2, v2, v9
	v_mul_hi_u32 v2, v11, v2
	v_mul_lo_u32 v9, v2, s54
	v_add_nc_u32_e32 v10, 1, v2
	v_sub_nc_u32_e32 v9, v11, v9
	v_subrev_nc_u32_e32 v11, s54, v9
	v_cmp_le_u32_e32 vcc_lo, s54, v9
	v_cndmask_b32_e32 v9, v9, v11, vcc_lo
	v_cndmask_b32_e32 v2, v2, v10, vcc_lo
	v_cmp_le_u32_e32 vcc_lo, s54, v9
	v_add_nc_u32_e32 v10, 1, v2
	v_cndmask_b32_e32 v9, v2, v10, vcc_lo
	v_mov_b32_e32 v10, v1
.LBB39_62:                              ;   in Loop: Header=BB39_3 Depth=1
	s_or_b32 exec_lo, exec_lo, s0
	v_mul_lo_u32 v2, v10, s54
	v_mul_lo_u32 v16, v9, s55
	v_mad_u64_u32 v[11:12], null, v9, s54, 0
	v_mul_lo_u32 v17, v10, s4
	s_mov_b32 s0, exec_lo
	v_add3_u32 v2, v12, v16, v2
	v_sub_co_u32 v5, vcc_lo, v5, v11
	v_mul_lo_u32 v12, v9, s5
	v_mad_u64_u32 v[9:10], null, v9, s4, 0
	v_sub_co_ci_u32_e64 v2, null, v6, v2, vcc_lo
	v_add_co_u32 v5, vcc_lo, v3, v5
	v_add_co_ci_u32_e64 v2, null, v4, v2, vcc_lo
	v_add_co_u32 v6, vcc_lo, v7, 4
	v_add_co_ci_u32_e64 v11, null, 0, v8, vcc_lo
	v_mul_lo_u32 v16, v5, s7
	v_mul_lo_u32 v2, v2, s6
	v_mad_u64_u32 v[7:8], null, v5, s6, 0
	v_mul_lo_u32 v18, s9, v6
	v_mul_lo_u32 v19, s8, v11
	v_mad_u64_u32 v[5:6], null, s8, v6, 0
	v_add3_u32 v10, v10, v12, v17
	v_add3_u32 v8, v8, v16, v2
	v_lshlrev_b64 v[11:12], 2, v[9:10]
	v_add3_u32 v6, v6, v19, v18
	v_add_co_u32 v9, vcc_lo, v3, v5
	v_lshlrev_b64 v[7:8], 2, v[7:8]
	v_add_co_ci_u32_e64 v10, null, v4, v6, vcc_lo
	v_add_co_u32 v11, vcc_lo, s52, v11
	v_add_co_ci_u32_e64 v12, null, s53, v12, vcc_lo
	v_or_b32_e32 v2, s55, v10
	v_add_co_u32 v7, vcc_lo, v11, v7
	v_add_co_ci_u32_e64 v8, null, v12, v8, vcc_lo
	global_store_dword v[7:8], v13, off
                                        ; implicit-def: $vgpr7_vgpr8
	v_cmpx_ne_u64_e32 0, v[1:2]
	s_xor_b32 s61, exec_lo, s0
	s_cbranch_execz .LBB39_64
; %bb.63:                               ;   in Loop: Header=BB39_3 Depth=1
	s_ashr_i32 s62, s55, 31
	v_ashrrev_i32_e32 v13, 31, v10
	s_add_u32 s64, s54, s62
	s_mov_b32 s63, s62
	s_addc_u32 s65, s55, s62
	s_xor_b64 s[64:65], s[64:65], s[62:63]
	v_add_co_u32 v8, vcc_lo, v9, v13
	v_cvt_f32_u32_e32 v2, s64
	v_cvt_f32_u32_e32 v7, s65
	s_sub_u32 s74, 0, s64
	s_subb_u32 s75, 0, s65
	v_add_co_ci_u32_e64 v9, null, v10, v13, vcc_lo
	v_fmac_f32_e32 v2, 0x4f800000, v7
	v_xor_b32_e32 v15, v9, v13
	v_rcp_f32_e32 v2, v2
	v_mul_f32_e32 v2, 0x5f7ffffc, v2
	v_mul_f32_e32 v7, 0x2f800000, v2
	v_trunc_f32_e32 v7, v7
	v_fmac_f32_e32 v2, 0xcf800000, v7
	v_cvt_u32_f32_e32 v7, v7
	v_cvt_u32_f32_e32 v2, v2
	v_readfirstlane_b32 s0, v7
	v_readfirstlane_b32 s63, v2
	s_mul_i32 s76, s74, s0
	v_xor_b32_e32 v2, v8, v13
	s_mul_hi_u32 s78, s74, s63
	s_mul_i32 s77, s75, s63
	s_add_i32 s76, s78, s76
	s_mul_i32 s79, s74, s63
	s_add_i32 s76, s76, s77
	s_mul_hi_u32 s78, s63, s79
	s_mul_i32 s81, s63, s76
	s_mul_hi_u32 s80, s0, s79
	s_mul_i32 s77, s0, s79
	s_mul_hi_u32 s79, s63, s76
	s_add_u32 s78, s78, s81
	s_addc_u32 s79, 0, s79
	s_mul_hi_u32 s82, s0, s76
	s_add_u32 s77, s78, s77
	s_mul_i32 s76, s0, s76
	s_addc_u32 s77, s79, s80
	s_addc_u32 s78, s82, 0
	s_add_u32 s76, s77, s76
	s_addc_u32 s77, 0, s78
	s_add_u32 s63, s63, s76
	s_cselect_b32 s76, -1, 0
	s_mul_hi_u32 s78, s74, s63
	s_cmp_lg_u32 s76, 0
	s_mul_i32 s76, s74, s63
	s_addc_u32 s0, s0, s77
	s_mul_i32 s75, s75, s63
	s_mul_i32 s74, s74, s0
	s_mul_hi_u32 s77, s63, s76
	s_add_i32 s74, s78, s74
	s_mul_hi_u32 s78, s0, s76
	s_add_i32 s74, s74, s75
	s_mul_i32 s75, s0, s76
	s_mul_i32 s80, s63, s74
	s_mul_hi_u32 s79, s63, s74
	s_add_u32 s77, s77, s80
	s_addc_u32 s79, 0, s79
	s_mul_hi_u32 s76, s0, s74
	s_add_u32 s75, s77, s75
	s_mul_i32 s74, s0, s74
	s_addc_u32 s75, s79, s78
	s_addc_u32 s76, s76, 0
	s_add_u32 s74, s75, s74
	s_addc_u32 s75, 0, s76
	s_add_u32 s63, s63, s74
	s_cselect_b32 s74, -1, 0
	v_mul_hi_u32 v16, v2, s63
	s_cmp_lg_u32 s74, 0
	v_mad_u64_u32 v[9:10], null, v15, s63, 0
	s_addc_u32 s0, s0, s75
	v_mad_u64_u32 v[7:8], null, v2, s0, 0
	v_mad_u64_u32 v[11:12], null, v15, s0, 0
	v_add_co_u32 v7, vcc_lo, v16, v7
	v_add_co_ci_u32_e64 v8, null, 0, v8, vcc_lo
	v_add_co_u32 v7, vcc_lo, v7, v9
	v_add_co_ci_u32_e32 v7, vcc_lo, v8, v10, vcc_lo
	v_add_co_ci_u32_e32 v8, vcc_lo, 0, v12, vcc_lo
	v_add_co_u32 v9, vcc_lo, v7, v11
	v_add_co_ci_u32_e64 v10, null, 0, v8, vcc_lo
	v_mul_lo_u32 v11, s65, v9
	v_mad_u64_u32 v[7:8], null, s64, v9, 0
	v_mul_lo_u32 v12, s64, v10
	v_sub_co_u32 v2, vcc_lo, v2, v7
	v_add3_u32 v8, v8, v12, v11
	v_sub_nc_u32_e32 v11, v15, v8
	v_sub_co_ci_u32_e64 v8, null, v15, v8, vcc_lo
	v_subrev_co_ci_u32_e64 v7, null, s65, v11, vcc_lo
	v_add_co_u32 v11, s0, v9, 2
	v_add_co_ci_u32_e64 v12, null, 0, v10, s0
	v_sub_co_u32 v16, s0, v2, s64
	v_subrev_co_ci_u32_e64 v7, null, 0, v7, s0
	v_cmp_le_u32_e32 vcc_lo, s64, v16
	v_cndmask_b32_e64 v15, 0, -1, vcc_lo
	v_cmp_le_u32_e32 vcc_lo, s65, v7
	v_cndmask_b32_e64 v16, 0, -1, vcc_lo
	;; [unrolled: 2-line block ×4, first 2 shown]
	v_cmp_eq_u32_e32 vcc_lo, s65, v7
	v_cndmask_b32_e32 v7, v16, v15, vcc_lo
	v_add_co_u32 v15, vcc_lo, v9, 1
	v_add_co_ci_u32_e64 v16, null, 0, v10, vcc_lo
	v_cmp_eq_u32_e32 vcc_lo, s65, v8
	v_xor_b32_e32 v8, s62, v13
	v_cndmask_b32_e32 v2, v17, v2, vcc_lo
	v_cmp_ne_u32_e32 vcc_lo, 0, v7
	v_cmp_ne_u32_e64 s0, 0, v2
	v_cndmask_b32_e32 v2, v15, v11, vcc_lo
	v_cndmask_b32_e32 v7, v16, v12, vcc_lo
                                        ; implicit-def: $vgpr15
	v_cndmask_b32_e64 v2, v9, v2, s0
	v_cndmask_b32_e64 v7, v10, v7, s0
	v_xor_b32_e32 v2, v2, v8
	v_xor_b32_e32 v9, v7, v8
	v_sub_co_u32 v7, vcc_lo, v2, v8
	v_sub_co_ci_u32_e64 v8, null, v9, v8, vcc_lo
                                        ; implicit-def: $vgpr9
.LBB39_64:                              ;   in Loop: Header=BB39_3 Depth=1
	s_andn2_saveexec_b32 s0, s61
	s_cbranch_execz .LBB39_2
; %bb.65:                               ;   in Loop: Header=BB39_3 Depth=1
	v_rcp_iflag_f32_e32 v2, v15
	s_sub_i32 s61, 0, s54
	v_mul_f32_e32 v2, 0x4f7ffffe, v2
	v_cvt_u32_f32_e32 v2, v2
	v_mul_lo_u32 v7, s61, v2
	v_mul_hi_u32 v7, v2, v7
	v_add_nc_u32_e32 v2, v2, v7
	v_mul_hi_u32 v2, v9, v2
	v_mul_lo_u32 v7, v2, s54
	v_add_nc_u32_e32 v8, 1, v2
	v_sub_nc_u32_e32 v7, v9, v7
	v_subrev_nc_u32_e32 v9, s54, v7
	v_cmp_le_u32_e32 vcc_lo, s54, v7
	v_cndmask_b32_e32 v7, v7, v9, vcc_lo
	v_cndmask_b32_e32 v2, v2, v8, vcc_lo
	v_cmp_le_u32_e32 vcc_lo, s54, v7
	v_add_nc_u32_e32 v8, 1, v2
	v_cndmask_b32_e32 v7, v2, v8, vcc_lo
	v_mov_b32_e32 v8, v1
	s_branch .LBB39_2
.LBB39_66:
	s_endpgm
	.section	.rodata,"a",@progbits
	.p2align	6, 0x0
	.amdhsa_kernel _ZN2at6native12_GLOBAL__N_16kernel16gru_cell_forwardIfflLi2EEEvNS_4cuda6detail10TensorInfoIT_T1_EES9_S9_S9_S9_S9_S9_S8_S8_
		.amdhsa_group_segment_fixed_size 0
		.amdhsa_private_segment_fixed_size 0
		.amdhsa_kernarg_size 3184
		.amdhsa_user_sgpr_count 6
		.amdhsa_user_sgpr_private_segment_buffer 1
		.amdhsa_user_sgpr_dispatch_ptr 0
		.amdhsa_user_sgpr_queue_ptr 0
		.amdhsa_user_sgpr_kernarg_segment_ptr 1
		.amdhsa_user_sgpr_dispatch_id 0
		.amdhsa_user_sgpr_flat_scratch_init 0
		.amdhsa_user_sgpr_private_segment_size 0
		.amdhsa_wavefront_size32 1
		.amdhsa_uses_dynamic_stack 0
		.amdhsa_system_sgpr_private_segment_wavefront_offset 0
		.amdhsa_system_sgpr_workgroup_id_x 1
		.amdhsa_system_sgpr_workgroup_id_y 0
		.amdhsa_system_sgpr_workgroup_id_z 0
		.amdhsa_system_sgpr_workgroup_info 0
		.amdhsa_system_vgpr_workitem_id 0
		.amdhsa_next_free_vgpr 34
		.amdhsa_next_free_sgpr 83
		.amdhsa_reserve_vcc 1
		.amdhsa_reserve_flat_scratch 0
		.amdhsa_float_round_mode_32 0
		.amdhsa_float_round_mode_16_64 0
		.amdhsa_float_denorm_mode_32 3
		.amdhsa_float_denorm_mode_16_64 3
		.amdhsa_dx10_clamp 1
		.amdhsa_ieee_mode 1
		.amdhsa_fp16_overflow 0
		.amdhsa_workgroup_processor_mode 1
		.amdhsa_memory_ordered 1
		.amdhsa_forward_progress 1
		.amdhsa_shared_vgpr_count 0
		.amdhsa_exception_fp_ieee_invalid_op 0
		.amdhsa_exception_fp_denorm_src 0
		.amdhsa_exception_fp_ieee_div_zero 0
		.amdhsa_exception_fp_ieee_overflow 0
		.amdhsa_exception_fp_ieee_underflow 0
		.amdhsa_exception_fp_ieee_inexact 0
		.amdhsa_exception_int_div_zero 0
	.end_amdhsa_kernel
	.section	.text._ZN2at6native12_GLOBAL__N_16kernel16gru_cell_forwardIfflLi2EEEvNS_4cuda6detail10TensorInfoIT_T1_EES9_S9_S9_S9_S9_S9_S8_S8_,"axG",@progbits,_ZN2at6native12_GLOBAL__N_16kernel16gru_cell_forwardIfflLi2EEEvNS_4cuda6detail10TensorInfoIT_T1_EES9_S9_S9_S9_S9_S9_S8_S8_,comdat
.Lfunc_end39:
	.size	_ZN2at6native12_GLOBAL__N_16kernel16gru_cell_forwardIfflLi2EEEvNS_4cuda6detail10TensorInfoIT_T1_EES9_S9_S9_S9_S9_S9_S8_S8_, .Lfunc_end39-_ZN2at6native12_GLOBAL__N_16kernel16gru_cell_forwardIfflLi2EEEvNS_4cuda6detail10TensorInfoIT_T1_EES9_S9_S9_S9_S9_S9_S8_S8_
                                        ; -- End function
	.set _ZN2at6native12_GLOBAL__N_16kernel16gru_cell_forwardIfflLi2EEEvNS_4cuda6detail10TensorInfoIT_T1_EES9_S9_S9_S9_S9_S9_S8_S8_.num_vgpr, 34
	.set _ZN2at6native12_GLOBAL__N_16kernel16gru_cell_forwardIfflLi2EEEvNS_4cuda6detail10TensorInfoIT_T1_EES9_S9_S9_S9_S9_S9_S8_S8_.num_agpr, 0
	.set _ZN2at6native12_GLOBAL__N_16kernel16gru_cell_forwardIfflLi2EEEvNS_4cuda6detail10TensorInfoIT_T1_EES9_S9_S9_S9_S9_S9_S8_S8_.numbered_sgpr, 83
	.set _ZN2at6native12_GLOBAL__N_16kernel16gru_cell_forwardIfflLi2EEEvNS_4cuda6detail10TensorInfoIT_T1_EES9_S9_S9_S9_S9_S9_S8_S8_.num_named_barrier, 0
	.set _ZN2at6native12_GLOBAL__N_16kernel16gru_cell_forwardIfflLi2EEEvNS_4cuda6detail10TensorInfoIT_T1_EES9_S9_S9_S9_S9_S9_S8_S8_.private_seg_size, 0
	.set _ZN2at6native12_GLOBAL__N_16kernel16gru_cell_forwardIfflLi2EEEvNS_4cuda6detail10TensorInfoIT_T1_EES9_S9_S9_S9_S9_S9_S8_S8_.uses_vcc, 1
	.set _ZN2at6native12_GLOBAL__N_16kernel16gru_cell_forwardIfflLi2EEEvNS_4cuda6detail10TensorInfoIT_T1_EES9_S9_S9_S9_S9_S9_S8_S8_.uses_flat_scratch, 0
	.set _ZN2at6native12_GLOBAL__N_16kernel16gru_cell_forwardIfflLi2EEEvNS_4cuda6detail10TensorInfoIT_T1_EES9_S9_S9_S9_S9_S9_S8_S8_.has_dyn_sized_stack, 0
	.set _ZN2at6native12_GLOBAL__N_16kernel16gru_cell_forwardIfflLi2EEEvNS_4cuda6detail10TensorInfoIT_T1_EES9_S9_S9_S9_S9_S9_S8_S8_.has_recursion, 0
	.set _ZN2at6native12_GLOBAL__N_16kernel16gru_cell_forwardIfflLi2EEEvNS_4cuda6detail10TensorInfoIT_T1_EES9_S9_S9_S9_S9_S9_S8_S8_.has_indirect_call, 0
	.section	.AMDGPU.csdata,"",@progbits
; Kernel info:
; codeLenInByte = 14920
; TotalNumSgprs: 85
; NumVgprs: 34
; ScratchSize: 0
; MemoryBound: 0
; FloatMode: 240
; IeeeMode: 1
; LDSByteSize: 0 bytes/workgroup (compile time only)
; SGPRBlocks: 0
; VGPRBlocks: 4
; NumSGPRsForWavesPerEU: 85
; NumVGPRsForWavesPerEU: 34
; Occupancy: 16
; WaveLimiterHint : 1
; COMPUTE_PGM_RSRC2:SCRATCH_EN: 0
; COMPUTE_PGM_RSRC2:USER_SGPR: 6
; COMPUTE_PGM_RSRC2:TRAP_HANDLER: 0
; COMPUTE_PGM_RSRC2:TGID_X_EN: 1
; COMPUTE_PGM_RSRC2:TGID_Y_EN: 0
; COMPUTE_PGM_RSRC2:TGID_Z_EN: 0
; COMPUTE_PGM_RSRC2:TIDIG_COMP_CNT: 0
	.section	.text._ZN2at6native12_GLOBAL__N_16kernel16gru_cell_forwardIN3c104HalfEfiLi1EEEvNS_4cuda6detail10TensorInfoIT_T1_EESB_SB_SB_SB_SB_SB_SA_SA_,"axG",@progbits,_ZN2at6native12_GLOBAL__N_16kernel16gru_cell_forwardIN3c104HalfEfiLi1EEEvNS_4cuda6detail10TensorInfoIT_T1_EESB_SB_SB_SB_SB_SB_SA_SA_,comdat
	.globl	_ZN2at6native12_GLOBAL__N_16kernel16gru_cell_forwardIN3c104HalfEfiLi1EEEvNS_4cuda6detail10TensorInfoIT_T1_EESB_SB_SB_SB_SB_SB_SA_SA_ ; -- Begin function _ZN2at6native12_GLOBAL__N_16kernel16gru_cell_forwardIN3c104HalfEfiLi1EEEvNS_4cuda6detail10TensorInfoIT_T1_EESB_SB_SB_SB_SB_SB_SA_SA_
	.p2align	8
	.type	_ZN2at6native12_GLOBAL__N_16kernel16gru_cell_forwardIN3c104HalfEfiLi1EEEvNS_4cuda6detail10TensorInfoIT_T1_EESB_SB_SB_SB_SB_SB_SA_SA_,@function
_ZN2at6native12_GLOBAL__N_16kernel16gru_cell_forwardIN3c104HalfEfiLi1EEEvNS_4cuda6detail10TensorInfoIT_T1_EESB_SB_SB_SB_SB_SB_SA_SA_: ; @_ZN2at6native12_GLOBAL__N_16kernel16gru_cell_forwardIN3c104HalfEfiLi1EEEvNS_4cuda6detail10TensorInfoIT_T1_EESB_SB_SB_SB_SB_SB_SA_SA_
; %bb.0:
	s_clause 0x1
	s_load_dword s7, s[4:5], 0x5fc
	s_load_dwordx2 s[2:3], s[4:5], 0x5e8
	s_add_u32 s0, s4, 0x5f0
	s_addc_u32 s1, s5, 0
	s_waitcnt lgkmcnt(0)
	s_and_b32 s25, s7, 0xffff
	v_mad_u64_u32 v[0:1], null, s6, s25, v[0:1]
	s_mov_b32 s6, exec_lo
	v_cmpx_gt_i32_e64 s3, v0
	s_cbranch_execz .LBB40_9
; %bb.1:
	s_clause 0x3
	s_load_dwordx2 s[6:7], s[4:5], 0x1b0
	s_load_dword s20, s[4:5], 0x21c
	s_load_dwordx2 s[8:9], s[4:5], 0x288
	s_load_dword s21, s[4:5], 0x2f4
	s_load_dword s0, s[0:1], 0x0
	s_clause 0x7
	s_load_dword s30, s[4:5], 0x3cc
	s_load_dword s31, s[4:5], 0x4a4
	s_load_dwordx2 s[10:11], s[4:5], 0x360
	s_load_dwordx2 s[12:13], s[4:5], 0x438
	;; [unrolled: 1-line block ×3, first 2 shown]
	s_load_dword s1, s[4:5], 0x6c
	s_load_dwordx2 s[16:17], s[4:5], 0xd8
	s_load_dword s24, s[4:5], 0x144
	s_mov_b32 s33, 0xbbbac73d
	s_waitcnt lgkmcnt(0)
	s_cmp_lg_u64 s[6:7], 0
	s_cselect_b32 s22, -1, 0
	s_abs_i32 s23, s2
	v_mul_lo_u32 v3, v0, s31
	v_cvt_f32_u32_e32 v1, s23
	s_sub_i32 s18, 0, s23
	s_mul_i32 s25, s0, s25
	s_ashr_i32 s26, s2, 31
	s_lshl_b32 s27, s2, 1
	v_rcp_iflag_f32_e32 v1, v1
	s_lshl_b32 s28, s2, 2
	s_sub_i32 s29, 0, s2
	s_mul_i32 s31, s25, s31
	v_mul_f32_e32 v1, 0x4f7ffffe, v1
	v_cvt_u32_f32_e32 v2, v1
	v_mul_lo_u32 v1, s18, v2
	s_clause 0x1
	s_load_dwordx2 s[18:19], s[4:5], 0x510
	s_load_dword s4, s[4:5], 0x57c
	s_mov_b32 s5, 0
	v_mul_hi_u32 v4, v2, v1
	v_mul_lo_u32 v1, v0, s30
	s_mul_i32 s30, s25, s30
	v_add_nc_u32_e32 v5, v2, v4
	s_branch .LBB40_3
.LBB40_2:                               ;   in Loop: Header=BB40_3 Depth=1
	s_or_b32 exec_lo, exec_lo, s0
	v_cvt_f32_f16_e32 v8, v8
	v_cvt_f32_f16_e32 v9, v9
	v_bfi_b32 v18, 0x7fffffff, v13, v12
	v_cvt_f16_f32_e32 v20, v10
	v_cvt_f16_f32_e32 v19, v11
	v_lshlrev_b32_e32 v11, 2, v7
	v_add_f32_e32 v8, v8, v9
	v_lshlrev_b32_e32 v13, 2, v6
	v_cvt_f16_f32_e32 v21, v18
	v_add_f32_e32 v8, v8, v15
	v_add_f32_e32 v14, v14, v8
	v_mul_f32_e32 v8, 0xbfb8aa3b, v14
	v_cmp_nlt_f32_e32 vcc_lo, 0x42ce8ed0, v14
	v_fma_f32 v9, 0xbfb8aa3b, v14, -v8
	v_rndne_f32_e32 v15, v8
	v_fmac_f32_e32 v9, 0xb2a5705f, v14
	v_sub_f32_e32 v8, v8, v15
	v_cvt_i32_f32_e32 v12, v15
	v_add_f32_e32 v8, v8, v9
	v_exp_f32_e32 v16, v8
	v_mad_u64_u32 v[8:9], null, s28, v4, v[0:1]
	v_ashrrev_i32_e32 v4, 31, v3
	s_waitcnt vmcnt(0)
	v_cvt_f32_f16_e32 v9, v2
	v_add_nc_u32_e32 v1, s30, v1
	v_lshlrev_b64 v[6:7], 1, v[3:4]
	v_sub_f32_e32 v4, v9, v18
	v_ldexp_f32 v10, v16, v12
	s_waitcnt lgkmcnt(0)
	v_mul_lo_u32 v8, v8, s4
	v_add_nc_u32_e32 v3, s31, v3
	v_cndmask_b32_e32 v9, 0, v10, vcc_lo
	v_cmp_ngt_f32_e32 vcc_lo, 0xc2b17218, v14
	v_sub_nc_u32_e32 v10, v11, v13
	v_cndmask_b32_e32 v9, 0x7f800000, v9, vcc_lo
	v_or_b32_e32 v11, 1, v10
	v_or_b32_e32 v12, 2, v10
	;; [unrolled: 1-line block ×3, first 2 shown]
	v_add_co_u32 v6, vcc_lo, s12, v6
	v_add_f32_e32 v22, 1.0, v9
	v_add_nc_u32_e32 v9, 4, v10
	v_mad_u64_u32 v[10:11], null, s2, v11, v[0:1]
	v_mad_u64_u32 v[11:12], null, s2, v12, v[0:1]
	v_div_scale_f32 v23, null, v22, v22, 1.0
	v_mad_u64_u32 v[12:13], null, s2, v13, v[0:1]
	v_mad_u64_u32 v[13:14], null, s2, v9, v[0:1]
	v_rcp_f32_e32 v24, v23
	v_div_scale_f32 v25, s0, 1.0, v22, 1.0
	v_mul_lo_u32 v10, v10, s4
	v_ashrrev_i32_e32 v9, 31, v8
	v_add_nc_u32_e32 v0, s25, v0
	v_add_co_ci_u32_e64 v7, null, s13, v7, vcc_lo
	v_mul_lo_u32 v12, v12, s4
	v_lshlrev_b64 v[8:9], 1, v[8:9]
	v_fma_f32 v14, -v23, v24, 1.0
	v_cmp_le_i32_e32 vcc_lo, s3, v0
	v_mul_lo_u32 v16, v13, s4
	v_fmac_f32_e32 v24, v14, v24
	v_mul_lo_u32 v14, v11, s4
	v_ashrrev_i32_e32 v11, 31, v10
	s_or_b32 s5, vcc_lo, s5
	v_add_co_u32 v8, vcc_lo, s18, v8
	v_mul_f32_e32 v26, v25, v24
	v_lshlrev_b64 v[10:11], 1, v[10:11]
	v_add_co_ci_u32_e64 v9, null, s19, v9, vcc_lo
	v_ashrrev_i32_e32 v15, 31, v14
	v_fma_f32 v27, -v23, v26, v25
	v_ashrrev_i32_e32 v13, 31, v12
	v_add_co_u32 v10, vcc_lo, s18, v10
	v_add_co_ci_u32_e64 v11, null, s19, v11, vcc_lo
	v_fmac_f32_e32 v26, v27, v24
	s_mov_b32 vcc_lo, s0
	v_ashrrev_i32_e32 v17, 31, v16
	v_lshlrev_b64 v[14:15], 1, v[14:15]
	v_lshlrev_b64 v[12:13], 1, v[12:13]
	v_fma_f32 v23, -v23, v26, v25
	v_lshlrev_b64 v[16:17], 1, v[16:17]
	v_div_fmas_f32 v23, v23, v24, v26
	v_add_co_u32 v14, vcc_lo, s18, v14
	v_add_co_ci_u32_e64 v15, null, s19, v15, vcc_lo
	v_div_fixup_f32 v22, v23, v22, 1.0
	v_add_co_u32 v12, vcc_lo, s18, v12
	v_add_co_ci_u32_e64 v13, null, s19, v13, vcc_lo
	v_fma_mixlo_f16 v4, v22, v4, v18
	v_cvt_f16_f32_e32 v18, v22
	v_add_co_u32 v16, vcc_lo, s18, v16
	v_add_co_ci_u32_e64 v17, null, s19, v17, vcc_lo
	global_store_short v[6:7], v4, off
	global_store_short v[8:9], v19, off
	global_store_short v[10:11], v18, off
	global_store_short v[14:15], v21, off
	global_store_short v[12:13], v2, off
	global_store_short v[16:17], v20, off
	s_andn2_b32 exec_lo, exec_lo, s5
	s_cbranch_execz .LBB40_9
.LBB40_3:                               ; =>This Inner Loop Header: Depth=1
	v_sub_nc_u32_e32 v2, 0, v0
	v_max_i32_e32 v2, v0, v2
	v_mul_hi_u32 v4, v2, v5
	v_mul_lo_u32 v6, v4, s23
	v_sub_nc_u32_e32 v2, v2, v6
	v_add_nc_u32_e32 v6, 1, v4
	v_subrev_nc_u32_e32 v7, s23, v2
	v_cmp_le_u32_e32 vcc_lo, s23, v2
	v_cndmask_b32_e32 v4, v4, v6, vcc_lo
	v_cndmask_b32_e32 v2, v2, v7, vcc_lo
	v_ashrrev_i32_e32 v6, 31, v0
	v_add_nc_u32_e32 v7, 1, v4
	v_cmp_le_u32_e32 vcc_lo, s23, v2
	v_xor_b32_e32 v6, s26, v6
	v_cndmask_b32_e32 v2, v4, v7, vcc_lo
	v_xor_b32_e32 v7, v2, v6
	v_lshlrev_b32_e32 v2, 1, v6
	v_sub_nc_u32_e32 v4, v7, v6
	v_lshlrev_b32_e32 v10, 1, v7
	v_mad_u64_u32 v[8:9], null, s27, v4, v[0:1]
	v_sub_nc_u32_e32 v9, v10, v2
	v_ashrrev_i32_e32 v2, 31, v1
	v_or_b32_e32 v10, 1, v9
	v_add_nc_u32_e32 v12, 2, v9
	v_mul_lo_u32 v9, v8, s1
	v_mul_lo_u32 v11, v8, s24
	v_mad_u64_u32 v[13:14], null, s2, v10, v[0:1]
	v_mad_u64_u32 v[14:15], null, s2, v12, v[0:1]
	v_lshlrev_b64 v[15:16], 1, v[1:2]
	v_ashrrev_i32_e32 v10, 31, v9
	v_ashrrev_i32_e32 v12, 31, v11
	v_mul_lo_u32 v8, v13, s1
	v_mul_lo_u32 v13, v13, s24
	;; [unrolled: 1-line block ×3, first 2 shown]
	v_lshlrev_b64 v[21:22], 1, v[9:10]
	v_mul_lo_u32 v19, v14, s24
	v_lshlrev_b64 v[10:11], 1, v[11:12]
	v_add_co_u32 v15, vcc_lo, s10, v15
	v_ashrrev_i32_e32 v9, 31, v8
	v_add_co_ci_u32_e64 v16, null, s11, v16, vcc_lo
	v_ashrrev_i32_e32 v18, 31, v17
	v_add_co_u32 v21, vcc_lo, s14, v21
	v_ashrrev_i32_e32 v14, 31, v13
	v_add_co_ci_u32_e64 v22, null, s15, v22, vcc_lo
	v_lshlrev_b64 v[8:9], 1, v[8:9]
	v_add_co_u32 v23, vcc_lo, s16, v10
	v_ashrrev_i32_e32 v20, 31, v19
	v_add_co_ci_u32_e64 v24, null, s17, v11, vcc_lo
	v_lshlrev_b64 v[10:11], 1, v[17:18]
	v_lshlrev_b64 v[12:13], 1, v[13:14]
	;; [unrolled: 1-line block ×3, first 2 shown]
	v_add_co_u32 v8, vcc_lo, s14, v8
	v_add_co_ci_u32_e64 v9, null, s15, v9, vcc_lo
	v_add_co_u32 v10, vcc_lo, s14, v10
	v_add_co_ci_u32_e64 v11, null, s15, v11, vcc_lo
	;; [unrolled: 2-line block ×4, first 2 shown]
	s_clause 0x2
	global_load_ushort v12, v[21:22], off
	global_load_ushort v8, v[8:9], off
	;; [unrolled: 1-line block ×3, first 2 shown]
	s_clause 0x2
	global_load_ushort v13, v[23:24], off
	global_load_ushort v9, v[19:20], off
	;; [unrolled: 1-line block ×4, first 2 shown]
	v_mov_b32_e32 v16, 0
	v_mov_b32_e32 v14, 0
	;; [unrolled: 1-line block ×6, first 2 shown]
	s_andn2_b32 vcc_lo, exec_lo, s22
	s_cbranch_vccnz .LBB40_5
; %bb.4:                                ;   in Loop: Header=BB40_3 Depth=1
	v_mad_u64_u32 v[14:15], null, s29, v4, v[0:1]
	v_sub_nc_u32_e32 v15, v6, v7
	v_mul_lo_u32 v16, s2, v15
	v_add_nc_u32_e32 v18, 2, v15
	v_mul_lo_u32 v15, v14, s20
	v_mul_lo_u32 v17, v14, s21
	v_mad_u64_u32 v[19:20], null, s2, v18, v[0:1]
	v_add3_u32 v21, v16, s2, v0
	v_ashrrev_i32_e32 v16, 31, v15
	v_ashrrev_i32_e32 v18, 31, v17
	v_mul_lo_u32 v14, v21, s20
	v_mul_lo_u32 v20, v19, s20
	;; [unrolled: 1-line block ×3, first 2 shown]
	v_lshlrev_b64 v[25:26], 1, v[15:16]
	v_mul_lo_u32 v24, v19, s21
	v_lshlrev_b64 v[16:17], 1, v[17:18]
	v_ashrrev_i32_e32 v15, 31, v14
	v_ashrrev_i32_e32 v21, 31, v20
	v_add_co_u32 v18, vcc_lo, s6, v25
	v_ashrrev_i32_e32 v23, 31, v22
	v_lshlrev_b64 v[14:15], 1, v[14:15]
	v_lshlrev_b64 v[20:21], 1, v[20:21]
	v_add_co_ci_u32_e64 v19, null, s7, v26, vcc_lo
	v_ashrrev_i32_e32 v25, 31, v24
	v_lshlrev_b64 v[22:23], 1, v[22:23]
	v_add_co_u32 v14, vcc_lo, s6, v14
	global_load_ushort v26, v[18:19], off
	v_add_co_ci_u32_e64 v15, null, s7, v15, vcc_lo
	v_add_co_u32 v18, vcc_lo, s6, v20
	v_add_co_ci_u32_e64 v19, null, s7, v21, vcc_lo
	v_lshlrev_b64 v[20:21], 1, v[24:25]
	v_add_co_u32 v16, vcc_lo, s8, v16
	v_add_co_ci_u32_e64 v17, null, s9, v17, vcc_lo
	v_add_co_u32 v22, vcc_lo, s8, v22
	v_add_co_ci_u32_e64 v23, null, s9, v23, vcc_lo
	;; [unrolled: 2-line block ×3, first 2 shown]
	global_load_ushort v16, v[16:17], off
	global_load_ushort v14, v[14:15], off
	;; [unrolled: 1-line block ×5, first 2 shown]
	s_waitcnt vmcnt(5)
	v_cvt_f32_f16_e32 v19, v26
	s_waitcnt vmcnt(4)
	v_cvt_f32_f16_e32 v18, v16
	;; [unrolled: 2-line block ×6, first 2 shown]
.LBB40_5:                               ;   in Loop: Header=BB40_3 Depth=1
	s_waitcnt vmcnt(6)
	v_cvt_f32_f16_e32 v12, v12
	s_waitcnt vmcnt(3)
	v_cvt_f32_f16_e32 v13, v13
	v_cvt_f32_f16_e32 v11, v11
	s_waitcnt vmcnt(1)
	v_cvt_f32_f16_e32 v10, v10
	v_add_f32_e32 v12, v12, v13
	v_add_f32_e32 v10, v16, v10
	;; [unrolled: 1-line block ×4, first 2 shown]
	v_mul_f32_e32 v13, 0xbfb8aa3b, v12
	v_cmp_nlt_f32_e32 vcc_lo, 0x42ce8ed0, v12
	v_fma_f32 v18, 0xbfb8aa3b, v12, -v13
	v_rndne_f32_e32 v19, v13
	v_fmac_f32_e32 v18, 0xb2a5705f, v12
	v_sub_f32_e32 v13, v13, v19
	v_add_f32_e32 v13, v13, v18
	v_cvt_i32_f32_e32 v18, v19
	v_exp_f32_e32 v13, v13
	v_ldexp_f32 v13, v13, v18
	v_cndmask_b32_e32 v13, 0, v13, vcc_lo
	v_cmp_ngt_f32_e32 vcc_lo, 0xc2b17218, v12
	v_cndmask_b32_e32 v12, 0x7f800000, v13, vcc_lo
	v_add_f32_e32 v13, 1.0, v12
	v_div_scale_f32 v12, null, v13, v13, 1.0
	v_div_scale_f32 v20, vcc_lo, 1.0, v13, 1.0
	v_rcp_f32_e32 v18, v12
	v_fma_f32 v19, -v12, v18, 1.0
	v_fmac_f32_e32 v18, v19, v18
	v_mul_f32_e32 v19, v20, v18
	v_fma_f32 v21, -v12, v19, v20
	v_fmac_f32_e32 v19, v21, v18
	v_fma_f32 v12, -v12, v19, v20
	v_div_fmas_f32 v18, v12, v18, v19
	v_add_f32_e32 v12, v17, v11
	v_div_fixup_f32 v11, v18, v13, 1.0
                                        ; implicit-def: $vgpr13
	v_fmac_f32_e32 v12, v10, v11
	v_cmp_ngt_f32_e64 s0, 0x3f200000, |v12|
	s_and_saveexec_b32 s34, s0
	s_xor_b32 s0, exec_lo, s34
	s_cbranch_execz .LBB40_7
; %bb.6:                                ;   in Loop: Header=BB40_3 Depth=1
	v_add_f32_e64 v13, |v12|, |v12|
	v_mul_f32_e32 v16, 0x3fb8aa3b, v13
	v_cmp_ngt_f32_e32 vcc_lo, 0xc2ce8ed0, v13
	v_rndne_f32_e32 v17, v16
	v_fma_f32 v18, 0x3fb8aa3b, v13, -v16
	v_sub_f32_e32 v16, v16, v17
	v_fmac_f32_e32 v18, 0x32a5705f, v13
	v_cvt_i32_f32_e32 v17, v17
	v_add_f32_e32 v16, v16, v18
	v_exp_f32_e32 v16, v16
	v_ldexp_f32 v16, v16, v17
	v_cndmask_b32_e32 v16, 0, v16, vcc_lo
	v_cmp_nlt_f32_e32 vcc_lo, 0x42b17218, v13
	v_cndmask_b32_e32 v13, 0x7f800000, v16, vcc_lo
	v_add_f32_e32 v13, 1.0, v13
	v_rcp_f32_e32 v13, v13
	v_fma_f32 v13, v13, -2.0, 1.0
.LBB40_7:                               ;   in Loop: Header=BB40_3 Depth=1
	s_andn2_saveexec_b32 s0, s0
	s_cbranch_execz .LBB40_2
; %bb.8:                                ;   in Loop: Header=BB40_3 Depth=1
	v_mul_f32_e32 v13, v12, v12
	v_fmaak_f32 v16, s33, v13, 0x3ca908c9
	v_fmaak_f32 v16, v13, v16, 0xbd5c1c4e
	;; [unrolled: 1-line block ×4, first 2 shown]
	v_mul_f32_e64 v16, |v12|, v16
	v_fma_f32 v13, v13, v16, |v12|
	s_branch .LBB40_2
.LBB40_9:
	s_endpgm
	.section	.rodata,"a",@progbits
	.p2align	6, 0x0
	.amdhsa_kernel _ZN2at6native12_GLOBAL__N_16kernel16gru_cell_forwardIN3c104HalfEfiLi1EEEvNS_4cuda6detail10TensorInfoIT_T1_EESB_SB_SB_SB_SB_SB_SA_SA_
		.amdhsa_group_segment_fixed_size 0
		.amdhsa_private_segment_fixed_size 0
		.amdhsa_kernarg_size 1776
		.amdhsa_user_sgpr_count 6
		.amdhsa_user_sgpr_private_segment_buffer 1
		.amdhsa_user_sgpr_dispatch_ptr 0
		.amdhsa_user_sgpr_queue_ptr 0
		.amdhsa_user_sgpr_kernarg_segment_ptr 1
		.amdhsa_user_sgpr_dispatch_id 0
		.amdhsa_user_sgpr_flat_scratch_init 0
		.amdhsa_user_sgpr_private_segment_size 0
		.amdhsa_wavefront_size32 1
		.amdhsa_uses_dynamic_stack 0
		.amdhsa_system_sgpr_private_segment_wavefront_offset 0
		.amdhsa_system_sgpr_workgroup_id_x 1
		.amdhsa_system_sgpr_workgroup_id_y 0
		.amdhsa_system_sgpr_workgroup_id_z 0
		.amdhsa_system_sgpr_workgroup_info 0
		.amdhsa_system_vgpr_workitem_id 0
		.amdhsa_next_free_vgpr 28
		.amdhsa_next_free_sgpr 35
		.amdhsa_reserve_vcc 1
		.amdhsa_reserve_flat_scratch 0
		.amdhsa_float_round_mode_32 0
		.amdhsa_float_round_mode_16_64 0
		.amdhsa_float_denorm_mode_32 3
		.amdhsa_float_denorm_mode_16_64 3
		.amdhsa_dx10_clamp 1
		.amdhsa_ieee_mode 1
		.amdhsa_fp16_overflow 0
		.amdhsa_workgroup_processor_mode 1
		.amdhsa_memory_ordered 1
		.amdhsa_forward_progress 1
		.amdhsa_shared_vgpr_count 0
		.amdhsa_exception_fp_ieee_invalid_op 0
		.amdhsa_exception_fp_denorm_src 0
		.amdhsa_exception_fp_ieee_div_zero 0
		.amdhsa_exception_fp_ieee_overflow 0
		.amdhsa_exception_fp_ieee_underflow 0
		.amdhsa_exception_fp_ieee_inexact 0
		.amdhsa_exception_int_div_zero 0
	.end_amdhsa_kernel
	.section	.text._ZN2at6native12_GLOBAL__N_16kernel16gru_cell_forwardIN3c104HalfEfiLi1EEEvNS_4cuda6detail10TensorInfoIT_T1_EESB_SB_SB_SB_SB_SB_SA_SA_,"axG",@progbits,_ZN2at6native12_GLOBAL__N_16kernel16gru_cell_forwardIN3c104HalfEfiLi1EEEvNS_4cuda6detail10TensorInfoIT_T1_EESB_SB_SB_SB_SB_SB_SA_SA_,comdat
.Lfunc_end40:
	.size	_ZN2at6native12_GLOBAL__N_16kernel16gru_cell_forwardIN3c104HalfEfiLi1EEEvNS_4cuda6detail10TensorInfoIT_T1_EESB_SB_SB_SB_SB_SB_SA_SA_, .Lfunc_end40-_ZN2at6native12_GLOBAL__N_16kernel16gru_cell_forwardIN3c104HalfEfiLi1EEEvNS_4cuda6detail10TensorInfoIT_T1_EESB_SB_SB_SB_SB_SB_SA_SA_
                                        ; -- End function
	.set _ZN2at6native12_GLOBAL__N_16kernel16gru_cell_forwardIN3c104HalfEfiLi1EEEvNS_4cuda6detail10TensorInfoIT_T1_EESB_SB_SB_SB_SB_SB_SA_SA_.num_vgpr, 28
	.set _ZN2at6native12_GLOBAL__N_16kernel16gru_cell_forwardIN3c104HalfEfiLi1EEEvNS_4cuda6detail10TensorInfoIT_T1_EESB_SB_SB_SB_SB_SB_SA_SA_.num_agpr, 0
	.set _ZN2at6native12_GLOBAL__N_16kernel16gru_cell_forwardIN3c104HalfEfiLi1EEEvNS_4cuda6detail10TensorInfoIT_T1_EESB_SB_SB_SB_SB_SB_SA_SA_.numbered_sgpr, 35
	.set _ZN2at6native12_GLOBAL__N_16kernel16gru_cell_forwardIN3c104HalfEfiLi1EEEvNS_4cuda6detail10TensorInfoIT_T1_EESB_SB_SB_SB_SB_SB_SA_SA_.num_named_barrier, 0
	.set _ZN2at6native12_GLOBAL__N_16kernel16gru_cell_forwardIN3c104HalfEfiLi1EEEvNS_4cuda6detail10TensorInfoIT_T1_EESB_SB_SB_SB_SB_SB_SA_SA_.private_seg_size, 0
	.set _ZN2at6native12_GLOBAL__N_16kernel16gru_cell_forwardIN3c104HalfEfiLi1EEEvNS_4cuda6detail10TensorInfoIT_T1_EESB_SB_SB_SB_SB_SB_SA_SA_.uses_vcc, 1
	.set _ZN2at6native12_GLOBAL__N_16kernel16gru_cell_forwardIN3c104HalfEfiLi1EEEvNS_4cuda6detail10TensorInfoIT_T1_EESB_SB_SB_SB_SB_SB_SA_SA_.uses_flat_scratch, 0
	.set _ZN2at6native12_GLOBAL__N_16kernel16gru_cell_forwardIN3c104HalfEfiLi1EEEvNS_4cuda6detail10TensorInfoIT_T1_EESB_SB_SB_SB_SB_SB_SA_SA_.has_dyn_sized_stack, 0
	.set _ZN2at6native12_GLOBAL__N_16kernel16gru_cell_forwardIN3c104HalfEfiLi1EEEvNS_4cuda6detail10TensorInfoIT_T1_EESB_SB_SB_SB_SB_SB_SA_SA_.has_recursion, 0
	.set _ZN2at6native12_GLOBAL__N_16kernel16gru_cell_forwardIN3c104HalfEfiLi1EEEvNS_4cuda6detail10TensorInfoIT_T1_EESB_SB_SB_SB_SB_SB_SA_SA_.has_indirect_call, 0
	.section	.AMDGPU.csdata,"",@progbits
; Kernel info:
; codeLenInByte = 2136
; TotalNumSgprs: 37
; NumVgprs: 28
; ScratchSize: 0
; MemoryBound: 0
; FloatMode: 240
; IeeeMode: 1
; LDSByteSize: 0 bytes/workgroup (compile time only)
; SGPRBlocks: 0
; VGPRBlocks: 3
; NumSGPRsForWavesPerEU: 37
; NumVGPRsForWavesPerEU: 28
; Occupancy: 16
; WaveLimiterHint : 1
; COMPUTE_PGM_RSRC2:SCRATCH_EN: 0
; COMPUTE_PGM_RSRC2:USER_SGPR: 6
; COMPUTE_PGM_RSRC2:TRAP_HANDLER: 0
; COMPUTE_PGM_RSRC2:TGID_X_EN: 1
; COMPUTE_PGM_RSRC2:TGID_Y_EN: 0
; COMPUTE_PGM_RSRC2:TGID_Z_EN: 0
; COMPUTE_PGM_RSRC2:TIDIG_COMP_CNT: 0
	.section	.text._ZN2at6native12_GLOBAL__N_16kernel16gru_cell_forwardIN3c104HalfEfiLi2EEEvNS_4cuda6detail10TensorInfoIT_T1_EESB_SB_SB_SB_SB_SB_SA_SA_,"axG",@progbits,_ZN2at6native12_GLOBAL__N_16kernel16gru_cell_forwardIN3c104HalfEfiLi2EEEvNS_4cuda6detail10TensorInfoIT_T1_EESB_SB_SB_SB_SB_SB_SA_SA_,comdat
	.globl	_ZN2at6native12_GLOBAL__N_16kernel16gru_cell_forwardIN3c104HalfEfiLi2EEEvNS_4cuda6detail10TensorInfoIT_T1_EESB_SB_SB_SB_SB_SB_SA_SA_ ; -- Begin function _ZN2at6native12_GLOBAL__N_16kernel16gru_cell_forwardIN3c104HalfEfiLi2EEEvNS_4cuda6detail10TensorInfoIT_T1_EESB_SB_SB_SB_SB_SB_SA_SA_
	.p2align	8
	.type	_ZN2at6native12_GLOBAL__N_16kernel16gru_cell_forwardIN3c104HalfEfiLi2EEEvNS_4cuda6detail10TensorInfoIT_T1_EESB_SB_SB_SB_SB_SB_SA_SA_,@function
_ZN2at6native12_GLOBAL__N_16kernel16gru_cell_forwardIN3c104HalfEfiLi2EEEvNS_4cuda6detail10TensorInfoIT_T1_EESB_SB_SB_SB_SB_SB_SA_SA_: ; @_ZN2at6native12_GLOBAL__N_16kernel16gru_cell_forwardIN3c104HalfEfiLi2EEEvNS_4cuda6detail10TensorInfoIT_T1_EESB_SB_SB_SB_SB_SB_SA_SA_
; %bb.0:
	s_clause 0x1
	s_load_dword s2, s[4:5], 0x5fc
	s_load_dwordx2 s[8:9], s[4:5], 0x5e8
	s_add_u32 s0, s4, 0x5f0
	s_addc_u32 s1, s5, 0
	s_mov_b32 s3, exec_lo
	s_waitcnt lgkmcnt(0)
	s_and_b32 s2, s2, 0xffff
	v_mad_u64_u32 v[0:1], null, s6, s2, v[0:1]
	v_cmpx_gt_i32_e64 s9, v0
	s_cbranch_execz .LBB41_9
; %bb.1:
	s_clause 0x2
	s_load_dwordx2 s[6:7], s[4:5], 0x1b0
	s_load_dword s3, s[4:5], 0xc
	s_load_dword s30, s[4:5], 0xe4
	;; [unrolled: 1-line block ×3, first 2 shown]
	s_clause 0xf
	s_load_dwordx2 s[10:11], s[4:5], 0x288
	s_load_dword s31, s[4:5], 0x2f4
	s_load_dwordx2 s[12:13], s[4:5], 0x360
	s_load_dword s0, s[4:5], 0x36c
	s_load_dwordx2 s[14:15], s[4:5], 0x0
	s_load_dwordx2 s[16:17], s[4:5], 0x6c
	;; [unrolled: 1-line block ×3, first 2 shown]
	s_load_dword s1, s[4:5], 0x444
	s_load_dword s33, s[4:5], 0x51c
	s_load_dwordx2 s[20:21], s[4:5], 0x144
	s_load_dword s34, s[4:5], 0x21c
	s_load_dwordx2 s[22:23], s[4:5], 0x3cc
	s_load_dwordx2 s[24:25], s[4:5], 0x438
	;; [unrolled: 1-line block ×5, first 2 shown]
	s_mov_b32 s55, 0xbbbac73d
	s_waitcnt lgkmcnt(0)
	s_cmp_lg_u64 s[6:7], 0
	s_cselect_b32 s35, -1, 0
	s_abs_i32 s36, s8
	s_abs_i32 s39, s3
	v_cvt_f32_u32_e32 v1, s36
	v_cvt_f32_u32_e32 v2, s39
	s_abs_i32 s41, s0
	s_abs_i32 s40, s30
	v_cvt_f32_u32_e32 v4, s41
	v_rcp_iflag_f32_e32 v1, v1
	v_rcp_iflag_f32_e32 v2, v2
	s_abs_i32 s42, s1
	s_abs_i32 s43, s33
	v_cvt_f32_u32_e32 v3, s40
	v_cvt_f32_u32_e32 v5, s42
	;; [unrolled: 1-line block ×3, first 2 shown]
	v_rcp_iflag_f32_e32 v4, v4
	s_mul_i32 s37, s37, s2
	v_rcp_iflag_f32_e32 v3, v3
	v_rcp_iflag_f32_e32 v5, v5
	v_rcp_iflag_f32_e32 v6, v6
	v_mul_f32_e32 v1, 0x4f7ffffe, v1
	v_mul_f32_e32 v2, 0x4f7ffffe, v2
	s_sub_i32 s2, 0, s36
	s_sub_i32 s44, 0, s39
	;; [unrolled: 1-line block ×3, first 2 shown]
	v_cvt_u32_f32_e32 v1, v1
	v_cvt_u32_f32_e32 v2, v2
	v_mul_f32_e32 v4, 0x4f7ffffe, v4
	v_mul_f32_e32 v3, 0x4f7ffffe, v3
	v_mul_f32_e32 v5, 0x4f7ffffe, v5
	v_mul_f32_e32 v6, 0x4f7ffffe, v6
	v_mul_lo_u32 v7, s2, v1
	v_mul_lo_u32 v8, s44, v2
	v_cvt_u32_f32_e32 v4, v4
	v_cvt_u32_f32_e32 v3, v3
	;; [unrolled: 1-line block ×4, first 2 shown]
	s_sub_i32 s2, 0, s41
	s_sub_i32 s44, 0, s42
	v_mul_lo_u32 v10, s2, v4
	s_sub_i32 s2, 0, s43
	v_mul_lo_u32 v9, s45, v3
	v_mul_hi_u32 v7, v1, v7
	v_mul_lo_u32 v11, s44, v5
	v_mul_hi_u32 v8, v2, v8
	v_mul_lo_u32 v12, s2, v6
	s_ashr_i32 s38, s8, 31
	s_mov_b32 s44, 0
	s_ashr_i32 s45, s3, 31
	v_mul_hi_u32 v9, v3, v9
	v_add_nc_u32_e32 v1, v1, v7
	v_mul_hi_u32 v7, v4, v10
	v_mul_hi_u32 v10, v5, v11
	v_add_nc_u32_e32 v2, v2, v8
	v_mul_hi_u32 v8, v6, v12
	s_ashr_i32 s46, s30, 31
	s_ashr_i32 s47, s0, 31
	v_add_nc_u32_e32 v3, v3, v9
	s_ashr_i32 s48, s1, 31
	v_add_nc_u32_e32 v4, v4, v7
	v_add_nc_u32_e32 v5, v5, v10
	s_ashr_i32 s49, s33, 31
	v_add_nc_u32_e32 v6, v6, v8
	s_lshl_b32 s50, s8, 1
	s_lshl_b32 s51, s8, 2
	s_sub_i32 s52, 0, s8
	s_sub_i32 s53, 0, s0
	;; [unrolled: 1-line block ×3, first 2 shown]
	s_branch .LBB41_3
.LBB41_2:                               ;   in Loop: Header=BB41_3 Depth=1
	s_or_b32 exec_lo, exec_lo, s0
	v_cvt_f32_f16_e32 v17, v17
	v_cvt_f32_f16_e32 v18, v18
	v_mul_hi_u32 v21, v7, v5
	v_lshlrev_b32_e32 v11, 2, v11
	v_lshlrev_b32_e32 v10, 2, v10
	v_mul_lo_u32 v14, s51, v14
	v_add_f32_e32 v17, v17, v18
	v_xor_b32_e32 v8, s48, v8
	v_sub_nc_u32_e32 v10, v11, v10
	v_mul_lo_u32 v18, v21, s42
	v_add_f32_e32 v17, v17, v20
	v_add_nc_u32_e32 v11, v0, v14
	v_or_b32_e32 v20, 1, v10
	v_or_b32_e32 v22, 2, v10
	v_add_f32_e32 v17, v19, v17
	v_or_b32_e32 v23, 3, v10
	v_add_nc_u32_e32 v10, 4, v10
	v_sub_nc_u32_e32 v7, v7, v18
	v_add_nc_u32_e32 v19, 1, v21
	v_mul_f32_e32 v24, 0xbfb8aa3b, v17
	v_ashrrev_i32_e32 v11, 31, v11
	v_mul_lo_u32 v27, s8, v10
	v_cmp_le_u32_e32 vcc_lo, s42, v7
	v_mul_lo_u32 v20, s8, v20
	v_fma_f32 v25, 0xbfb8aa3b, v17, -v24
	v_rndne_f32_e32 v26, v24
	v_mul_lo_u32 v22, s8, v22
	v_cndmask_b32_e32 v19, v21, v19, vcc_lo
	v_subrev_nc_u32_e32 v21, s42, v7
	v_fmac_f32_e32 v25, 0xb2a5705f, v17
	v_sub_f32_e32 v10, v24, v26
	v_add3_u32 v24, v11, v14, v0
	v_cvt_i32_f32_e32 v26, v26
	v_cndmask_b32_e32 v7, v7, v21, vcc_lo
	v_add_nc_u32_e32 v21, 1, v19
	v_add_f32_e32 v10, v10, v25
	v_xor_b32_e32 v18, s49, v11
	v_xor_b32_e32 v11, v24, v11
	v_cmp_le_u32_e32 vcc_lo, s42, v7
	v_add_nc_u32_e32 v24, v0, v20
	v_exp_f32_e32 v10, v10
	v_add_nc_u32_e32 v25, v0, v22
	v_mul_hi_u32 v30, v11, v6
	v_cndmask_b32_e32 v7, v19, v21, vcc_lo
	v_cmp_nlt_f32_e32 vcc_lo, 0x42ce8ed0, v17
	v_add_nc_u32_e32 v29, v0, v27
	v_ashrrev_i32_e32 v24, 31, v24
	v_ashrrev_i32_e32 v25, 31, v25
	v_xor_b32_e32 v7, v7, v8
	v_mul_lo_u32 v23, s8, v23
	v_ldexp_f32 v10, v10, v26
	v_mul_lo_u32 v31, v30, s43
	v_ashrrev_i32_e32 v26, 31, v29
	v_add3_u32 v21, v24, v20, v0
	v_add3_u32 v29, v25, v22, v0
	v_cndmask_b32_e32 v10, 0, v10, vcc_lo
	v_cmp_ngt_f32_e32 vcc_lo, 0xc2b17218, v17
	v_xor_b32_e32 v19, s49, v24
	v_xor_b32_e32 v21, v21, v24
	;; [unrolled: 1-line block ×3, first 2 shown]
	v_sub_nc_u32_e32 v11, v11, v31
	v_cndmask_b32_e32 v10, 0x7f800000, v10, vcc_lo
	v_sub_nc_u32_e32 v33, v7, v8
	v_add_nc_u32_e32 v32, 1, v30
	v_mul_hi_u32 v34, v21, v6
	v_cmp_le_u32_e32 vcc_lo, s43, v11
	v_add_f32_e32 v10, 1.0, v10
	v_mad_u64_u32 v[7:8], null, s54, v33, v[0:1]
	v_mul_hi_u32 v31, v24, v6
	v_cndmask_b32_e32 v8, v30, v32, vcc_lo
	v_div_scale_f32 v29, null, v10, v10, 1.0
	v_subrev_nc_u32_e32 v30, s43, v11
	v_mul_lo_u32 v32, v34, s43
	v_add_nc_u32_e32 v28, v0, v23
	v_rcp_f32_e32 v35, v29
	v_mul_lo_u32 v37, v31, s43
	v_cndmask_b32_e32 v11, v11, v30, vcc_lo
	v_add_nc_u32_e32 v30, 1, v8
	v_div_scale_f32 v40, vcc_lo, 1.0, v10, 1.0
	v_mul_lo_u32 v7, v7, s27
	v_cmp_le_u32_e64 s0, s43, v11
	v_sub_nc_u32_e32 v21, v21, v32
	v_ashrrev_i32_e32 v28, 31, v28
	v_fma_f32 v39, -v29, v35, 1.0
	v_add_nc_u32_e32 v36, 1, v34
	v_cndmask_b32_e64 v11, v8, v30, s0
	v_sub_nc_u32_e32 v24, v24, v37
	v_mad_u64_u32 v[7:8], null, v33, s26, v[7:8]
	v_fmac_f32_e32 v35, v39, v35
	v_cmp_le_u32_e64 s0, s43, v21
	v_subrev_nc_u32_e32 v33, s43, v21
	v_add3_u32 v17, v28, v23, v0
	v_add_nc_u32_e32 v38, 1, v31
	v_mul_f32_e32 v30, v40, v35
	v_xor_b32_e32 v8, v11, v18
	v_cndmask_b32_e64 v11, v34, v36, s0
	v_cmp_le_u32_e64 s1, s43, v24
	v_cndmask_b32_e64 v21, v21, v33, s0
	v_fma_f32 v32, -v29, v30, v40
	v_subrev_nc_u32_e32 v34, s43, v24
	v_xor_b32_e32 v17, v17, v28
	v_cndmask_b32_e64 v31, v31, v38, s1
	v_add3_u32 v37, v26, v27, v0
	v_fmac_f32_e32 v30, v32, v35
	v_add_nc_u32_e32 v32, 1, v11
	v_cndmask_b32_e64 v24, v24, v34, s1
	v_mul_hi_u32 v36, v17, v6
	v_sub_nc_u32_e32 v18, v8, v18
	v_fma_f32 v29, -v29, v30, v40
	v_ashrrev_i32_e32 v8, 31, v7
	v_mul_lo_u32 v33, v18, s33
	v_div_fmas_f32 v29, v29, v35, v30
	v_cmp_le_u32_e32 vcc_lo, s43, v21
	v_add_nc_u32_e32 v30, 1, v31
	v_xor_b32_e32 v21, s49, v25
	v_mul_lo_u32 v25, v36, s43
	v_div_fixup_f32 v29, v29, v10, 1.0
	v_cndmask_b32_e32 v10, v11, v32, vcc_lo
	v_xor_b32_e32 v11, v37, v26
	v_cmp_le_u32_e32 vcc_lo, s43, v24
	v_sub_nc_u32_e32 v14, v14, v33
	v_lshlrev_b64 v[7:8], 1, v[7:8]
	v_xor_b32_e32 v26, s49, v26
	v_sub_nc_u32_e32 v17, v17, v25
	v_cndmask_b32_e32 v24, v31, v30, vcc_lo
	v_mul_hi_u32 v30, v11, v6
	v_add_nc_u32_e32 v14, v0, v14
	v_add_co_u32 v7, vcc_lo, s24, v7
	v_xor_b32_e32 v24, v24, v21
	v_add_co_ci_u32_e64 v8, null, s25, v8, vcc_lo
	v_xor_b32_e32 v31, v10, v19
	v_mul_lo_u32 v25, v30, s43
	v_mul_lo_u32 v10, v14, s5
	v_add_nc_u32_e32 v14, 1, v36
	v_sub_nc_u32_e32 v21, v24, v21
	v_subrev_nc_u32_e32 v24, s43, v17
	v_cmp_le_u32_e32 vcc_lo, s43, v17
	v_sub_nc_u32_e32 v19, v31, v19
	v_sub_nc_u32_e32 v11, v11, v25
	v_xor_b32_e32 v25, s49, v28
	v_cndmask_b32_e32 v14, v36, v14, vcc_lo
	v_add_nc_u32_e32 v28, 1, v30
	v_cndmask_b32_e32 v17, v17, v24, vcc_lo
	v_subrev_nc_u32_e32 v31, s43, v11
	v_cmp_le_u32_e32 vcc_lo, s43, v11
	v_add_nc_u32_e32 v24, 1, v14
	v_cmp_le_u32_e64 s0, s43, v17
	v_mul_lo_u32 v17, v19, s33
	v_cndmask_b32_e32 v28, v30, v28, vcc_lo
	v_cndmask_b32_e32 v11, v11, v31, vcc_lo
	v_mul_lo_u32 v30, v21, s33
	v_cndmask_b32_e64 v14, v14, v24, s0
	v_add_nc_u32_e32 v24, 1, v28
	v_cmp_le_u32_e32 vcc_lo, s43, v11
	v_mad_u64_u32 v[10:11], null, v18, s4, v[10:11]
	v_xor_b32_e32 v14, v14, v25
	v_cndmask_b32_e32 v24, v28, v24, vcc_lo
	v_bfi_b32 v28, 0x7fffffff, v16, v15
	v_sub_nc_u32_e32 v16, v22, v30
	v_sub_nc_u32_e32 v25, v14, v25
	;; [unrolled: 1-line block ×3, first 2 shown]
	v_xor_b32_e32 v11, v24, v26
	s_waitcnt vmcnt(0)
	v_cvt_f32_f16_e32 v15, v9
	v_add_nc_u32_e32 v16, v0, v16
	v_mul_lo_u32 v17, v25, s33
	v_add_nc_u32_e32 v14, v0, v14
	v_sub_nc_u32_e32 v22, v11, v26
	v_sub_f32_e32 v15, v15, v28
	v_ashrrev_i32_e32 v11, 31, v10
	v_cvt_f16_f32_e32 v24, v13
	v_mul_lo_u32 v14, v14, s5
	v_mul_lo_u32 v18, v22, s33
	v_sub_nc_u32_e32 v17, v23, v17
	v_fma_mixlo_f16 v23, v29, v15, v28
	v_mul_lo_u32 v15, v16, s5
	v_lshlrev_b64 v[10:11], 1, v[10:11]
	v_add_nc_u32_e32 v17, v0, v17
	v_sub_nc_u32_e32 v18, v27, v18
	v_add_co_u32 v10, vcc_lo, s28, v10
	v_mul_lo_u32 v17, v17, s5
	v_add_nc_u32_e32 v18, v0, v18
	v_mad_u64_u32 v[13:14], null, v19, s4, v[14:15]
	v_mad_u64_u32 v[15:16], null, v21, s4, v[15:16]
	v_mul_lo_u32 v18, v18, s5
	v_add_co_ci_u32_e64 v11, null, s29, v11, vcc_lo
	global_store_short v[7:8], v23, off
	global_store_short v[10:11], v24, off
	v_ashrrev_i32_e32 v14, 31, v13
	v_ashrrev_i32_e32 v16, 31, v15
	v_mad_u64_u32 v[19:20], null, v25, s4, v[17:18]
	v_add_nc_u32_e32 v0, s37, v0
	v_lshlrev_b64 v[7:8], 1, v[13:14]
	v_lshlrev_b64 v[10:11], 1, v[15:16]
	v_cvt_f16_f32_e32 v17, v29
	v_mad_u64_u32 v[13:14], null, v22, s4, v[18:19]
	v_ashrrev_i32_e32 v20, 31, v19
	v_add_co_u32 v7, vcc_lo, s28, v7
	v_add_co_ci_u32_e64 v8, null, s29, v8, vcc_lo
	v_lshlrev_b64 v[15:16], 1, v[19:20]
	v_ashrrev_i32_e32 v14, 31, v13
	v_add_co_u32 v10, vcc_lo, s28, v10
	v_add_co_ci_u32_e64 v11, null, s29, v11, vcc_lo
	v_lshlrev_b64 v[13:14], 1, v[13:14]
	v_add_co_u32 v15, vcc_lo, s28, v15
	v_add_co_ci_u32_e64 v16, null, s29, v16, vcc_lo
	v_cmp_le_i32_e32 vcc_lo, s9, v0
	v_cvt_f16_f32_e32 v19, v12
	v_add_co_u32 v12, s0, s28, v13
	v_cvt_f16_f32_e32 v18, v28
	v_add_co_ci_u32_e64 v13, null, s29, v14, s0
	s_or_b32 s44, vcc_lo, s44
	global_store_short v[7:8], v17, off
	global_store_short v[10:11], v18, off
	;; [unrolled: 1-line block ×4, first 2 shown]
	s_andn2_b32 exec_lo, exec_lo, s44
	s_cbranch_execz .LBB41_9
.LBB41_3:                               ; =>This Inner Loop Header: Depth=1
	v_sub_nc_u32_e32 v7, 0, v0
	v_max_i32_e32 v7, v0, v7
	v_mul_hi_u32 v8, v7, v1
	v_mul_hi_u32 v13, v7, v4
	v_mul_lo_u32 v9, v8, s36
	v_add_nc_u32_e32 v10, 1, v8
	v_add_nc_u32_e32 v16, 1, v13
	v_sub_nc_u32_e32 v9, v7, v9
	v_subrev_nc_u32_e32 v11, s36, v9
	v_cmp_le_u32_e32 vcc_lo, s36, v9
	v_cndmask_b32_e32 v12, v8, v10, vcc_lo
	v_cndmask_b32_e32 v9, v9, v11, vcc_lo
	v_ashrrev_i32_e32 v8, 31, v0
	v_add_nc_u32_e32 v11, 1, v12
	v_cmp_le_u32_e32 vcc_lo, s36, v9
	v_xor_b32_e32 v10, s38, v8
	v_xor_b32_e32 v19, s47, v8
	v_cndmask_b32_e32 v9, v12, v11, vcc_lo
	v_mul_lo_u32 v12, v13, s41
	v_xor_b32_e32 v11, v9, v10
	v_lshlrev_b32_e32 v9, 1, v10
	v_sub_nc_u32_e32 v12, v7, v12
	v_sub_nc_u32_e32 v14, v11, v10
	v_lshlrev_b32_e32 v15, 1, v11
	v_cmp_le_u32_e32 vcc_lo, s41, v12
	v_mul_lo_u32 v18, s50, v14
	v_sub_nc_u32_e32 v9, v15, v9
	v_subrev_nc_u32_e32 v17, s41, v12
	v_cndmask_b32_e32 v13, v13, v16, vcc_lo
	v_or_b32_e32 v15, 1, v9
	v_add_nc_u32_e32 v9, 2, v9
	v_add_nc_u32_e32 v16, v0, v18
	v_cndmask_b32_e32 v12, v12, v17, vcc_lo
	v_add_nc_u32_e32 v17, 1, v13
	v_mul_lo_u32 v15, s8, v15
	v_mul_lo_u32 v20, s8, v9
	v_ashrrev_i32_e32 v16, 31, v16
	v_cmp_le_u32_e32 vcc_lo, s41, v12
	v_add3_u32 v12, v16, v18, v0
	v_cndmask_b32_e32 v9, v13, v17, vcc_lo
	v_add_nc_u32_e32 v13, v0, v15
	v_add_nc_u32_e32 v17, v0, v20
	v_xor_b32_e32 v21, s45, v16
	v_xor_b32_e32 v12, v12, v16
	;; [unrolled: 1-line block ×3, first 2 shown]
	v_ashrrev_i32_e32 v13, 31, v13
	v_ashrrev_i32_e32 v17, 31, v17
	v_xor_b32_e32 v9, v9, v19
	v_mul_hi_u32 v22, v12, v2
	v_mul_hi_u32 v25, v12, v3
	v_add3_u32 v24, v13, v15, v0
	v_add3_u32 v26, v17, v20, v0
	v_xor_b32_e32 v23, s45, v13
	v_xor_b32_e32 v27, s45, v17
	;; [unrolled: 1-line block ×6, first 2 shown]
	v_mul_lo_u32 v26, v22, s39
	v_mul_lo_u32 v29, v25, s40
	v_mul_hi_u32 v30, v13, v2
	v_add_nc_u32_e32 v31, 1, v22
	v_mul_hi_u32 v32, v17, v2
	v_add_nc_u32_e32 v33, 1, v25
	v_mul_hi_u32 v34, v13, v3
	v_mul_hi_u32 v35, v17, v3
	v_sub_nc_u32_e32 v26, v12, v26
	v_sub_nc_u32_e32 v12, v12, v29
	v_mul_lo_u32 v29, v30, s39
	v_add_nc_u32_e32 v36, 1, v30
	v_mul_lo_u32 v37, v32, s39
	v_subrev_nc_u32_e32 v43, s39, v26
	v_cmp_le_u32_e32 vcc_lo, s39, v26
	v_cmp_le_u32_e64 s0, s40, v12
	v_mul_lo_u32 v39, v34, s40
	v_mul_lo_u32 v41, v35, s40
	v_sub_nc_u32_e32 v29, v13, v29
	v_cndmask_b32_e32 v22, v22, v31, vcc_lo
	v_cndmask_b32_e32 v26, v26, v43, vcc_lo
	v_cndmask_b32_e64 v25, v25, v33, s0
	v_subrev_nc_u32_e32 v31, s40, v12
	v_sub_nc_u32_e32 v37, v17, v37
	v_add_nc_u32_e32 v33, 1, v22
	v_cmp_le_u32_e32 vcc_lo, s39, v26
	v_add_nc_u32_e32 v38, 1, v32
	v_cndmask_b32_e64 v12, v12, v31, s0
	v_add_nc_u32_e32 v31, 1, v25
	v_sub_nc_u32_e32 v13, v13, v39
	v_cndmask_b32_e32 v22, v22, v33, vcc_lo
	v_cmp_le_u32_e32 vcc_lo, s39, v29
	v_sub_nc_u32_e32 v17, v17, v41
	v_cmp_le_u32_e64 s0, s39, v37
	v_subrev_nc_u32_e32 v33, s39, v37
	v_cmp_le_u32_e64 s1, s40, v12
	v_cndmask_b32_e32 v26, v30, v36, vcc_lo
	v_subrev_nc_u32_e32 v30, s39, v29
	v_add_nc_u32_e32 v40, 1, v34
	v_add_nc_u32_e32 v42, 1, v35
	v_cndmask_b32_e64 v32, v32, v38, s0
	v_cndmask_b32_e64 v12, v25, v31, s1
	v_cndmask_b32_e32 v29, v29, v30, vcc_lo
	v_cmp_le_u32_e64 s1, s40, v13
	v_subrev_nc_u32_e32 v31, s40, v13
	v_cmp_le_u32_e64 s2, s40, v17
	v_xor_b32_e32 v22, v22, v21
	v_add_nc_u32_e32 v30, 1, v26
	v_cndmask_b32_e64 v33, v37, v33, s0
	v_cmp_le_u32_e32 vcc_lo, s39, v29
	v_cndmask_b32_e64 v25, v34, v40, s1
	v_cndmask_b32_e64 v34, v35, v42, s2
	v_subrev_nc_u32_e32 v35, s40, v17
	v_add_nc_u32_e32 v36, 1, v32
	v_cndmask_b32_e64 v13, v13, v31, s1
	v_sub_nc_u32_e32 v21, v22, v21
	v_cndmask_b32_e32 v22, v26, v30, vcc_lo
	v_cmp_le_u32_e32 vcc_lo, s39, v33
	v_xor_b32_e32 v12, v12, v16
	v_add_nc_u32_e32 v31, 1, v25
	v_cndmask_b32_e64 v17, v17, v35, s2
	v_add_nc_u32_e32 v35, 1, v34
	v_cndmask_b32_e32 v26, v32, v36, vcc_lo
	v_cmp_le_u32_e32 vcc_lo, s40, v13
	v_sub_nc_u32_e32 v29, v12, v16
	v_xor_b32_e32 v16, v22, v23
	v_xor_b32_e32 v22, v26, v27
	v_cndmask_b32_e32 v12, v25, v31, vcc_lo
	v_cmp_le_u32_e32 vcc_lo, s40, v17
	v_mul_lo_u32 v17, v21, s3
	v_sub_nc_u32_e32 v23, v16, v23
	v_sub_nc_u32_e32 v22, v22, v27
	v_xor_b32_e32 v12, v12, v28
	v_cndmask_b32_e32 v13, v34, v35, vcc_lo
	v_mul_lo_u32 v25, v29, s30
	v_mul_lo_u32 v16, v23, s3
	v_sub_nc_u32_e32 v26, v12, v28
	v_xor_b32_e32 v13, v13, v24
	v_sub_nc_u32_e32 v12, v18, v17
	v_mul_lo_u32 v17, v22, s3
	v_sub_nc_u32_e32 v28, v9, v19
	v_sub_nc_u32_e32 v27, v13, v24
	;; [unrolled: 1-line block ×3, first 2 shown]
	v_mul_lo_u32 v18, v26, s30
	v_add_nc_u32_e32 v12, v0, v12
	v_sub_nc_u32_e32 v16, v15, v16
	v_mul_lo_u32 v19, v27, s30
	v_sub_nc_u32_e32 v17, v20, v17
	v_add_nc_u32_e32 v13, v0, v13
	v_mul_lo_u32 v9, v12, s17
	v_add_nc_u32_e32 v16, v0, v16
	v_sub_nc_u32_e32 v15, v15, v18
	v_add_nc_u32_e32 v17, v0, v17
	v_mul_lo_u32 v12, v13, s21
	v_sub_nc_u32_e32 v18, v20, v19
	v_mul_lo_u32 v13, v16, s17
	v_add_nc_u32_e32 v19, v0, v15
	v_mad_u64_u32 v[15:16], null, v21, s16, v[9:10]
	v_mul_lo_u32 v9, v17, s17
	v_add_nc_u32_e32 v25, v0, v18
	v_mad_u64_u32 v[17:18], null, v29, s20, v[12:13]
	v_mul_lo_u32 v12, v19, s21
	v_mad_u64_u32 v[19:20], null, v23, s16, v[13:14]
	v_mad_u64_u32 v[21:22], null, v22, s16, v[9:10]
	;; [unrolled: 1-line block ×3, first 2 shown]
	v_mul_lo_u32 v9, v25, s21
	v_ashrrev_i32_e32 v16, 31, v15
	v_mad_u64_u32 v[12:13], null, v26, s20, v[12:13]
	v_ashrrev_i32_e32 v20, 31, v19
	v_ashrrev_i32_e32 v22, 31, v21
	v_mul_lo_u32 v23, v23, s23
	v_lshlrev_b64 v[15:16], 1, v[15:16]
	v_mad_u64_u32 v[24:25], null, v27, s20, v[9:10]
	v_ashrrev_i32_e32 v18, 31, v17
	v_lshlrev_b64 v[19:20], 1, v[19:20]
	v_ashrrev_i32_e32 v13, 31, v12
	v_lshlrev_b64 v[21:22], 1, v[21:22]
	v_add_co_u32 v15, vcc_lo, s14, v15
	v_mad_u64_u32 v[26:27], null, v28, s22, v[23:24]
	v_lshlrev_b64 v[17:18], 1, v[17:18]
	v_add_co_ci_u32_e64 v16, null, s15, v16, vcc_lo
	v_add_co_u32 v19, vcc_lo, s14, v19
	v_lshlrev_b64 v[12:13], 1, v[12:13]
	v_ashrrev_i32_e32 v25, 31, v24
	v_add_co_ci_u32_e64 v20, null, s15, v20, vcc_lo
	v_add_co_u32 v21, vcc_lo, s14, v21
	v_ashrrev_i32_e32 v27, 31, v26
	v_add_co_ci_u32_e64 v22, null, s15, v22, vcc_lo
	v_add_co_u32 v28, vcc_lo, s18, v17
	v_add_co_ci_u32_e64 v29, null, s19, v18, vcc_lo
	v_lshlrev_b64 v[17:18], 1, v[24:25]
	v_add_co_u32 v23, vcc_lo, s18, v12
	v_add_co_ci_u32_e64 v24, null, s19, v13, vcc_lo
	v_lshlrev_b64 v[12:13], 1, v[26:27]
	v_add_co_u32 v25, vcc_lo, s18, v17
	v_add_co_ci_u32_e64 v26, null, s19, v18, vcc_lo
	v_add_co_u32 v30, vcc_lo, s12, v12
	v_add_co_ci_u32_e64 v31, null, s13, v13, vcc_lo
	s_clause 0x2
	global_load_ushort v15, v[15:16], off
	global_load_ushort v17, v[19:20], off
	;; [unrolled: 1-line block ×3, first 2 shown]
	s_clause 0x2
	global_load_ushort v16, v[28:29], off
	global_load_ushort v18, v[23:24], off
	;; [unrolled: 1-line block ×4, first 2 shown]
	v_mov_b32_e32 v21, 0
	v_mov_b32_e32 v19, 0
	;; [unrolled: 1-line block ×6, first 2 shown]
	s_andn2_b32 vcc_lo, exec_lo, s35
	s_cbranch_vccnz .LBB41_5
; %bb.4:                                ;   in Loop: Header=BB41_3 Depth=1
	v_mad_u64_u32 v[19:20], null, s52, v14, v[0:1]
	v_sub_nc_u32_e32 v20, v10, v11
	v_mul_lo_u32 v21, s8, v20
	v_add_nc_u32_e32 v23, 2, v20
	v_mul_lo_u32 v20, v19, s34
	v_mul_lo_u32 v22, v19, s31
	v_mad_u64_u32 v[24:25], null, s8, v23, v[0:1]
	v_add3_u32 v26, v21, s8, v0
	v_ashrrev_i32_e32 v21, 31, v20
	v_ashrrev_i32_e32 v23, 31, v22
	v_mul_lo_u32 v19, v26, s34
	v_mul_lo_u32 v25, v24, s34
	v_mul_lo_u32 v27, v26, s31
	v_lshlrev_b64 v[30:31], 1, v[20:21]
	v_mul_lo_u32 v29, v24, s31
	v_lshlrev_b64 v[21:22], 1, v[22:23]
	v_ashrrev_i32_e32 v20, 31, v19
	v_ashrrev_i32_e32 v26, 31, v25
	v_add_co_u32 v23, vcc_lo, s6, v30
	v_ashrrev_i32_e32 v28, 31, v27
	v_lshlrev_b64 v[19:20], 1, v[19:20]
	v_lshlrev_b64 v[25:26], 1, v[25:26]
	v_add_co_ci_u32_e64 v24, null, s7, v31, vcc_lo
	v_ashrrev_i32_e32 v30, 31, v29
	v_lshlrev_b64 v[27:28], 1, v[27:28]
	v_add_co_u32 v19, vcc_lo, s6, v19
	global_load_ushort v31, v[23:24], off
	v_add_co_ci_u32_e64 v20, null, s7, v20, vcc_lo
	v_add_co_u32 v23, vcc_lo, s6, v25
	v_add_co_ci_u32_e64 v24, null, s7, v26, vcc_lo
	v_lshlrev_b64 v[25:26], 1, v[29:30]
	v_add_co_u32 v21, vcc_lo, s10, v21
	v_add_co_ci_u32_e64 v22, null, s11, v22, vcc_lo
	v_add_co_u32 v27, vcc_lo, s10, v27
	v_add_co_ci_u32_e64 v28, null, s11, v28, vcc_lo
	;; [unrolled: 2-line block ×3, first 2 shown]
	global_load_ushort v21, v[21:22], off
	global_load_ushort v19, v[19:20], off
	global_load_ushort v22, v[27:28], off
	global_load_ushort v27, v[23:24], off
	global_load_ushort v25, v[25:26], off
	s_waitcnt vmcnt(5)
	v_cvt_f32_f16_e32 v24, v31
	s_waitcnt vmcnt(4)
	v_cvt_f32_f16_e32 v23, v21
	;; [unrolled: 2-line block ×6, first 2 shown]
.LBB41_5:                               ;   in Loop: Header=BB41_3 Depth=1
	s_waitcnt vmcnt(6)
	v_cvt_f32_f16_e32 v15, v15
	s_waitcnt vmcnt(3)
	v_cvt_f32_f16_e32 v16, v16
	v_cvt_f32_f16_e32 v13, v13
	s_waitcnt vmcnt(1)
	v_cvt_f32_f16_e32 v12, v12
	v_add_f32_e32 v15, v15, v16
	v_add_f32_e32 v12, v21, v12
	;; [unrolled: 1-line block ×4, first 2 shown]
	v_mul_f32_e32 v16, 0xbfb8aa3b, v15
	v_cmp_nlt_f32_e32 vcc_lo, 0x42ce8ed0, v15
	v_fma_f32 v23, 0xbfb8aa3b, v15, -v16
	v_rndne_f32_e32 v24, v16
	v_fmac_f32_e32 v23, 0xb2a5705f, v15
	v_sub_f32_e32 v16, v16, v24
	v_add_f32_e32 v16, v16, v23
	v_cvt_i32_f32_e32 v23, v24
	v_exp_f32_e32 v16, v16
	v_ldexp_f32 v16, v16, v23
	v_cndmask_b32_e32 v16, 0, v16, vcc_lo
	v_cmp_ngt_f32_e32 vcc_lo, 0xc2b17218, v15
	v_cndmask_b32_e32 v15, 0x7f800000, v16, vcc_lo
	v_add_f32_e32 v16, 1.0, v15
	v_div_scale_f32 v15, null, v16, v16, 1.0
	v_div_scale_f32 v25, vcc_lo, 1.0, v16, 1.0
	v_rcp_f32_e32 v23, v15
	v_fma_f32 v24, -v15, v23, 1.0
	v_fmac_f32_e32 v23, v24, v23
	v_mul_f32_e32 v24, v25, v23
	v_fma_f32 v26, -v15, v24, v25
	v_fmac_f32_e32 v24, v26, v23
	v_fma_f32 v15, -v15, v24, v25
	v_div_fmas_f32 v23, v15, v23, v24
	v_add_f32_e32 v15, v22, v13
	v_div_fixup_f32 v13, v23, v16, 1.0
                                        ; implicit-def: $vgpr16
	v_fmac_f32_e32 v15, v12, v13
	v_cmp_ngt_f32_e64 s0, 0x3f200000, |v15|
	s_and_saveexec_b32 s1, s0
	s_xor_b32 s0, exec_lo, s1
	s_cbranch_execz .LBB41_7
; %bb.6:                                ;   in Loop: Header=BB41_3 Depth=1
	v_add_f32_e64 v16, |v15|, |v15|
	v_mul_f32_e32 v21, 0x3fb8aa3b, v16
	v_cmp_ngt_f32_e32 vcc_lo, 0xc2ce8ed0, v16
	v_rndne_f32_e32 v22, v21
	v_fma_f32 v23, 0x3fb8aa3b, v16, -v21
	v_sub_f32_e32 v21, v21, v22
	v_fmac_f32_e32 v23, 0x32a5705f, v16
	v_cvt_i32_f32_e32 v22, v22
	v_add_f32_e32 v21, v21, v23
	v_exp_f32_e32 v21, v21
	v_ldexp_f32 v21, v21, v22
	v_cndmask_b32_e32 v21, 0, v21, vcc_lo
	v_cmp_nlt_f32_e32 vcc_lo, 0x42b17218, v16
	v_cndmask_b32_e32 v16, 0x7f800000, v21, vcc_lo
	v_add_f32_e32 v16, 1.0, v16
	v_rcp_f32_e32 v16, v16
	v_fma_f32 v16, v16, -2.0, 1.0
.LBB41_7:                               ;   in Loop: Header=BB41_3 Depth=1
	s_andn2_saveexec_b32 s0, s0
	s_cbranch_execz .LBB41_2
; %bb.8:                                ;   in Loop: Header=BB41_3 Depth=1
	v_mul_f32_e32 v16, v15, v15
	v_fmaak_f32 v21, s55, v16, 0x3ca908c9
	v_fmaak_f32 v21, v16, v21, 0xbd5c1c4e
	v_fmaak_f32 v21, v16, v21, 0x3e088382
	v_fmaak_f32 v21, v16, v21, 0xbeaaaa99
	v_mul_f32_e64 v21, |v15|, v21
	v_fma_f32 v16, v16, v21, |v15|
	s_branch .LBB41_2
.LBB41_9:
	s_endpgm
	.section	.rodata,"a",@progbits
	.p2align	6, 0x0
	.amdhsa_kernel _ZN2at6native12_GLOBAL__N_16kernel16gru_cell_forwardIN3c104HalfEfiLi2EEEvNS_4cuda6detail10TensorInfoIT_T1_EESB_SB_SB_SB_SB_SB_SA_SA_
		.amdhsa_group_segment_fixed_size 0
		.amdhsa_private_segment_fixed_size 0
		.amdhsa_kernarg_size 1776
		.amdhsa_user_sgpr_count 6
		.amdhsa_user_sgpr_private_segment_buffer 1
		.amdhsa_user_sgpr_dispatch_ptr 0
		.amdhsa_user_sgpr_queue_ptr 0
		.amdhsa_user_sgpr_kernarg_segment_ptr 1
		.amdhsa_user_sgpr_dispatch_id 0
		.amdhsa_user_sgpr_flat_scratch_init 0
		.amdhsa_user_sgpr_private_segment_size 0
		.amdhsa_wavefront_size32 1
		.amdhsa_uses_dynamic_stack 0
		.amdhsa_system_sgpr_private_segment_wavefront_offset 0
		.amdhsa_system_sgpr_workgroup_id_x 1
		.amdhsa_system_sgpr_workgroup_id_y 0
		.amdhsa_system_sgpr_workgroup_id_z 0
		.amdhsa_system_sgpr_workgroup_info 0
		.amdhsa_system_vgpr_workitem_id 0
		.amdhsa_next_free_vgpr 44
		.amdhsa_next_free_sgpr 56
		.amdhsa_reserve_vcc 1
		.amdhsa_reserve_flat_scratch 0
		.amdhsa_float_round_mode_32 0
		.amdhsa_float_round_mode_16_64 0
		.amdhsa_float_denorm_mode_32 3
		.amdhsa_float_denorm_mode_16_64 3
		.amdhsa_dx10_clamp 1
		.amdhsa_ieee_mode 1
		.amdhsa_fp16_overflow 0
		.amdhsa_workgroup_processor_mode 1
		.amdhsa_memory_ordered 1
		.amdhsa_forward_progress 1
		.amdhsa_shared_vgpr_count 0
		.amdhsa_exception_fp_ieee_invalid_op 0
		.amdhsa_exception_fp_denorm_src 0
		.amdhsa_exception_fp_ieee_div_zero 0
		.amdhsa_exception_fp_ieee_overflow 0
		.amdhsa_exception_fp_ieee_underflow 0
		.amdhsa_exception_fp_ieee_inexact 0
		.amdhsa_exception_int_div_zero 0
	.end_amdhsa_kernel
	.section	.text._ZN2at6native12_GLOBAL__N_16kernel16gru_cell_forwardIN3c104HalfEfiLi2EEEvNS_4cuda6detail10TensorInfoIT_T1_EESB_SB_SB_SB_SB_SB_SA_SA_,"axG",@progbits,_ZN2at6native12_GLOBAL__N_16kernel16gru_cell_forwardIN3c104HalfEfiLi2EEEvNS_4cuda6detail10TensorInfoIT_T1_EESB_SB_SB_SB_SB_SB_SA_SA_,comdat
.Lfunc_end41:
	.size	_ZN2at6native12_GLOBAL__N_16kernel16gru_cell_forwardIN3c104HalfEfiLi2EEEvNS_4cuda6detail10TensorInfoIT_T1_EESB_SB_SB_SB_SB_SB_SA_SA_, .Lfunc_end41-_ZN2at6native12_GLOBAL__N_16kernel16gru_cell_forwardIN3c104HalfEfiLi2EEEvNS_4cuda6detail10TensorInfoIT_T1_EESB_SB_SB_SB_SB_SB_SA_SA_
                                        ; -- End function
	.set _ZN2at6native12_GLOBAL__N_16kernel16gru_cell_forwardIN3c104HalfEfiLi2EEEvNS_4cuda6detail10TensorInfoIT_T1_EESB_SB_SB_SB_SB_SB_SA_SA_.num_vgpr, 44
	.set _ZN2at6native12_GLOBAL__N_16kernel16gru_cell_forwardIN3c104HalfEfiLi2EEEvNS_4cuda6detail10TensorInfoIT_T1_EESB_SB_SB_SB_SB_SB_SA_SA_.num_agpr, 0
	.set _ZN2at6native12_GLOBAL__N_16kernel16gru_cell_forwardIN3c104HalfEfiLi2EEEvNS_4cuda6detail10TensorInfoIT_T1_EESB_SB_SB_SB_SB_SB_SA_SA_.numbered_sgpr, 56
	.set _ZN2at6native12_GLOBAL__N_16kernel16gru_cell_forwardIN3c104HalfEfiLi2EEEvNS_4cuda6detail10TensorInfoIT_T1_EESB_SB_SB_SB_SB_SB_SA_SA_.num_named_barrier, 0
	.set _ZN2at6native12_GLOBAL__N_16kernel16gru_cell_forwardIN3c104HalfEfiLi2EEEvNS_4cuda6detail10TensorInfoIT_T1_EESB_SB_SB_SB_SB_SB_SA_SA_.private_seg_size, 0
	.set _ZN2at6native12_GLOBAL__N_16kernel16gru_cell_forwardIN3c104HalfEfiLi2EEEvNS_4cuda6detail10TensorInfoIT_T1_EESB_SB_SB_SB_SB_SB_SA_SA_.uses_vcc, 1
	.set _ZN2at6native12_GLOBAL__N_16kernel16gru_cell_forwardIN3c104HalfEfiLi2EEEvNS_4cuda6detail10TensorInfoIT_T1_EESB_SB_SB_SB_SB_SB_SA_SA_.uses_flat_scratch, 0
	.set _ZN2at6native12_GLOBAL__N_16kernel16gru_cell_forwardIN3c104HalfEfiLi2EEEvNS_4cuda6detail10TensorInfoIT_T1_EESB_SB_SB_SB_SB_SB_SA_SA_.has_dyn_sized_stack, 0
	.set _ZN2at6native12_GLOBAL__N_16kernel16gru_cell_forwardIN3c104HalfEfiLi2EEEvNS_4cuda6detail10TensorInfoIT_T1_EESB_SB_SB_SB_SB_SB_SA_SA_.has_recursion, 0
	.set _ZN2at6native12_GLOBAL__N_16kernel16gru_cell_forwardIN3c104HalfEfiLi2EEEvNS_4cuda6detail10TensorInfoIT_T1_EESB_SB_SB_SB_SB_SB_SA_SA_.has_indirect_call, 0
	.section	.AMDGPU.csdata,"",@progbits
; Kernel info:
; codeLenInByte = 3800
; TotalNumSgprs: 58
; NumVgprs: 44
; ScratchSize: 0
; MemoryBound: 0
; FloatMode: 240
; IeeeMode: 1
; LDSByteSize: 0 bytes/workgroup (compile time only)
; SGPRBlocks: 0
; VGPRBlocks: 5
; NumSGPRsForWavesPerEU: 58
; NumVGPRsForWavesPerEU: 44
; Occupancy: 16
; WaveLimiterHint : 1
; COMPUTE_PGM_RSRC2:SCRATCH_EN: 0
; COMPUTE_PGM_RSRC2:USER_SGPR: 6
; COMPUTE_PGM_RSRC2:TRAP_HANDLER: 0
; COMPUTE_PGM_RSRC2:TGID_X_EN: 1
; COMPUTE_PGM_RSRC2:TGID_Y_EN: 0
; COMPUTE_PGM_RSRC2:TGID_Z_EN: 0
; COMPUTE_PGM_RSRC2:TIDIG_COMP_CNT: 0
	.section	.text._ZN2at6native12_GLOBAL__N_16kernel16gru_cell_forwardIN3c104HalfEflLi1EEEvNS_4cuda6detail10TensorInfoIT_T1_EESB_SB_SB_SB_SB_SB_SA_SA_,"axG",@progbits,_ZN2at6native12_GLOBAL__N_16kernel16gru_cell_forwardIN3c104HalfEflLi1EEEvNS_4cuda6detail10TensorInfoIT_T1_EESB_SB_SB_SB_SB_SB_SA_SA_,comdat
	.globl	_ZN2at6native12_GLOBAL__N_16kernel16gru_cell_forwardIN3c104HalfEflLi1EEEvNS_4cuda6detail10TensorInfoIT_T1_EESB_SB_SB_SB_SB_SB_SA_SA_ ; -- Begin function _ZN2at6native12_GLOBAL__N_16kernel16gru_cell_forwardIN3c104HalfEflLi1EEEvNS_4cuda6detail10TensorInfoIT_T1_EESB_SB_SB_SB_SB_SB_SA_SA_
	.p2align	8
	.type	_ZN2at6native12_GLOBAL__N_16kernel16gru_cell_forwardIN3c104HalfEflLi1EEEvNS_4cuda6detail10TensorInfoIT_T1_EESB_SB_SB_SB_SB_SB_SA_SA_,@function
_ZN2at6native12_GLOBAL__N_16kernel16gru_cell_forwardIN3c104HalfEflLi1EEEvNS_4cuda6detail10TensorInfoIT_T1_EESB_SB_SB_SB_SB_SB_SA_SA_: ; @_ZN2at6native12_GLOBAL__N_16kernel16gru_cell_forwardIN3c104HalfEflLi1EEEvNS_4cuda6detail10TensorInfoIT_T1_EESB_SB_SB_SB_SB_SB_SA_SA_
; %bb.0:
	s_clause 0x1
	s_load_dword s2, s[4:5], 0xb7c
	s_load_dwordx4 s[8:11], s[4:5], 0xb60
	v_mov_b32_e32 v1, 0
	s_add_u32 s0, s4, 0xb70
	s_addc_u32 s1, s5, 0
	s_waitcnt lgkmcnt(0)
	s_and_b32 s26, s2, 0xffff
	s_mov_b32 s2, exec_lo
	v_mad_u64_u32 v[3:4], null, s6, s26, v[0:1]
	v_mov_b32_e32 v4, v1
	v_cmpx_gt_i64_e64 s[10:11], v[3:4]
	s_cbranch_execz .LBB42_14
; %bb.1:
	s_clause 0x1
	s_load_dwordx2 s[30:31], s[4:5], 0x750
	s_load_dwordx2 s[2:3], s[4:5], 0x340
	s_load_dword s0, s[0:1], 0x0
	s_clause 0x6
	s_load_dwordx2 s[34:35], s[4:5], 0x680
	s_load_dwordx2 s[36:37], s[4:5], 0x8f0
	;; [unrolled: 1-line block ×7, first 2 shown]
	v_cvt_f32_u32_e32 v0, s8
	s_clause 0x4
	s_load_dwordx2 s[18:19], s[4:5], 0x410
	s_load_dwordx2 s[20:21], s[4:5], 0x4e0
	;; [unrolled: 1-line block ×5, first 2 shown]
	s_mov_b32 s1, 0
	v_rcp_iflag_f32_e32 v0, v0
	s_waitcnt lgkmcnt(0)
	v_mul_lo_u32 v2, 0, s30
	v_mul_lo_u32 v7, v3, s31
	v_mad_u64_u32 v[5:6], null, v3, s30, 0
	v_mul_lo_u32 v9, 0, s36
	v_mul_f32_e32 v0, 0x4f7ffffe, v0
	s_cmp_lg_u64 s[2:3], 0
	s_mul_i32 s33, s0, s26
	s_cselect_b32 s40, -1, 0
	s_lshl_b64 s[26:27], s[8:9], 1
	v_add3_u32 v6, v6, v7, v2
	v_mul_lo_u32 v2, v3, s37
	v_mad_u64_u32 v[7:8], null, v3, s36, 0
	v_cvt_u32_f32_e32 v0, v0
	s_lshl_b64 s[28:29], s[8:9], 2
	s_sub_u32 s41, 0, s8
	s_subb_u32 s42, 0, s9
	s_sub_i32 s43, 0, s8
	v_lshlrev_b64 v[5:6], 1, v[5:6]
	v_add3_u32 v8, v8, v2, v9
	v_mul_lo_u32 v2, s43, v0
	s_mul_i32 s0, s33, s31
	s_mul_hi_u32 s31, s33, s30
	s_mul_i32 s30, s33, s30
	v_lshlrev_b64 v[7:8], 1, v[7:8]
	v_add_co_u32 v5, vcc_lo, s34, v5
	v_add_co_ci_u32_e64 v6, null, s35, v6, vcc_lo
	v_mul_hi_u32 v2, v0, v2
	v_add_co_u32 v7, vcc_lo, s38, v7
	s_add_i32 s31, s31, s0
	s_mul_i32 s0, s33, s37
	s_mul_hi_u32 s34, s33, s36
	v_add_co_ci_u32_e64 v8, null, s39, v8, vcc_lo
	v_add_nc_u32_e32 v0, v0, v2
	s_add_i32 s35, s34, s0
	s_mul_i32 s34, s33, s36
	s_lshl_b64 s[30:31], s[30:31], 1
	s_lshl_b64 s[34:35], s[34:35], 1
	s_ashr_i32 s36, s9, 31
	s_mov_b32 s43, 0xbbbac73d
	s_branch .LBB42_3
.LBB42_2:                               ;   in Loop: Header=BB42_3 Depth=1
	s_or_b32 exec_lo, exec_lo, s0
	v_cvt_f32_f16_e32 v11, v11
	v_cvt_f32_f16_e32 v12, v12
	v_bfi_b32 v21, 0x7fffffff, v16, v15
	v_cvt_f16_f32_e32 v22, v14
	v_cvt_f16_f32_e32 v23, v13
	s_waitcnt vmcnt(0)
	v_cvt_f32_f16_e32 v15, v2
	v_add_f32_e32 v11, v11, v12
	v_cvt_f16_f32_e32 v25, v21
	v_sub_f32_e32 v24, v15, v21
	v_add_f32_e32 v11, v11, v18
	v_mul_lo_u32 v18, s29, v9
	v_add_f32_e32 v19, v17, v11
	v_mad_u64_u32 v[11:12], null, s28, v9, v[3:4]
	v_mul_lo_u32 v17, s28, v10
	v_lshlrev_b64 v[9:10], 2, v[9:10]
	v_mul_f32_e32 v20, 0xbfb8aa3b, v19
	v_mul_lo_u32 v31, v11, s5
	v_fma_f32 v14, 0xbfb8aa3b, v19, -v20
	v_rndne_f32_e32 v16, v20
	v_or_b32_e32 v15, 1, v9
	v_add3_u32 v30, v18, v12, v17
	v_add_co_u32 v28, vcc_lo, v9, 4
	v_fmac_f32_e32 v14, 0xb2a5705f, v19
	v_sub_f32_e32 v13, v20, v16
	v_mul_lo_u32 v20, s8, v10
	v_or_b32_e32 v26, 2, v9
	v_or_b32_e32 v27, 3, v9
	v_add_co_ci_u32_e64 v29, null, 0, v10, vcc_lo
	v_add_f32_e32 v13, v13, v14
	v_mad_u64_u32 v[9:10], null, v11, s4, 0
	v_mul_lo_u32 v32, s9, v15
	v_mad_u64_u32 v[11:12], null, s8, v15, v[3:4]
	v_exp_f32_e32 v17, v13
	v_cvt_i32_f32_e32 v15, v16
	v_cmp_nlt_f32_e32 vcc_lo, 0x42ce8ed0, v19
	v_mul_lo_u32 v33, s9, v26
	v_mad_u64_u32 v[13:14], null, s8, v26, v[3:4]
	v_mul_lo_u32 v26, s9, v27
	v_mul_lo_u32 v34, s9, v28
	v_ldexp_f32 v17, v17, v15
	v_mad_u64_u32 v[15:16], null, s8, v27, v[3:4]
	v_mul_lo_u32 v27, s8, v29
	v_add3_u32 v33, v33, v14, v20
	v_cndmask_b32_e32 v29, 0, v17, vcc_lo
	v_cmp_ngt_f32_e32 vcc_lo, 0xc2b17218, v19
	v_mad_u64_u32 v[17:18], null, s8, v28, v[3:4]
	v_mul_lo_u32 v28, v30, s4
	v_mul_lo_u32 v35, v13, s5
	v_cndmask_b32_e32 v19, 0x7f800000, v29, vcc_lo
	v_add3_u32 v29, v32, v12, v20
	v_add_co_u32 v3, vcc_lo, v3, s33
	v_add_co_ci_u32_e64 v4, null, 0, v4, vcc_lo
	v_add_f32_e32 v19, 1.0, v19
	v_add3_u32 v10, v10, v31, v28
	v_mul_lo_u32 v28, v29, s4
	v_mul_lo_u32 v31, v33, s4
	v_add3_u32 v20, v26, v16, v20
	v_div_scale_f32 v32, null, v19, v19, 1.0
	v_div_scale_f32 v29, vcc_lo, 1.0, v19, 1.0
	v_add3_u32 v27, v34, v18, v27
	v_rcp_f32_e32 v36, v32
	v_mad_u64_u32 v[13:14], null, v13, s4, 0
	v_mul_lo_u32 v26, v15, s5
	v_mad_u64_u32 v[15:16], null, v15, s4, 0
	v_mul_lo_u32 v20, v20, s4
	v_mul_lo_u32 v30, v11, s5
	v_mad_u64_u32 v[11:12], null, v11, s4, 0
	v_fma_f32 v37, -v32, v36, 1.0
	v_mul_lo_u32 v34, v17, s5
	v_mad_u64_u32 v[17:18], null, v17, s4, 0
	v_mul_lo_u32 v27, v27, s4
	v_fmac_f32_e32 v36, v37, v36
	v_add3_u32 v14, v14, v35, v31
	v_add3_u32 v16, v16, v26, v20
	;; [unrolled: 1-line block ×3, first 2 shown]
	v_lshlrev_b64 v[9:10], 1, v[9:10]
	v_mul_f32_e32 v33, v29, v36
	v_lshlrev_b64 v[13:14], 1, v[13:14]
	v_add3_u32 v18, v18, v34, v27
	v_lshlrev_b64 v[15:16], 1, v[15:16]
	v_lshlrev_b64 v[11:12], 1, v[11:12]
	v_fma_f32 v37, -v32, v33, v29
	v_add_co_u32 v9, s0, s24, v9
	v_lshlrev_b64 v[17:18], 1, v[17:18]
	v_add_co_ci_u32_e64 v10, null, s25, v10, s0
	v_fmac_f32_e32 v33, v37, v36
	v_add_co_u32 v11, s0, s24, v11
	v_add_co_ci_u32_e64 v12, null, s25, v12, s0
	v_fma_f32 v20, -v32, v33, v29
	v_div_fmas_f32 v20, v20, v36, v33
	v_add_co_u32 v13, vcc_lo, s24, v13
	v_add_co_ci_u32_e64 v14, null, s25, v14, vcc_lo
	v_div_fixup_f32 v19, v20, v19, 1.0
	v_add_co_u32 v15, vcc_lo, s24, v15
	v_add_co_ci_u32_e64 v16, null, s25, v16, vcc_lo
	v_fma_mixlo_f16 v20, v19, v24, v21
	v_add_co_u32 v17, vcc_lo, s24, v17
	v_cvt_f16_f32_e32 v19, v19
	v_add_co_ci_u32_e64 v18, null, s25, v18, vcc_lo
	v_add_co_u32 v5, vcc_lo, v5, s30
	v_add_co_ci_u32_e64 v6, null, s31, v6, vcc_lo
	v_cmp_le_i64_e32 vcc_lo, s[10:11], v[3:4]
	global_store_short v[7:8], v20, off
	global_store_short v[9:10], v22, off
	;; [unrolled: 1-line block ×3, first 2 shown]
	v_add_co_u32 v7, s0, v7, s34
	v_add_co_ci_u32_e64 v8, null, s35, v8, s0
	s_or_b32 s1, vcc_lo, s1
	global_store_short v[13:14], v25, off
	global_store_short v[15:16], v2, off
	;; [unrolled: 1-line block ×3, first 2 shown]
	s_andn2_b32 exec_lo, exec_lo, s1
	s_cbranch_execz .LBB42_14
.LBB42_3:                               ; =>This Inner Loop Header: Depth=1
	v_or_b32_e32 v2, s9, v4
                                        ; implicit-def: $vgpr9_vgpr10
	s_mov_b32 s0, exec_lo
	v_cmpx_ne_u64_e32 0, v[1:2]
	s_xor_b32 s44, exec_lo, s0
	s_cbranch_execz .LBB42_5
; %bb.4:                                ;   in Loop: Header=BB42_3 Depth=1
	s_add_u32 s38, s8, s36
	s_mov_b32 s37, s36
	s_addc_u32 s39, s9, s36
	v_ashrrev_i32_e32 v15, 31, v4
	s_xor_b64 s[38:39], s[38:39], s[36:37]
	v_cvt_f32_u32_e32 v2, s38
	v_cvt_f32_u32_e32 v9, s39
	s_sub_u32 s0, 0, s38
	s_subb_u32 s46, 0, s39
	v_add_co_u32 v10, vcc_lo, v3, v15
	v_fmac_f32_e32 v2, 0x4f800000, v9
	v_xor_b32_e32 v16, v10, v15
	v_rcp_f32_e32 v2, v2
	v_mul_f32_e32 v2, 0x5f7ffffc, v2
	v_mul_f32_e32 v9, 0x2f800000, v2
	v_trunc_f32_e32 v9, v9
	v_fmac_f32_e32 v2, 0xcf800000, v9
	v_cvt_u32_f32_e32 v9, v9
	v_cvt_u32_f32_e32 v2, v2
	v_readfirstlane_b32 s37, v9
	v_readfirstlane_b32 s45, v2
	s_mul_i32 s47, s0, s37
	v_add_co_ci_u32_e64 v2, null, v4, v15, vcc_lo
	s_mul_hi_u32 s49, s0, s45
	s_mul_i32 s48, s46, s45
	s_add_i32 s47, s49, s47
	s_mul_i32 s50, s0, s45
	s_add_i32 s47, s47, s48
	s_mul_hi_u32 s49, s45, s50
	s_mul_i32 s52, s45, s47
	s_mul_hi_u32 s51, s37, s50
	s_mul_i32 s48, s37, s50
	s_mul_hi_u32 s50, s45, s47
	s_add_u32 s49, s49, s52
	s_addc_u32 s50, 0, s50
	s_mul_hi_u32 s53, s37, s47
	s_add_u32 s48, s49, s48
	s_mul_i32 s47, s37, s47
	s_addc_u32 s48, s50, s51
	s_addc_u32 s49, s53, 0
	s_add_u32 s47, s48, s47
	s_addc_u32 s48, 0, s49
	s_add_u32 s45, s45, s47
	s_cselect_b32 s47, -1, 0
	s_mul_hi_u32 s49, s0, s45
	s_cmp_lg_u32 s47, 0
	s_mul_i32 s47, s0, s45
	s_addc_u32 s37, s37, s48
	s_mul_i32 s46, s46, s45
	s_mul_i32 s0, s0, s37
	s_mul_hi_u32 s48, s45, s47
	s_add_i32 s0, s49, s0
	s_mul_hi_u32 s49, s37, s47
	s_add_i32 s0, s0, s46
	s_mul_i32 s46, s37, s47
	s_mul_i32 s51, s45, s0
	s_mul_hi_u32 s50, s45, s0
	s_add_u32 s48, s48, s51
	s_addc_u32 s50, 0, s50
	s_mul_hi_u32 s47, s37, s0
	s_add_u32 s46, s48, s46
	s_mul_i32 s0, s37, s0
	s_addc_u32 s46, s50, s49
	s_addc_u32 s47, s47, 0
	s_add_u32 s0, s46, s0
	s_addc_u32 s46, 0, s47
	s_add_u32 s0, s45, s0
	s_cselect_b32 s45, -1, 0
	v_xor_b32_e32 v2, v2, v15
	s_cmp_lg_u32 s45, 0
	v_mul_hi_u32 v17, v16, s0
	s_addc_u32 s37, s37, s46
	v_mad_u64_u32 v[9:10], null, v16, s37, 0
	v_mad_u64_u32 v[11:12], null, v2, s0, 0
	v_mad_u64_u32 v[13:14], null, v2, s37, 0
	v_add_co_u32 v9, vcc_lo, v17, v9
	v_add_co_ci_u32_e64 v10, null, 0, v10, vcc_lo
	v_add_co_u32 v9, vcc_lo, v9, v11
	v_add_co_ci_u32_e32 v9, vcc_lo, v10, v12, vcc_lo
	v_add_co_ci_u32_e32 v10, vcc_lo, 0, v14, vcc_lo
	v_add_co_u32 v11, vcc_lo, v9, v13
	v_add_co_ci_u32_e64 v12, null, 0, v10, vcc_lo
	v_mul_lo_u32 v13, s39, v11
	v_mad_u64_u32 v[9:10], null, s38, v11, 0
	v_mul_lo_u32 v14, s38, v12
	v_sub_co_u32 v9, vcc_lo, v16, v9
	v_add3_u32 v10, v10, v14, v13
	v_add_co_u32 v14, s0, v11, 2
	v_add_co_ci_u32_e64 v16, null, 0, v12, s0
	v_sub_nc_u32_e32 v13, v2, v10
	v_sub_co_u32 v17, s0, v9, s38
	v_sub_co_ci_u32_e64 v2, null, v2, v10, vcc_lo
	v_subrev_co_ci_u32_e64 v13, null, s39, v13, vcc_lo
	v_cmp_le_u32_e32 vcc_lo, s38, v17
	v_subrev_co_ci_u32_e64 v13, null, 0, v13, s0
	v_cndmask_b32_e64 v10, 0, -1, vcc_lo
	v_cmp_le_u32_e32 vcc_lo, s39, v13
	v_cndmask_b32_e64 v17, 0, -1, vcc_lo
	v_cmp_le_u32_e32 vcc_lo, s38, v9
	;; [unrolled: 2-line block ×3, first 2 shown]
	v_cndmask_b32_e64 v18, 0, -1, vcc_lo
	v_cmp_eq_u32_e32 vcc_lo, s39, v13
	v_cndmask_b32_e32 v10, v17, v10, vcc_lo
	v_add_co_u32 v13, vcc_lo, v11, 1
	v_add_co_ci_u32_e64 v17, null, 0, v12, vcc_lo
	v_cmp_eq_u32_e32 vcc_lo, s39, v2
	v_cndmask_b32_e32 v2, v18, v9, vcc_lo
	v_cmp_ne_u32_e32 vcc_lo, 0, v10
	v_xor_b32_e32 v10, s36, v15
	v_cmp_ne_u32_e64 s0, 0, v2
	v_cndmask_b32_e32 v2, v13, v14, vcc_lo
	v_cndmask_b32_e32 v9, v17, v16, vcc_lo
	v_cndmask_b32_e64 v2, v11, v2, s0
	v_cndmask_b32_e64 v9, v12, v9, s0
	v_xor_b32_e32 v2, v2, v10
	v_xor_b32_e32 v11, v9, v10
	v_sub_co_u32 v9, vcc_lo, v2, v10
	v_sub_co_ci_u32_e64 v10, null, v11, v10, vcc_lo
.LBB42_5:                               ;   in Loop: Header=BB42_3 Depth=1
	s_andn2_saveexec_b32 s0, s44
	s_cbranch_execz .LBB42_7
; %bb.6:                                ;   in Loop: Header=BB42_3 Depth=1
	v_mul_hi_u32 v2, v3, v0
	v_mul_lo_u32 v9, v2, s8
	v_add_nc_u32_e32 v10, 1, v2
	v_sub_nc_u32_e32 v9, v3, v9
	v_subrev_nc_u32_e32 v11, s8, v9
	v_cmp_le_u32_e32 vcc_lo, s8, v9
	v_cndmask_b32_e32 v9, v9, v11, vcc_lo
	v_cndmask_b32_e32 v2, v2, v10, vcc_lo
	v_cmp_le_u32_e32 vcc_lo, s8, v9
	v_add_nc_u32_e32 v10, 1, v2
	v_cndmask_b32_e32 v9, v2, v10, vcc_lo
	v_mov_b32_e32 v10, v1
.LBB42_7:                               ;   in Loop: Header=BB42_3 Depth=1
	s_or_b32 exec_lo, exec_lo, s0
	v_lshlrev_b64 v[13:14], 1, v[9:10]
	v_mad_u64_u32 v[11:12], null, s26, v9, v[3:4]
	v_mul_lo_u32 v2, s26, v10
	v_mul_lo_u32 v15, s27, v9
	v_or_b32_e32 v16, 1, v13
	v_mul_lo_u32 v17, s8, v14
	v_add_co_u32 v20, vcc_lo, v13, 2
	v_mul_lo_u32 v18, v11, s13
	v_mul_lo_u32 v19, s9, v16
	v_add3_u32 v2, v15, v12, v2
	v_mad_u64_u32 v[15:16], null, s8, v16, v[3:4]
	v_mad_u64_u32 v[12:13], null, v11, s12, 0
	v_mul_lo_u32 v21, v2, s12
	v_add_co_ci_u32_e64 v14, null, 0, v14, vcc_lo
	v_mul_lo_u32 v22, s9, v20
	v_add3_u32 v23, v19, v16, v17
	v_mad_u64_u32 v[16:17], null, s8, v20, v[3:4]
	v_mul_lo_u32 v14, s8, v14
	v_add3_u32 v13, v13, v18, v21
	v_mul_lo_u32 v20, v23, s12
	v_mul_lo_u32 v21, v15, s13
	v_mad_u64_u32 v[18:19], null, v15, s12, 0
	v_mul_lo_u32 v25, v16, s13
	v_mul_lo_u32 v26, v11, s17
	v_add3_u32 v24, v22, v17, v14
	v_mul_lo_u32 v2, v2, s16
	v_lshlrev_b64 v[12:13], 1, v[12:13]
	v_add3_u32 v19, v19, v21, v20
	v_mul_lo_u32 v14, v24, s12
	v_mad_u64_u32 v[21:22], null, v11, s16, 0
	v_mul_lo_u32 v11, v23, s16
	v_lshlrev_b64 v[17:18], 1, v[18:19]
	v_mad_u64_u32 v[19:20], null, v16, s12, 0
	v_add_co_u32 v12, vcc_lo, s6, v12
	v_add3_u32 v22, v22, v26, v2
	v_mul_lo_u32 v2, v24, s16
	v_mul_lo_u32 v26, v16, s17
	v_mad_u64_u32 v[23:24], null, v16, s16, 0
	v_add3_u32 v20, v20, v25, v14
	v_mul_lo_u32 v25, v15, s17
	v_mad_u64_u32 v[14:15], null, v15, s16, 0
	v_lshlrev_b64 v[21:22], 1, v[21:22]
	v_lshlrev_b64 v[19:20], 1, v[19:20]
	v_add3_u32 v24, v24, v26, v2
	v_add_co_ci_u32_e64 v13, null, s7, v13, vcc_lo
	v_add_co_u32 v17, vcc_lo, s6, v17
	v_add3_u32 v15, v15, v25, v11
	v_add_co_ci_u32_e64 v18, null, s7, v18, vcc_lo
	v_add_co_u32 v19, vcc_lo, s6, v19
	v_lshlrev_b64 v[14:15], 1, v[14:15]
	v_lshlrev_b64 v[23:24], 1, v[23:24]
	v_add_co_ci_u32_e64 v20, null, s7, v20, vcc_lo
	v_add_co_u32 v21, vcc_lo, s14, v21
	v_add_co_ci_u32_e64 v22, null, s15, v22, vcc_lo
	v_add_co_u32 v25, vcc_lo, s14, v14
	;; [unrolled: 2-line block ×3, first 2 shown]
	v_add_co_ci_u32_e64 v24, null, s15, v24, vcc_lo
	s_clause 0x2
	global_load_ushort v15, v[12:13], off
	global_load_ushort v11, v[17:18], off
	;; [unrolled: 1-line block ×3, first 2 shown]
	s_clause 0x2
	global_load_ushort v16, v[21:22], off
	global_load_ushort v12, v[25:26], off
	;; [unrolled: 1-line block ×4, first 2 shown]
	s_andn2_b32 vcc_lo, exec_lo, s40
	s_cbranch_vccnz .LBB42_9
; %bb.8:                                ;   in Loop: Header=BB42_3 Depth=1
	v_mad_u64_u32 v[17:18], null, s41, v9, v[3:4]
	v_mul_lo_u32 v19, s41, v10
	v_mul_lo_u32 v20, s42, v9
	v_sub_co_u32 v21, vcc_lo, 1, v9
	v_sub_co_ci_u32_e64 v22, null, 0, v10, vcc_lo
	v_mul_lo_u32 v23, v17, s19
	v_mul_lo_u32 v24, s9, v21
	;; [unrolled: 1-line block ×3, first 2 shown]
	v_add3_u32 v25, v20, v18, v19
	v_mad_u64_u32 v[18:19], null, v17, s18, 0
	v_mul_lo_u32 v22, s8, v22
	v_mad_u64_u32 v[20:21], null, s8, v21, v[3:4]
	v_mul_lo_u32 v26, v25, s18
	v_mul_lo_u32 v32, v25, s22
	v_add3_u32 v27, v24, v21, v22
	v_mad_u64_u32 v[21:22], null, v20, s18, 0
	v_add3_u32 v19, v19, v23, v26
	v_sub_co_u32 v23, vcc_lo, 2, v9
	v_sub_co_ci_u32_e64 v24, null, 0, v10, vcc_lo
	v_mul_lo_u32 v26, v20, s19
	v_mul_lo_u32 v28, v27, s18
	v_lshlrev_b64 v[18:19], 1, v[18:19]
	v_mul_lo_u32 v29, s8, v24
	v_mul_lo_u32 v30, s9, v23
	v_mad_u64_u32 v[23:24], null, s8, v23, v[3:4]
	v_add_co_u32 v18, vcc_lo, s2, v18
	v_add_co_ci_u32_e64 v19, null, s3, v19, vcc_lo
	v_add3_u32 v22, v22, v26, v28
	v_add3_u32 v26, v30, v24, v29
	v_mul_lo_u32 v30, v23, s19
	global_load_ushort v28, v[18:19], off
	v_mad_u64_u32 v[24:25], null, v17, s22, 0
	v_lshlrev_b64 v[18:19], 1, v[21:22]
	v_mul_lo_u32 v29, v26, s18
	v_mad_u64_u32 v[21:22], null, v23, s18, 0
	v_add_co_u32 v17, vcc_lo, s2, v18
	v_add_co_ci_u32_e64 v18, null, s3, v19, vcc_lo
	v_add3_u32 v22, v22, v30, v29
	v_mul_lo_u32 v29, v27, s22
	v_mul_lo_u32 v30, v20, s23
	v_mad_u64_u32 v[19:20], null, v20, s22, 0
	v_add3_u32 v25, v25, v31, v32
	v_mul_lo_u32 v31, v26, s22
	v_mul_lo_u32 v32, v23, s23
	v_mad_u64_u32 v[26:27], null, v23, s22, 0
	v_lshlrev_b64 v[21:22], 1, v[21:22]
	v_add3_u32 v20, v20, v30, v29
	v_lshlrev_b64 v[23:24], 1, v[24:25]
	v_add3_u32 v27, v27, v32, v31
	v_lshlrev_b64 v[19:20], 1, v[19:20]
	v_add_co_u32 v21, vcc_lo, s2, v21
	v_add_co_ci_u32_e64 v22, null, s3, v22, vcc_lo
	v_lshlrev_b64 v[25:26], 1, v[26:27]
	v_add_co_u32 v23, vcc_lo, s20, v23
	v_add_co_ci_u32_e64 v24, null, s21, v24, vcc_lo
	v_add_co_u32 v19, vcc_lo, s20, v19
	v_add_co_ci_u32_e64 v20, null, s21, v20, vcc_lo
	;; [unrolled: 2-line block ×3, first 2 shown]
	global_load_ushort v23, v[23:24], off
	global_load_ushort v17, v[17:18], off
	;; [unrolled: 1-line block ×5, first 2 shown]
	s_waitcnt vmcnt(5)
	v_cvt_f32_f16_e32 v22, v28
	s_waitcnt vmcnt(4)
	v_cvt_f32_f16_e32 v21, v23
	;; [unrolled: 2-line block ×6, first 2 shown]
	s_branch .LBB42_10
.LBB42_9:                               ;   in Loop: Header=BB42_3 Depth=1
	v_mov_b32_e32 v19, 0
	v_mov_b32_e32 v17, 0
	;; [unrolled: 1-line block ×6, first 2 shown]
.LBB42_10:                              ;   in Loop: Header=BB42_3 Depth=1
	s_waitcnt vmcnt(6)
	v_cvt_f32_f16_e32 v15, v15
	s_waitcnt vmcnt(3)
	v_cvt_f32_f16_e32 v16, v16
	v_cvt_f32_f16_e32 v13, v13
	v_add_f32_e32 v15, v15, v16
	v_add_f32_e32 v15, v15, v22
	;; [unrolled: 1-line block ×3, first 2 shown]
	v_mul_f32_e32 v16, 0xbfb8aa3b, v15
	v_cmp_nlt_f32_e32 vcc_lo, 0x42ce8ed0, v15
	v_fma_f32 v21, 0xbfb8aa3b, v15, -v16
	v_rndne_f32_e32 v22, v16
	v_fmac_f32_e32 v21, 0xb2a5705f, v15
	v_sub_f32_e32 v16, v16, v22
	v_add_f32_e32 v16, v16, v21
	v_cvt_i32_f32_e32 v21, v22
	v_exp_f32_e32 v16, v16
	v_ldexp_f32 v16, v16, v21
	v_cndmask_b32_e32 v16, 0, v16, vcc_lo
	v_cmp_ngt_f32_e32 vcc_lo, 0xc2b17218, v15
	v_cndmask_b32_e32 v15, 0x7f800000, v16, vcc_lo
	v_add_f32_e32 v16, 1.0, v15
	v_div_scale_f32 v15, null, v16, v16, 1.0
	v_div_scale_f32 v23, vcc_lo, 1.0, v16, 1.0
	v_rcp_f32_e32 v21, v15
	v_fma_f32 v22, -v15, v21, 1.0
	v_fmac_f32_e32 v21, v22, v21
	v_mul_f32_e32 v22, v23, v21
	v_fma_f32 v24, -v15, v22, v23
	v_fmac_f32_e32 v22, v24, v21
	v_fma_f32 v15, -v15, v22, v23
	v_div_fmas_f32 v21, v15, v21, v22
	s_waitcnt vmcnt(1)
	v_cvt_f32_f16_e32 v22, v14
	v_add_f32_e32 v15, v20, v13
	v_div_fixup_f32 v14, v21, v16, 1.0
	v_add_f32_e32 v13, v19, v22
                                        ; implicit-def: $vgpr16
	v_fmac_f32_e32 v15, v13, v14
	v_cmp_ngt_f32_e64 s0, 0x3f200000, |v15|
	s_and_saveexec_b32 s37, s0
	s_xor_b32 s0, exec_lo, s37
	s_cbranch_execz .LBB42_12
; %bb.11:                               ;   in Loop: Header=BB42_3 Depth=1
	v_add_f32_e64 v16, |v15|, |v15|
	v_mul_f32_e32 v19, 0x3fb8aa3b, v16
	v_cmp_ngt_f32_e32 vcc_lo, 0xc2ce8ed0, v16
	v_rndne_f32_e32 v20, v19
	v_fma_f32 v21, 0x3fb8aa3b, v16, -v19
	v_sub_f32_e32 v19, v19, v20
	v_fmac_f32_e32 v21, 0x32a5705f, v16
	v_cvt_i32_f32_e32 v20, v20
	v_add_f32_e32 v19, v19, v21
	v_exp_f32_e32 v19, v19
	v_ldexp_f32 v19, v19, v20
	v_cndmask_b32_e32 v19, 0, v19, vcc_lo
	v_cmp_nlt_f32_e32 vcc_lo, 0x42b17218, v16
	v_cndmask_b32_e32 v16, 0x7f800000, v19, vcc_lo
	v_add_f32_e32 v16, 1.0, v16
	v_rcp_f32_e32 v16, v16
	v_fma_f32 v16, v16, -2.0, 1.0
.LBB42_12:                              ;   in Loop: Header=BB42_3 Depth=1
	s_andn2_saveexec_b32 s0, s0
	s_cbranch_execz .LBB42_2
; %bb.13:                               ;   in Loop: Header=BB42_3 Depth=1
	v_mul_f32_e32 v16, v15, v15
	v_fmaak_f32 v19, s43, v16, 0x3ca908c9
	v_fmaak_f32 v19, v16, v19, 0xbd5c1c4e
	;; [unrolled: 1-line block ×4, first 2 shown]
	v_mul_f32_e64 v19, |v15|, v19
	v_fma_f32 v16, v16, v19, |v15|
	s_branch .LBB42_2
.LBB42_14:
	s_endpgm
	.section	.rodata,"a",@progbits
	.p2align	6, 0x0
	.amdhsa_kernel _ZN2at6native12_GLOBAL__N_16kernel16gru_cell_forwardIN3c104HalfEflLi1EEEvNS_4cuda6detail10TensorInfoIT_T1_EESB_SB_SB_SB_SB_SB_SA_SA_
		.amdhsa_group_segment_fixed_size 0
		.amdhsa_private_segment_fixed_size 0
		.amdhsa_kernarg_size 3184
		.amdhsa_user_sgpr_count 6
		.amdhsa_user_sgpr_private_segment_buffer 1
		.amdhsa_user_sgpr_dispatch_ptr 0
		.amdhsa_user_sgpr_queue_ptr 0
		.amdhsa_user_sgpr_kernarg_segment_ptr 1
		.amdhsa_user_sgpr_dispatch_id 0
		.amdhsa_user_sgpr_flat_scratch_init 0
		.amdhsa_user_sgpr_private_segment_size 0
		.amdhsa_wavefront_size32 1
		.amdhsa_uses_dynamic_stack 0
		.amdhsa_system_sgpr_private_segment_wavefront_offset 0
		.amdhsa_system_sgpr_workgroup_id_x 1
		.amdhsa_system_sgpr_workgroup_id_y 0
		.amdhsa_system_sgpr_workgroup_id_z 0
		.amdhsa_system_sgpr_workgroup_info 0
		.amdhsa_system_vgpr_workitem_id 0
		.amdhsa_next_free_vgpr 38
		.amdhsa_next_free_sgpr 54
		.amdhsa_reserve_vcc 1
		.amdhsa_reserve_flat_scratch 0
		.amdhsa_float_round_mode_32 0
		.amdhsa_float_round_mode_16_64 0
		.amdhsa_float_denorm_mode_32 3
		.amdhsa_float_denorm_mode_16_64 3
		.amdhsa_dx10_clamp 1
		.amdhsa_ieee_mode 1
		.amdhsa_fp16_overflow 0
		.amdhsa_workgroup_processor_mode 1
		.amdhsa_memory_ordered 1
		.amdhsa_forward_progress 1
		.amdhsa_shared_vgpr_count 0
		.amdhsa_exception_fp_ieee_invalid_op 0
		.amdhsa_exception_fp_denorm_src 0
		.amdhsa_exception_fp_ieee_div_zero 0
		.amdhsa_exception_fp_ieee_overflow 0
		.amdhsa_exception_fp_ieee_underflow 0
		.amdhsa_exception_fp_ieee_inexact 0
		.amdhsa_exception_int_div_zero 0
	.end_amdhsa_kernel
	.section	.text._ZN2at6native12_GLOBAL__N_16kernel16gru_cell_forwardIN3c104HalfEflLi1EEEvNS_4cuda6detail10TensorInfoIT_T1_EESB_SB_SB_SB_SB_SB_SA_SA_,"axG",@progbits,_ZN2at6native12_GLOBAL__N_16kernel16gru_cell_forwardIN3c104HalfEflLi1EEEvNS_4cuda6detail10TensorInfoIT_T1_EESB_SB_SB_SB_SB_SB_SA_SA_,comdat
.Lfunc_end42:
	.size	_ZN2at6native12_GLOBAL__N_16kernel16gru_cell_forwardIN3c104HalfEflLi1EEEvNS_4cuda6detail10TensorInfoIT_T1_EESB_SB_SB_SB_SB_SB_SA_SA_, .Lfunc_end42-_ZN2at6native12_GLOBAL__N_16kernel16gru_cell_forwardIN3c104HalfEflLi1EEEvNS_4cuda6detail10TensorInfoIT_T1_EESB_SB_SB_SB_SB_SB_SA_SA_
                                        ; -- End function
	.set _ZN2at6native12_GLOBAL__N_16kernel16gru_cell_forwardIN3c104HalfEflLi1EEEvNS_4cuda6detail10TensorInfoIT_T1_EESB_SB_SB_SB_SB_SB_SA_SA_.num_vgpr, 38
	.set _ZN2at6native12_GLOBAL__N_16kernel16gru_cell_forwardIN3c104HalfEflLi1EEEvNS_4cuda6detail10TensorInfoIT_T1_EESB_SB_SB_SB_SB_SB_SA_SA_.num_agpr, 0
	.set _ZN2at6native12_GLOBAL__N_16kernel16gru_cell_forwardIN3c104HalfEflLi1EEEvNS_4cuda6detail10TensorInfoIT_T1_EESB_SB_SB_SB_SB_SB_SA_SA_.numbered_sgpr, 54
	.set _ZN2at6native12_GLOBAL__N_16kernel16gru_cell_forwardIN3c104HalfEflLi1EEEvNS_4cuda6detail10TensorInfoIT_T1_EESB_SB_SB_SB_SB_SB_SA_SA_.num_named_barrier, 0
	.set _ZN2at6native12_GLOBAL__N_16kernel16gru_cell_forwardIN3c104HalfEflLi1EEEvNS_4cuda6detail10TensorInfoIT_T1_EESB_SB_SB_SB_SB_SB_SA_SA_.private_seg_size, 0
	.set _ZN2at6native12_GLOBAL__N_16kernel16gru_cell_forwardIN3c104HalfEflLi1EEEvNS_4cuda6detail10TensorInfoIT_T1_EESB_SB_SB_SB_SB_SB_SA_SA_.uses_vcc, 1
	.set _ZN2at6native12_GLOBAL__N_16kernel16gru_cell_forwardIN3c104HalfEflLi1EEEvNS_4cuda6detail10TensorInfoIT_T1_EESB_SB_SB_SB_SB_SB_SA_SA_.uses_flat_scratch, 0
	.set _ZN2at6native12_GLOBAL__N_16kernel16gru_cell_forwardIN3c104HalfEflLi1EEEvNS_4cuda6detail10TensorInfoIT_T1_EESB_SB_SB_SB_SB_SB_SA_SA_.has_dyn_sized_stack, 0
	.set _ZN2at6native12_GLOBAL__N_16kernel16gru_cell_forwardIN3c104HalfEflLi1EEEvNS_4cuda6detail10TensorInfoIT_T1_EESB_SB_SB_SB_SB_SB_SA_SA_.has_recursion, 0
	.set _ZN2at6native12_GLOBAL__N_16kernel16gru_cell_forwardIN3c104HalfEflLi1EEEvNS_4cuda6detail10TensorInfoIT_T1_EESB_SB_SB_SB_SB_SB_SA_SA_.has_indirect_call, 0
	.section	.AMDGPU.csdata,"",@progbits
; Kernel info:
; codeLenInByte = 3504
; TotalNumSgprs: 56
; NumVgprs: 38
; ScratchSize: 0
; MemoryBound: 0
; FloatMode: 240
; IeeeMode: 1
; LDSByteSize: 0 bytes/workgroup (compile time only)
; SGPRBlocks: 0
; VGPRBlocks: 4
; NumSGPRsForWavesPerEU: 56
; NumVGPRsForWavesPerEU: 38
; Occupancy: 16
; WaveLimiterHint : 1
; COMPUTE_PGM_RSRC2:SCRATCH_EN: 0
; COMPUTE_PGM_RSRC2:USER_SGPR: 6
; COMPUTE_PGM_RSRC2:TRAP_HANDLER: 0
; COMPUTE_PGM_RSRC2:TGID_X_EN: 1
; COMPUTE_PGM_RSRC2:TGID_Y_EN: 0
; COMPUTE_PGM_RSRC2:TGID_Z_EN: 0
; COMPUTE_PGM_RSRC2:TIDIG_COMP_CNT: 0
	.section	.text._ZN2at6native12_GLOBAL__N_16kernel16gru_cell_forwardIN3c104HalfEflLi2EEEvNS_4cuda6detail10TensorInfoIT_T1_EESB_SB_SB_SB_SB_SB_SA_SA_,"axG",@progbits,_ZN2at6native12_GLOBAL__N_16kernel16gru_cell_forwardIN3c104HalfEflLi2EEEvNS_4cuda6detail10TensorInfoIT_T1_EESB_SB_SB_SB_SB_SB_SA_SA_,comdat
	.globl	_ZN2at6native12_GLOBAL__N_16kernel16gru_cell_forwardIN3c104HalfEflLi2EEEvNS_4cuda6detail10TensorInfoIT_T1_EESB_SB_SB_SB_SB_SB_SA_SA_ ; -- Begin function _ZN2at6native12_GLOBAL__N_16kernel16gru_cell_forwardIN3c104HalfEflLi2EEEvNS_4cuda6detail10TensorInfoIT_T1_EESB_SB_SB_SB_SB_SB_SA_SA_
	.p2align	8
	.type	_ZN2at6native12_GLOBAL__N_16kernel16gru_cell_forwardIN3c104HalfEflLi2EEEvNS_4cuda6detail10TensorInfoIT_T1_EESB_SB_SB_SB_SB_SB_SA_SA_,@function
_ZN2at6native12_GLOBAL__N_16kernel16gru_cell_forwardIN3c104HalfEflLi2EEEvNS_4cuda6detail10TensorInfoIT_T1_EESB_SB_SB_SB_SB_SB_SA_SA_: ; @_ZN2at6native12_GLOBAL__N_16kernel16gru_cell_forwardIN3c104HalfEflLi2EEEvNS_4cuda6detail10TensorInfoIT_T1_EESB_SB_SB_SB_SB_SB_SA_SA_
; %bb.0:
	s_clause 0x1
	s_load_dword s2, s[4:5], 0xb7c
	s_load_dwordx4 s[8:11], s[4:5], 0xb60
	v_mov_b32_e32 v1, 0
	s_add_u32 s0, s4, 0xb70
	s_addc_u32 s1, s5, 0
	s_waitcnt lgkmcnt(0)
	s_and_b32 s33, s2, 0xffff
	s_mov_b32 s2, exec_lo
	v_mad_u64_u32 v[3:4], null, s6, s33, v[0:1]
	v_mov_b32_e32 v4, v1
	v_cmpx_gt_i64_e64 s[10:11], v[3:4]
	s_cbranch_execz .LBB43_66
; %bb.1:
	v_cvt_f32_u32_e32 v0, s8
	s_clause 0x4
	s_load_dwordx2 s[2:3], s[4:5], 0x0
	s_load_dwordx2 s[28:29], s[4:5], 0x10
	;; [unrolled: 1-line block ×3, first 2 shown]
	s_load_dwordx4 s[12:15], s[4:5], 0xd0
	s_load_dwordx2 s[34:35], s[4:5], 0x1a0
	s_load_dword s0, s[0:1], 0x0
	s_clause 0xd
	s_load_dwordx2 s[36:37], s[4:5], 0x1b0
	s_load_dwordx4 s[16:19], s[4:5], 0x270
	s_load_dwordx2 s[38:39], s[4:5], 0x410
	s_load_dwordx2 s[40:41], s[4:5], 0x4e0
	;; [unrolled: 1-line block ×5, first 2 shown]
	s_load_dwordx4 s[20:23], s[4:5], 0x750
	s_load_dwordx2 s[48:49], s[4:5], 0x820
	s_load_dwordx2 s[50:51], s[4:5], 0x830
	s_load_dwordx4 s[24:27], s[4:5], 0x8f0
	s_load_dwordx2 s[52:53], s[4:5], 0x9c0
	s_load_dwordx2 s[54:55], s[4:5], 0x9d0
	s_load_dwordx4 s[4:7], s[4:5], 0xa90
	s_mov_b32 s66, 0
	s_mov_b32 s73, 0xbbbac73d
	v_rcp_iflag_f32_e32 v0, v0
	s_waitcnt lgkmcnt(0)
	s_cmp_lg_u64 s[30:31], 0
	s_cselect_b32 s1, -1, 0
	s_lshl_b64 s[56:57], s[8:9], 1
	s_lshl_b64 s[58:59], s[8:9], 2
	s_sub_u32 s67, 0, s8
	s_subb_u32 s68, 0, s9
	v_mul_f32_e32 v0, 0x4f7ffffe, v0
	s_mul_i32 s33, s0, s33
	s_sub_u32 s69, 0, s46
	s_subb_u32 s70, 0, s47
	v_cvt_u32_f32_e32 v0, v0
	s_sub_u32 s71, 0, s50
	s_subb_u32 s72, 0, s51
	s_ashr_i32 s60, s9, 31
	s_branch .LBB43_3
.LBB43_2:                               ;   in Loop: Header=BB43_3 Depth=1
	s_or_b32 exec_lo, exec_lo, s0
	v_mul_lo_u32 v2, v8, s54
	v_mul_lo_u32 v11, v7, s55
	v_mad_u64_u32 v[9:10], null, v7, s54, 0
	v_mul_lo_u32 v12, v8, s4
	v_add3_u32 v2, v10, v11, v2
	v_sub_co_u32 v5, vcc_lo, v5, v9
	v_mul_lo_u32 v9, v7, s5
	v_sub_co_ci_u32_e64 v2, null, v6, v2, vcc_lo
	v_add_co_u32 v8, vcc_lo, v3, v5
	v_mad_u64_u32 v[5:6], null, v7, s4, 0
	v_add_co_ci_u32_e64 v2, null, v4, v2, vcc_lo
	v_mul_lo_u32 v10, v8, s7
	v_mad_u64_u32 v[7:8], null, v8, s6, 0
	v_mul_lo_u32 v2, v2, s6
	v_add3_u32 v6, v6, v9, v12
	v_add_co_u32 v3, vcc_lo, v3, s33
	v_add_co_ci_u32_e64 v4, null, 0, v4, vcc_lo
	v_lshlrev_b64 v[5:6], 1, v[5:6]
	v_cvt_f16_f32_e32 v9, v14
	v_add3_u32 v8, v8, v10, v2
	v_add_co_u32 v2, vcc_lo, s52, v5
	v_lshlrev_b64 v[7:8], 1, v[7:8]
	v_add_co_ci_u32_e64 v6, null, s53, v6, vcc_lo
	v_cmp_le_i64_e32 vcc_lo, s[10:11], v[3:4]
	v_add_co_u32 v5, s0, v2, v7
	v_add_co_ci_u32_e64 v6, null, v6, v8, s0
	s_or_b32 s66, vcc_lo, s66
	global_store_short v[5:6], v9, off
	s_andn2_b32 exec_lo, exec_lo, s66
	s_cbranch_execz .LBB43_66
.LBB43_3:                               ; =>This Inner Loop Header: Depth=1
	v_or_b32_e32 v2, s9, v4
	v_ashrrev_i32_e32 v15, 31, v4
                                        ; implicit-def: $vgpr5_vgpr6
	s_mov_b32 s0, exec_lo
	v_cmpx_ne_u64_e32 0, v[1:2]
	s_xor_b32 s64, exec_lo, s0
	s_cbranch_execz .LBB43_5
; %bb.4:                                ;   in Loop: Header=BB43_3 Depth=1
	s_add_u32 s62, s8, s60
	s_mov_b32 s61, s60
	s_addc_u32 s63, s9, s60
	v_add_co_u32 v6, vcc_lo, v3, v15
	s_xor_b64 s[62:63], s[62:63], s[60:61]
	v_add_co_ci_u32_e64 v7, null, v4, v15, vcc_lo
	v_cvt_f32_u32_e32 v2, s62
	v_cvt_f32_u32_e32 v5, s63
	s_sub_u32 s65, 0, s62
	s_subb_u32 s74, 0, s63
	v_xor_b32_e32 v11, v7, v15
	v_fmac_f32_e32 v2, 0x4f800000, v5
	v_rcp_f32_e32 v2, v2
	v_mul_f32_e32 v2, 0x5f7ffffc, v2
	v_mul_f32_e32 v5, 0x2f800000, v2
	v_trunc_f32_e32 v5, v5
	v_fmac_f32_e32 v2, 0xcf800000, v5
	v_cvt_u32_f32_e32 v5, v5
	v_cvt_u32_f32_e32 v2, v2
	v_readfirstlane_b32 s0, v5
	v_readfirstlane_b32 s61, v2
	s_mul_i32 s75, s65, s0
	v_xor_b32_e32 v2, v6, v15
	s_mul_hi_u32 s77, s65, s61
	s_mul_i32 s76, s74, s61
	s_add_i32 s75, s77, s75
	s_mul_i32 s78, s65, s61
	s_add_i32 s75, s75, s76
	s_mul_hi_u32 s77, s61, s78
	s_mul_i32 s80, s61, s75
	s_mul_hi_u32 s79, s0, s78
	s_mul_i32 s76, s0, s78
	s_mul_hi_u32 s78, s61, s75
	s_add_u32 s77, s77, s80
	s_addc_u32 s78, 0, s78
	s_mul_hi_u32 s81, s0, s75
	s_add_u32 s76, s77, s76
	s_mul_i32 s75, s0, s75
	s_addc_u32 s76, s78, s79
	s_addc_u32 s77, s81, 0
	s_add_u32 s75, s76, s75
	s_addc_u32 s76, 0, s77
	s_add_u32 s61, s61, s75
	s_cselect_b32 s75, -1, 0
	s_mul_hi_u32 s77, s65, s61
	s_cmp_lg_u32 s75, 0
	s_mul_i32 s75, s65, s61
	s_addc_u32 s0, s0, s76
	s_mul_i32 s74, s74, s61
	s_mul_i32 s65, s65, s0
	s_mul_hi_u32 s76, s61, s75
	s_add_i32 s65, s77, s65
	s_mul_hi_u32 s77, s0, s75
	s_add_i32 s65, s65, s74
	s_mul_i32 s74, s0, s75
	s_mul_i32 s79, s61, s65
	s_mul_hi_u32 s78, s61, s65
	s_add_u32 s76, s76, s79
	s_addc_u32 s78, 0, s78
	s_mul_hi_u32 s75, s0, s65
	s_add_u32 s74, s76, s74
	s_mul_i32 s65, s0, s65
	s_addc_u32 s74, s78, s77
	s_addc_u32 s75, s75, 0
	s_add_u32 s65, s74, s65
	s_addc_u32 s74, 0, s75
	s_add_u32 s61, s61, s65
	s_cselect_b32 s65, -1, 0
	v_mul_hi_u32 v12, v2, s61
	s_cmp_lg_u32 s65, 0
	v_mad_u64_u32 v[7:8], null, v11, s61, 0
	s_addc_u32 s0, s0, s74
	v_mad_u64_u32 v[5:6], null, v2, s0, 0
	v_mad_u64_u32 v[9:10], null, v11, s0, 0
	v_add_co_u32 v5, vcc_lo, v12, v5
	v_add_co_ci_u32_e64 v6, null, 0, v6, vcc_lo
	v_add_co_u32 v5, vcc_lo, v5, v7
	v_add_co_ci_u32_e32 v5, vcc_lo, v6, v8, vcc_lo
	v_add_co_ci_u32_e32 v6, vcc_lo, 0, v10, vcc_lo
	v_add_co_u32 v7, vcc_lo, v5, v9
	v_add_co_ci_u32_e64 v8, null, 0, v6, vcc_lo
	v_mul_lo_u32 v9, s63, v7
	v_mad_u64_u32 v[5:6], null, s62, v7, 0
	v_mul_lo_u32 v10, s62, v8
	v_sub_co_u32 v2, vcc_lo, v2, v5
	v_add3_u32 v6, v6, v10, v9
	v_sub_nc_u32_e32 v9, v11, v6
	v_sub_co_ci_u32_e64 v6, null, v11, v6, vcc_lo
	v_subrev_co_ci_u32_e64 v5, null, s63, v9, vcc_lo
	v_add_co_u32 v9, s0, v7, 2
	v_add_co_ci_u32_e64 v10, null, 0, v8, s0
	v_sub_co_u32 v12, s0, v2, s62
	v_subrev_co_ci_u32_e64 v5, null, 0, v5, s0
	v_cmp_le_u32_e32 vcc_lo, s62, v12
	v_cndmask_b32_e64 v11, 0, -1, vcc_lo
	v_cmp_le_u32_e32 vcc_lo, s63, v5
	v_cndmask_b32_e64 v12, 0, -1, vcc_lo
	;; [unrolled: 2-line block ×4, first 2 shown]
	v_cmp_eq_u32_e32 vcc_lo, s63, v5
	v_cndmask_b32_e32 v5, v12, v11, vcc_lo
	v_add_co_u32 v11, vcc_lo, v7, 1
	v_add_co_ci_u32_e64 v12, null, 0, v8, vcc_lo
	v_cmp_eq_u32_e32 vcc_lo, s63, v6
	v_xor_b32_e32 v6, s60, v15
	v_cndmask_b32_e32 v2, v13, v2, vcc_lo
	v_cmp_ne_u32_e32 vcc_lo, 0, v5
	v_cmp_ne_u32_e64 s0, 0, v2
	v_cndmask_b32_e32 v2, v11, v9, vcc_lo
	v_cndmask_b32_e32 v5, v12, v10, vcc_lo
	v_cndmask_b32_e64 v2, v7, v2, s0
	v_cndmask_b32_e64 v5, v8, v5, s0
	v_xor_b32_e32 v2, v2, v6
	v_xor_b32_e32 v7, v5, v6
	v_sub_co_u32 v5, vcc_lo, v2, v6
	v_sub_co_ci_u32_e64 v6, null, v7, v6, vcc_lo
.LBB43_5:                               ;   in Loop: Header=BB43_3 Depth=1
	s_andn2_saveexec_b32 s0, s64
	s_cbranch_execz .LBB43_7
; %bb.6:                                ;   in Loop: Header=BB43_3 Depth=1
	s_sub_i32 s61, 0, s8
	v_mul_lo_u32 v2, s61, v0
	v_mul_hi_u32 v2, v0, v2
	v_add_nc_u32_e32 v2, v0, v2
	v_mul_hi_u32 v2, v3, v2
	v_mul_lo_u32 v5, v2, s8
	v_add_nc_u32_e32 v6, 1, v2
	v_sub_nc_u32_e32 v5, v3, v5
	v_subrev_nc_u32_e32 v7, s8, v5
	v_cmp_le_u32_e32 vcc_lo, s8, v5
	v_cndmask_b32_e32 v5, v5, v7, vcc_lo
	v_cndmask_b32_e32 v2, v2, v6, vcc_lo
	v_cmp_le_u32_e32 vcc_lo, s8, v5
	v_add_nc_u32_e32 v6, 1, v2
	v_cndmask_b32_e32 v5, v2, v6, vcc_lo
	v_mov_b32_e32 v6, v1
.LBB43_7:                               ;   in Loop: Header=BB43_3 Depth=1
	s_or_b32 exec_lo, exec_lo, s0
	v_mul_lo_u32 v2, s57, v5
	v_mul_lo_u32 v9, s56, v6
	v_mad_u64_u32 v[7:8], null, s56, v5, 0
	s_mov_b32 s0, exec_lo
	v_add3_u32 v8, v8, v9, v2
	v_add_co_u32 v22, vcc_lo, v3, v7
                                        ; implicit-def: $vgpr9_vgpr10
	v_add_co_ci_u32_e64 v25, null, v4, v8, vcc_lo
	v_or_b32_e32 v2, s29, v25
	v_ashrrev_i32_e32 v19, 31, v25
	v_cmpx_ne_u64_e32 0, v[1:2]
	s_xor_b32 s61, exec_lo, s0
	s_cbranch_execz .LBB43_9
; %bb.8:                                ;   in Loop: Header=BB43_3 Depth=1
	s_ashr_i32 s62, s29, 31
	v_add_co_u32 v10, vcc_lo, v22, v19
	s_add_u32 s64, s28, s62
	s_mov_b32 s63, s62
	s_addc_u32 s65, s29, s62
	v_add_co_ci_u32_e64 v11, null, v25, v19, vcc_lo
	s_xor_b64 s[64:65], s[64:65], s[62:63]
	v_cvt_f32_u32_e32 v2, s64
	v_cvt_f32_u32_e32 v9, s65
	s_sub_u32 s74, 0, s64
	s_subb_u32 s75, 0, s65
	v_xor_b32_e32 v16, v11, v19
	v_fmac_f32_e32 v2, 0x4f800000, v9
	v_rcp_f32_e32 v2, v2
	v_mul_f32_e32 v2, 0x5f7ffffc, v2
	v_mul_f32_e32 v9, 0x2f800000, v2
	v_trunc_f32_e32 v9, v9
	v_fmac_f32_e32 v2, 0xcf800000, v9
	v_cvt_u32_f32_e32 v9, v9
	v_cvt_u32_f32_e32 v2, v2
	v_readfirstlane_b32 s0, v9
	v_readfirstlane_b32 s63, v2
	s_mul_i32 s76, s74, s0
	v_xor_b32_e32 v2, v10, v19
	s_mul_hi_u32 s78, s74, s63
	s_mul_i32 s77, s75, s63
	s_add_i32 s76, s78, s76
	s_mul_i32 s79, s74, s63
	s_add_i32 s76, s76, s77
	s_mul_hi_u32 s78, s63, s79
	s_mul_i32 s81, s63, s76
	s_mul_hi_u32 s80, s0, s79
	s_mul_i32 s77, s0, s79
	s_mul_hi_u32 s79, s63, s76
	s_add_u32 s78, s78, s81
	s_addc_u32 s79, 0, s79
	s_mul_hi_u32 s82, s0, s76
	s_add_u32 s77, s78, s77
	s_mul_i32 s76, s0, s76
	s_addc_u32 s77, s79, s80
	s_addc_u32 s78, s82, 0
	s_add_u32 s76, s77, s76
	s_addc_u32 s77, 0, s78
	s_add_u32 s63, s63, s76
	s_cselect_b32 s76, -1, 0
	s_mul_hi_u32 s78, s74, s63
	s_cmp_lg_u32 s76, 0
	s_mul_i32 s76, s74, s63
	s_addc_u32 s0, s0, s77
	s_mul_i32 s75, s75, s63
	s_mul_i32 s74, s74, s0
	s_mul_hi_u32 s77, s63, s76
	s_add_i32 s74, s78, s74
	s_mul_hi_u32 s78, s0, s76
	s_add_i32 s74, s74, s75
	s_mul_i32 s75, s0, s76
	s_mul_i32 s80, s63, s74
	s_mul_hi_u32 s79, s63, s74
	s_add_u32 s77, s77, s80
	s_addc_u32 s79, 0, s79
	s_mul_hi_u32 s76, s0, s74
	s_add_u32 s75, s77, s75
	s_mul_i32 s74, s0, s74
	s_addc_u32 s75, s79, s78
	s_addc_u32 s76, s76, 0
	s_add_u32 s74, s75, s74
	s_addc_u32 s75, 0, s76
	s_add_u32 s63, s63, s74
	s_cselect_b32 s74, -1, 0
	v_mul_hi_u32 v17, v2, s63
	s_cmp_lg_u32 s74, 0
	v_mad_u64_u32 v[11:12], null, v16, s63, 0
	s_addc_u32 s0, s0, s75
	v_mad_u64_u32 v[9:10], null, v2, s0, 0
	v_mad_u64_u32 v[13:14], null, v16, s0, 0
	v_add_co_u32 v9, vcc_lo, v17, v9
	v_add_co_ci_u32_e64 v10, null, 0, v10, vcc_lo
	v_add_co_u32 v9, vcc_lo, v9, v11
	v_add_co_ci_u32_e32 v9, vcc_lo, v10, v12, vcc_lo
	v_add_co_ci_u32_e32 v10, vcc_lo, 0, v14, vcc_lo
	v_add_co_u32 v11, vcc_lo, v9, v13
	v_add_co_ci_u32_e64 v12, null, 0, v10, vcc_lo
	v_mul_lo_u32 v13, s65, v11
	v_mad_u64_u32 v[9:10], null, s64, v11, 0
	v_mul_lo_u32 v14, s64, v12
	v_sub_co_u32 v2, vcc_lo, v2, v9
	v_add3_u32 v10, v10, v14, v13
	v_sub_nc_u32_e32 v13, v16, v10
	v_sub_co_ci_u32_e64 v10, null, v16, v10, vcc_lo
	v_subrev_co_ci_u32_e64 v9, null, s65, v13, vcc_lo
	v_add_co_u32 v13, s0, v11, 2
	v_add_co_ci_u32_e64 v14, null, 0, v12, s0
	v_sub_co_u32 v17, s0, v2, s64
	v_subrev_co_ci_u32_e64 v9, null, 0, v9, s0
	v_cmp_le_u32_e32 vcc_lo, s64, v17
	v_cndmask_b32_e64 v16, 0, -1, vcc_lo
	v_cmp_le_u32_e32 vcc_lo, s65, v9
	v_cndmask_b32_e64 v17, 0, -1, vcc_lo
	;; [unrolled: 2-line block ×4, first 2 shown]
	v_cmp_eq_u32_e32 vcc_lo, s65, v9
	v_cndmask_b32_e32 v9, v17, v16, vcc_lo
	v_add_co_u32 v16, vcc_lo, v11, 1
	v_add_co_ci_u32_e64 v17, null, 0, v12, vcc_lo
	v_cmp_eq_u32_e32 vcc_lo, s65, v10
	v_xor_b32_e32 v10, s62, v19
	v_cndmask_b32_e32 v2, v18, v2, vcc_lo
	v_cmp_ne_u32_e32 vcc_lo, 0, v9
	v_cmp_ne_u32_e64 s0, 0, v2
	v_cndmask_b32_e32 v2, v16, v13, vcc_lo
	v_cndmask_b32_e32 v9, v17, v14, vcc_lo
	v_cndmask_b32_e64 v2, v11, v2, s0
	v_cndmask_b32_e64 v9, v12, v9, s0
	v_xor_b32_e32 v2, v2, v10
	v_xor_b32_e32 v11, v9, v10
	v_sub_co_u32 v9, vcc_lo, v2, v10
	v_sub_co_ci_u32_e64 v10, null, v11, v10, vcc_lo
.LBB43_9:                               ;   in Loop: Header=BB43_3 Depth=1
	s_or_saveexec_b32 s0, s61
	v_cvt_f32_u32_e32 v18, s28
	s_xor_b32 exec_lo, exec_lo, s0
	s_cbranch_execz .LBB43_11
; %bb.10:                               ;   in Loop: Header=BB43_3 Depth=1
	v_rcp_iflag_f32_e32 v2, v18
	s_sub_i32 s61, 0, s28
	v_mul_f32_e32 v2, 0x4f7ffffe, v2
	v_cvt_u32_f32_e32 v2, v2
	v_mul_lo_u32 v9, s61, v2
	v_mul_hi_u32 v9, v2, v9
	v_add_nc_u32_e32 v2, v2, v9
	v_mul_hi_u32 v2, v22, v2
	v_mul_lo_u32 v9, v2, s28
	v_add_nc_u32_e32 v10, 1, v2
	v_sub_nc_u32_e32 v9, v22, v9
	v_subrev_nc_u32_e32 v11, s28, v9
	v_cmp_le_u32_e32 vcc_lo, s28, v9
	v_cndmask_b32_e32 v9, v9, v11, vcc_lo
	v_cndmask_b32_e32 v2, v2, v10, vcc_lo
	v_cmp_le_u32_e32 vcc_lo, s28, v9
	v_add_nc_u32_e32 v10, 1, v2
	v_cndmask_b32_e32 v9, v2, v10, vcc_lo
	v_mov_b32_e32 v10, v1
.LBB43_11:                              ;   in Loop: Header=BB43_3 Depth=1
	s_or_b32 exec_lo, exec_lo, s0
	v_mul_lo_u32 v2, v10, s28
	v_mul_lo_u32 v13, v9, s29
	v_mad_u64_u32 v[11:12], null, v9, s28, 0
	v_mul_lo_u32 v14, v9, s13
	s_mov_b32 s0, exec_lo
	v_add3_u32 v2, v12, v13, v2
	v_mul_lo_u32 v13, v10, s12
	v_sub_co_u32 v10, vcc_lo, v7, v11
	v_sub_co_ci_u32_e64 v2, null, v8, v2, vcc_lo
	v_add_co_u32 v11, vcc_lo, v3, v10
	v_mad_u64_u32 v[9:10], null, v9, s12, 0
	v_add_co_ci_u32_e64 v2, null, v4, v2, vcc_lo
	v_mul_lo_u32 v16, v11, s15
	v_mad_u64_u32 v[11:12], null, v11, s14, 0
	v_mul_lo_u32 v2, v2, s14
	v_add3_u32 v10, v10, v14, v13
	v_lshlrev_b64 v[9:10], 1, v[9:10]
	v_add3_u32 v12, v12, v16, v2
	v_add_co_u32 v2, vcc_lo, s2, v9
	v_lshlrev_b64 v[11:12], 1, v[11:12]
	v_add_co_ci_u32_e64 v10, null, s3, v10, vcc_lo
	v_add_co_u32 v9, vcc_lo, v2, v11
	v_add_co_ci_u32_e64 v10, null, v10, v12, vcc_lo
	v_lshlrev_b64 v[11:12], 1, v[5:6]
	v_alignbit_b32 v2, v6, v5, 31
	global_load_ushort v16, v[9:10], off
	v_mul_lo_u32 v2, s8, v2
	v_mul_lo_u32 v13, s9, v11
	v_mad_u64_u32 v[9:10], null, s8, v11, s[8:9]
	v_add3_u32 v10, v13, v10, v2
	v_add_co_u32 v23, vcc_lo, v3, v9
                                        ; implicit-def: $vgpr13_vgpr14
	v_add_co_ci_u32_e64 v26, null, v4, v10, vcc_lo
	v_or_b32_e32 v2, s29, v26
	v_ashrrev_i32_e32 v20, 31, v26
	v_cmpx_ne_u64_e32 0, v[1:2]
	s_xor_b32 s61, exec_lo, s0
	s_cbranch_execz .LBB43_13
; %bb.12:                               ;   in Loop: Header=BB43_3 Depth=1
	s_ashr_i32 s62, s29, 31
	v_add_co_u32 v14, vcc_lo, v23, v20
	s_add_u32 s64, s28, s62
	s_mov_b32 s63, s62
	s_addc_u32 s65, s29, s62
	v_add_co_ci_u32_e64 v17, null, v26, v20, vcc_lo
	s_xor_b64 s[64:65], s[64:65], s[62:63]
	v_cvt_f32_u32_e32 v2, s64
	v_cvt_f32_u32_e32 v13, s65
	s_sub_u32 s74, 0, s64
	s_subb_u32 s75, 0, s65
	v_xor_b32_e32 v17, v17, v20
	v_fmac_f32_e32 v2, 0x4f800000, v13
	v_rcp_f32_e32 v2, v2
	v_mul_f32_e32 v2, 0x5f7ffffc, v2
	v_mul_f32_e32 v13, 0x2f800000, v2
	v_trunc_f32_e32 v13, v13
	v_fmac_f32_e32 v2, 0xcf800000, v13
	v_cvt_u32_f32_e32 v13, v13
	v_cvt_u32_f32_e32 v2, v2
	v_readfirstlane_b32 s0, v13
	v_readfirstlane_b32 s63, v2
	s_mul_i32 s76, s74, s0
	v_xor_b32_e32 v2, v14, v20
	s_mul_hi_u32 s78, s74, s63
	s_mul_i32 s77, s75, s63
	s_add_i32 s76, s78, s76
	s_mul_i32 s79, s74, s63
	s_add_i32 s76, s76, s77
	s_mul_hi_u32 s78, s63, s79
	s_mul_i32 s81, s63, s76
	s_mul_hi_u32 s80, s0, s79
	s_mul_i32 s77, s0, s79
	s_mul_hi_u32 s79, s63, s76
	s_add_u32 s78, s78, s81
	s_addc_u32 s79, 0, s79
	s_mul_hi_u32 s82, s0, s76
	s_add_u32 s77, s78, s77
	s_mul_i32 s76, s0, s76
	s_addc_u32 s77, s79, s80
	s_addc_u32 s78, s82, 0
	s_add_u32 s76, s77, s76
	s_addc_u32 s77, 0, s78
	s_add_u32 s63, s63, s76
	s_cselect_b32 s76, -1, 0
	s_mul_hi_u32 s78, s74, s63
	s_cmp_lg_u32 s76, 0
	s_mul_i32 s76, s74, s63
	s_addc_u32 s0, s0, s77
	s_mul_i32 s75, s75, s63
	s_mul_i32 s74, s74, s0
	s_mul_hi_u32 s77, s63, s76
	s_add_i32 s74, s78, s74
	s_mul_hi_u32 s78, s0, s76
	s_add_i32 s74, s74, s75
	s_mul_i32 s75, s0, s76
	s_mul_i32 s80, s63, s74
	s_mul_hi_u32 s79, s63, s74
	s_add_u32 s77, s77, s80
	s_addc_u32 s79, 0, s79
	s_mul_hi_u32 s76, s0, s74
	s_add_u32 s75, s77, s75
	s_mul_i32 s74, s0, s74
	s_addc_u32 s75, s79, s78
	s_addc_u32 s76, s76, 0
	s_add_u32 s74, s75, s74
	s_addc_u32 s75, 0, s76
	s_add_u32 s63, s63, s74
	s_cselect_b32 s74, -1, 0
	v_mul_hi_u32 v21, v2, s63
	s_cmp_lg_u32 s74, 0
	v_mad_u64_u32 v[27:28], null, v17, s63, 0
	s_addc_u32 s0, s0, s75
	v_mad_u64_u32 v[13:14], null, v2, s0, 0
	v_mad_u64_u32 v[29:30], null, v17, s0, 0
	v_add_co_u32 v13, vcc_lo, v21, v13
	v_add_co_ci_u32_e64 v14, null, 0, v14, vcc_lo
	v_add_co_u32 v13, vcc_lo, v13, v27
	v_add_co_ci_u32_e32 v13, vcc_lo, v14, v28, vcc_lo
	v_add_co_ci_u32_e32 v14, vcc_lo, 0, v30, vcc_lo
	v_add_co_u32 v21, vcc_lo, v13, v29
	v_add_co_ci_u32_e64 v24, null, 0, v14, vcc_lo
	v_mul_lo_u32 v27, s65, v21
	v_mad_u64_u32 v[13:14], null, s64, v21, 0
	v_mul_lo_u32 v28, s64, v24
	v_sub_co_u32 v2, vcc_lo, v2, v13
	v_add3_u32 v14, v14, v28, v27
	v_sub_nc_u32_e32 v27, v17, v14
	v_sub_co_ci_u32_e64 v14, null, v17, v14, vcc_lo
	v_subrev_co_ci_u32_e64 v13, null, s65, v27, vcc_lo
	v_add_co_u32 v27, s0, v21, 2
	v_add_co_ci_u32_e64 v28, null, 0, v24, s0
	v_sub_co_u32 v29, s0, v2, s64
	v_subrev_co_ci_u32_e64 v13, null, 0, v13, s0
	v_cmp_le_u32_e32 vcc_lo, s64, v29
	v_cndmask_b32_e64 v17, 0, -1, vcc_lo
	v_cmp_le_u32_e32 vcc_lo, s65, v13
	v_cndmask_b32_e64 v29, 0, -1, vcc_lo
	;; [unrolled: 2-line block ×4, first 2 shown]
	v_cmp_eq_u32_e32 vcc_lo, s65, v13
	v_cndmask_b32_e32 v13, v29, v17, vcc_lo
	v_add_co_u32 v17, vcc_lo, v21, 1
	v_add_co_ci_u32_e64 v29, null, 0, v24, vcc_lo
	v_cmp_eq_u32_e32 vcc_lo, s65, v14
	v_xor_b32_e32 v14, s62, v20
	v_cndmask_b32_e32 v2, v30, v2, vcc_lo
	v_cmp_ne_u32_e32 vcc_lo, 0, v13
	v_cmp_ne_u32_e64 s0, 0, v2
	v_cndmask_b32_e32 v2, v17, v27, vcc_lo
	v_cndmask_b32_e32 v13, v29, v28, vcc_lo
	v_cndmask_b32_e64 v2, v21, v2, s0
	v_cndmask_b32_e64 v13, v24, v13, s0
	v_xor_b32_e32 v2, v2, v14
	v_xor_b32_e32 v17, v13, v14
	v_sub_co_u32 v13, vcc_lo, v2, v14
	v_sub_co_ci_u32_e64 v14, null, v17, v14, vcc_lo
.LBB43_13:                              ;   in Loop: Header=BB43_3 Depth=1
	s_andn2_saveexec_b32 s0, s61
	s_cbranch_execz .LBB43_15
; %bb.14:                               ;   in Loop: Header=BB43_3 Depth=1
	v_rcp_iflag_f32_e32 v2, v18
	s_sub_i32 s61, 0, s28
	v_mul_f32_e32 v2, 0x4f7ffffe, v2
	v_cvt_u32_f32_e32 v2, v2
	v_mul_lo_u32 v13, s61, v2
	v_mul_hi_u32 v13, v2, v13
	v_add_nc_u32_e32 v2, v2, v13
	v_mul_hi_u32 v2, v23, v2
	v_mul_lo_u32 v13, v2, s28
	v_add_nc_u32_e32 v14, 1, v2
	v_sub_nc_u32_e32 v13, v23, v13
	v_subrev_nc_u32_e32 v17, s28, v13
	v_cmp_le_u32_e32 vcc_lo, s28, v13
	v_cndmask_b32_e32 v13, v13, v17, vcc_lo
	v_cndmask_b32_e32 v2, v2, v14, vcc_lo
	v_cmp_le_u32_e32 vcc_lo, s28, v13
	v_add_nc_u32_e32 v14, 1, v2
	v_cndmask_b32_e32 v13, v2, v14, vcc_lo
	v_mov_b32_e32 v14, v1
.LBB43_15:                              ;   in Loop: Header=BB43_3 Depth=1
	s_or_b32 exec_lo, exec_lo, s0
	v_mul_lo_u32 v2, v14, s28
	v_mul_lo_u32 v17, v13, s29
	v_mad_u64_u32 v[27:28], null, v13, s28, 0
	v_mul_lo_u32 v21, v13, s13
	s_mov_b32 s0, exec_lo
	v_add3_u32 v2, v28, v17, v2
	v_mul_lo_u32 v17, v14, s12
	v_sub_co_u32 v14, vcc_lo, v9, v27
	v_sub_co_ci_u32_e64 v2, null, v10, v2, vcc_lo
	v_add_co_u32 v24, vcc_lo, v3, v14
	v_mad_u64_u32 v[13:14], null, v13, s12, 0
	v_add_co_ci_u32_e64 v2, null, v4, v2, vcc_lo
	v_mul_lo_u32 v29, v24, s15
	v_mad_u64_u32 v[27:28], null, v24, s14, 0
	v_mul_lo_u32 v2, v2, s14
	v_add3_u32 v14, v14, v21, v17
	v_lshlrev_b64 v[13:14], 1, v[13:14]
	v_add3_u32 v28, v28, v29, v2
	v_add_co_u32 v2, vcc_lo, s2, v13
	v_lshlrev_b64 v[27:28], 1, v[27:28]
	v_add_co_ci_u32_e64 v14, null, s3, v14, vcc_lo
	v_add_co_u32 v13, vcc_lo, v2, v27
	v_add_co_ci_u32_e64 v14, null, v14, v28, vcc_lo
	v_add_co_u32 v2, vcc_lo, v11, 2
	v_add_co_ci_u32_e64 v11, null, 0, v12, vcc_lo
	global_load_ushort v17, v[13:14], off
	v_mul_lo_u32 v13, s9, v2
	v_mul_lo_u32 v14, s8, v11
	v_mad_u64_u32 v[11:12], null, s8, v2, 0
	v_add3_u32 v12, v12, v14, v13
	v_add_co_u32 v24, vcc_lo, v3, v11
                                        ; implicit-def: $vgpr13_vgpr14
	v_add_co_ci_u32_e64 v27, null, v4, v12, vcc_lo
	v_or_b32_e32 v2, s29, v27
	v_ashrrev_i32_e32 v21, 31, v27
	v_cmpx_ne_u64_e32 0, v[1:2]
	s_xor_b32 s61, exec_lo, s0
	s_cbranch_execz .LBB43_17
; %bb.16:                               ;   in Loop: Header=BB43_3 Depth=1
	s_ashr_i32 s62, s29, 31
	v_add_co_u32 v14, vcc_lo, v24, v21
	s_add_u32 s64, s28, s62
	s_mov_b32 s63, s62
	s_addc_u32 s65, s29, s62
	v_add_co_ci_u32_e64 v18, null, v27, v21, vcc_lo
	s_xor_b64 s[64:65], s[64:65], s[62:63]
	v_cvt_f32_u32_e32 v2, s64
	v_cvt_f32_u32_e32 v13, s65
	s_sub_u32 s74, 0, s64
	s_subb_u32 s75, 0, s65
	v_xor_b32_e32 v18, v18, v21
	v_fmac_f32_e32 v2, 0x4f800000, v13
	v_rcp_f32_e32 v2, v2
	v_mul_f32_e32 v2, 0x5f7ffffc, v2
	v_mul_f32_e32 v13, 0x2f800000, v2
	v_trunc_f32_e32 v13, v13
	v_fmac_f32_e32 v2, 0xcf800000, v13
	v_cvt_u32_f32_e32 v13, v13
	v_cvt_u32_f32_e32 v2, v2
	v_readfirstlane_b32 s0, v13
	v_readfirstlane_b32 s63, v2
	s_mul_i32 s76, s74, s0
	v_xor_b32_e32 v2, v14, v21
	s_mul_hi_u32 s78, s74, s63
	s_mul_i32 s77, s75, s63
	s_add_i32 s76, s78, s76
	s_mul_i32 s79, s74, s63
	s_add_i32 s76, s76, s77
	s_mul_hi_u32 s78, s63, s79
	s_mul_i32 s81, s63, s76
	s_mul_hi_u32 s80, s0, s79
	s_mul_i32 s77, s0, s79
	s_mul_hi_u32 s79, s63, s76
	s_add_u32 s78, s78, s81
	s_addc_u32 s79, 0, s79
	s_mul_hi_u32 s82, s0, s76
	s_add_u32 s77, s78, s77
	s_mul_i32 s76, s0, s76
	s_addc_u32 s77, s79, s80
	s_addc_u32 s78, s82, 0
	s_add_u32 s76, s77, s76
	s_addc_u32 s77, 0, s78
	s_add_u32 s63, s63, s76
	s_cselect_b32 s76, -1, 0
	s_mul_hi_u32 s78, s74, s63
	s_cmp_lg_u32 s76, 0
	s_mul_i32 s76, s74, s63
	s_addc_u32 s0, s0, s77
	s_mul_i32 s75, s75, s63
	s_mul_i32 s74, s74, s0
	s_mul_hi_u32 s77, s63, s76
	s_add_i32 s74, s78, s74
	s_mul_hi_u32 s78, s0, s76
	s_add_i32 s74, s74, s75
	s_mul_i32 s75, s0, s76
	s_mul_i32 s80, s63, s74
	s_mul_hi_u32 s79, s63, s74
	s_add_u32 s77, s77, s80
	s_addc_u32 s79, 0, s79
	s_mul_hi_u32 s76, s0, s74
	s_add_u32 s75, s77, s75
	s_mul_i32 s74, s0, s74
	s_addc_u32 s75, s79, s78
	s_addc_u32 s76, s76, 0
	s_add_u32 s74, s75, s74
	s_addc_u32 s75, 0, s76
	s_add_u32 s63, s63, s74
	s_cselect_b32 s74, -1, 0
	v_mul_hi_u32 v32, v2, s63
	s_cmp_lg_u32 s74, 0
	v_mad_u64_u32 v[28:29], null, v18, s63, 0
	s_addc_u32 s0, s0, s75
	v_mad_u64_u32 v[13:14], null, v2, s0, 0
	v_mad_u64_u32 v[30:31], null, v18, s0, 0
	v_add_co_u32 v13, vcc_lo, v32, v13
	v_add_co_ci_u32_e64 v14, null, 0, v14, vcc_lo
	v_add_co_u32 v13, vcc_lo, v13, v28
	v_add_co_ci_u32_e32 v13, vcc_lo, v14, v29, vcc_lo
	v_add_co_ci_u32_e32 v14, vcc_lo, 0, v31, vcc_lo
	v_add_co_u32 v28, vcc_lo, v13, v30
	v_add_co_ci_u32_e64 v29, null, 0, v14, vcc_lo
	v_mul_lo_u32 v30, s65, v28
	v_mad_u64_u32 v[13:14], null, s64, v28, 0
	v_mul_lo_u32 v31, s64, v29
	v_sub_co_u32 v2, vcc_lo, v2, v13
	v_add3_u32 v14, v14, v31, v30
	v_sub_nc_u32_e32 v30, v18, v14
	v_sub_co_ci_u32_e64 v14, null, v18, v14, vcc_lo
	v_subrev_co_ci_u32_e64 v13, null, s65, v30, vcc_lo
	v_add_co_u32 v30, s0, v28, 2
	v_add_co_ci_u32_e64 v31, null, 0, v29, s0
	v_sub_co_u32 v32, s0, v2, s64
	v_subrev_co_ci_u32_e64 v13, null, 0, v13, s0
	v_cmp_le_u32_e32 vcc_lo, s64, v32
	v_cndmask_b32_e64 v18, 0, -1, vcc_lo
	v_cmp_le_u32_e32 vcc_lo, s65, v13
	v_cndmask_b32_e64 v32, 0, -1, vcc_lo
	;; [unrolled: 2-line block ×4, first 2 shown]
	v_cmp_eq_u32_e32 vcc_lo, s65, v13
	v_cndmask_b32_e32 v13, v32, v18, vcc_lo
	v_add_co_u32 v18, vcc_lo, v28, 1
	v_add_co_ci_u32_e64 v32, null, 0, v29, vcc_lo
	v_cmp_eq_u32_e32 vcc_lo, s65, v14
	v_xor_b32_e32 v14, s62, v21
	v_cndmask_b32_e32 v2, v33, v2, vcc_lo
	v_cmp_ne_u32_e32 vcc_lo, 0, v13
	v_cmp_ne_u32_e64 s0, 0, v2
	v_cndmask_b32_e32 v2, v18, v30, vcc_lo
	v_cndmask_b32_e32 v13, v32, v31, vcc_lo
	v_cndmask_b32_e64 v2, v28, v2, s0
	v_cndmask_b32_e64 v13, v29, v13, s0
	v_xor_b32_e32 v2, v2, v14
	v_xor_b32_e32 v18, v13, v14
	v_sub_co_u32 v13, vcc_lo, v2, v14
	v_sub_co_ci_u32_e64 v14, null, v18, v14, vcc_lo
                                        ; implicit-def: $vgpr18
.LBB43_17:                              ;   in Loop: Header=BB43_3 Depth=1
	s_andn2_saveexec_b32 s0, s61
	s_cbranch_execz .LBB43_19
; %bb.18:                               ;   in Loop: Header=BB43_3 Depth=1
	v_rcp_iflag_f32_e32 v2, v18
	s_sub_i32 s61, 0, s28
	v_mul_f32_e32 v2, 0x4f7ffffe, v2
	v_cvt_u32_f32_e32 v2, v2
	v_mul_lo_u32 v13, s61, v2
	v_mul_hi_u32 v13, v2, v13
	v_add_nc_u32_e32 v2, v2, v13
	v_mul_hi_u32 v2, v24, v2
	v_mul_lo_u32 v13, v2, s28
	v_add_nc_u32_e32 v14, 1, v2
	v_sub_nc_u32_e32 v13, v24, v13
	v_subrev_nc_u32_e32 v18, s28, v13
	v_cmp_le_u32_e32 vcc_lo, s28, v13
	v_cndmask_b32_e32 v13, v13, v18, vcc_lo
	v_cndmask_b32_e32 v2, v2, v14, vcc_lo
	v_cmp_le_u32_e32 vcc_lo, s28, v13
	v_add_nc_u32_e32 v14, 1, v2
	v_cndmask_b32_e32 v13, v2, v14, vcc_lo
	v_mov_b32_e32 v14, v1
.LBB43_19:                              ;   in Loop: Header=BB43_3 Depth=1
	s_or_b32 exec_lo, exec_lo, s0
	v_mul_lo_u32 v2, v14, s28
	v_mul_lo_u32 v18, v13, s29
	v_mad_u64_u32 v[28:29], null, v13, s28, 0
	v_mul_lo_u32 v30, v13, s13
	s_mov_b32 s0, exec_lo
	v_add3_u32 v2, v29, v18, v2
	v_mul_lo_u32 v18, v14, s12
	v_sub_co_u32 v14, vcc_lo, v11, v28
	v_sub_co_ci_u32_e64 v2, null, v12, v2, vcc_lo
	v_add_co_u32 v28, vcc_lo, v3, v14
	v_mad_u64_u32 v[13:14], null, v13, s12, 0
	v_add_co_ci_u32_e64 v2, null, v4, v2, vcc_lo
	v_mul_lo_u32 v31, v28, s15
	v_mad_u64_u32 v[28:29], null, v28, s14, 0
	v_mul_lo_u32 v2, v2, s14
	v_add3_u32 v14, v14, v30, v18
	v_lshlrev_b64 v[13:14], 1, v[13:14]
	v_add3_u32 v29, v29, v31, v2
	v_add_co_u32 v2, vcc_lo, s2, v13
	v_lshlrev_b64 v[28:29], 1, v[28:29]
	v_add_co_ci_u32_e64 v14, null, s3, v14, vcc_lo
	v_add_co_u32 v13, vcc_lo, v2, v28
	v_add_co_ci_u32_e64 v14, null, v14, v29, vcc_lo
	v_or_b32_e32 v2, s37, v25
	global_load_ushort v18, v[13:14], off
                                        ; implicit-def: $vgpr13_vgpr14
	v_cmpx_ne_u64_e32 0, v[1:2]
	s_xor_b32 s61, exec_lo, s0
	s_cbranch_execz .LBB43_21
; %bb.20:                               ;   in Loop: Header=BB43_3 Depth=1
	s_ashr_i32 s62, s37, 31
	v_add_co_u32 v14, vcc_lo, v22, v19
	s_add_u32 s64, s36, s62
	s_mov_b32 s63, s62
	s_addc_u32 s65, s37, s62
	v_add_co_ci_u32_e64 v22, null, v25, v19, vcc_lo
	s_xor_b64 s[64:65], s[64:65], s[62:63]
	v_cvt_f32_u32_e32 v2, s64
	v_cvt_f32_u32_e32 v13, s65
	s_sub_u32 s74, 0, s64
	s_subb_u32 s75, 0, s65
	v_xor_b32_e32 v22, v22, v19
	v_fmac_f32_e32 v2, 0x4f800000, v13
	v_rcp_f32_e32 v2, v2
	v_mul_f32_e32 v2, 0x5f7ffffc, v2
	v_mul_f32_e32 v13, 0x2f800000, v2
	v_trunc_f32_e32 v13, v13
	v_fmac_f32_e32 v2, 0xcf800000, v13
	v_cvt_u32_f32_e32 v13, v13
	v_cvt_u32_f32_e32 v2, v2
	v_readfirstlane_b32 s0, v13
	v_readfirstlane_b32 s63, v2
	s_mul_i32 s76, s74, s0
	v_xor_b32_e32 v2, v14, v19
	s_mul_hi_u32 s78, s74, s63
	s_mul_i32 s77, s75, s63
	s_add_i32 s76, s78, s76
	s_mul_i32 s79, s74, s63
	s_add_i32 s76, s76, s77
	s_mul_hi_u32 s78, s63, s79
	s_mul_i32 s81, s63, s76
	s_mul_hi_u32 s80, s0, s79
	s_mul_i32 s77, s0, s79
	s_mul_hi_u32 s79, s63, s76
	s_add_u32 s78, s78, s81
	s_addc_u32 s79, 0, s79
	s_mul_hi_u32 s82, s0, s76
	s_add_u32 s77, s78, s77
	s_mul_i32 s76, s0, s76
	s_addc_u32 s77, s79, s80
	s_addc_u32 s78, s82, 0
	s_add_u32 s76, s77, s76
	s_addc_u32 s77, 0, s78
	s_add_u32 s63, s63, s76
	s_cselect_b32 s76, -1, 0
	s_mul_hi_u32 s78, s74, s63
	s_cmp_lg_u32 s76, 0
	s_mul_i32 s76, s74, s63
	s_addc_u32 s0, s0, s77
	s_mul_i32 s75, s75, s63
	s_mul_i32 s74, s74, s0
	s_mul_hi_u32 s77, s63, s76
	s_add_i32 s74, s78, s74
	s_mul_hi_u32 s78, s0, s76
	s_add_i32 s74, s74, s75
	s_mul_i32 s75, s0, s76
	s_mul_i32 s80, s63, s74
	s_mul_hi_u32 s79, s63, s74
	s_add_u32 s77, s77, s80
	s_addc_u32 s79, 0, s79
	s_mul_hi_u32 s76, s0, s74
	s_add_u32 s75, s77, s75
	s_mul_i32 s74, s0, s74
	s_addc_u32 s75, s79, s78
	s_addc_u32 s76, s76, 0
	s_add_u32 s74, s75, s74
	s_addc_u32 s75, 0, s76
	s_add_u32 s63, s63, s74
	s_cselect_b32 s74, -1, 0
	v_mul_hi_u32 v25, v2, s63
	s_cmp_lg_u32 s74, 0
	v_mad_u64_u32 v[28:29], null, v22, s63, 0
	s_addc_u32 s0, s0, s75
	v_mad_u64_u32 v[13:14], null, v2, s0, 0
	v_mad_u64_u32 v[30:31], null, v22, s0, 0
	v_add_co_u32 v13, vcc_lo, v25, v13
	v_add_co_ci_u32_e64 v14, null, 0, v14, vcc_lo
	v_add_co_u32 v13, vcc_lo, v13, v28
	v_add_co_ci_u32_e32 v13, vcc_lo, v14, v29, vcc_lo
	v_add_co_ci_u32_e32 v14, vcc_lo, 0, v31, vcc_lo
	v_add_co_u32 v25, vcc_lo, v13, v30
	v_add_co_ci_u32_e64 v28, null, 0, v14, vcc_lo
	v_mul_lo_u32 v29, s65, v25
	v_mad_u64_u32 v[13:14], null, s64, v25, 0
	v_mul_lo_u32 v30, s64, v28
	v_sub_co_u32 v2, vcc_lo, v2, v13
	v_add3_u32 v14, v14, v30, v29
	v_sub_nc_u32_e32 v29, v22, v14
	v_sub_co_ci_u32_e64 v14, null, v22, v14, vcc_lo
	v_subrev_co_ci_u32_e64 v13, null, s65, v29, vcc_lo
	v_add_co_u32 v29, s0, v25, 2
	v_add_co_ci_u32_e64 v30, null, 0, v28, s0
	v_sub_co_u32 v31, s0, v2, s64
	v_subrev_co_ci_u32_e64 v13, null, 0, v13, s0
	v_cmp_le_u32_e32 vcc_lo, s64, v31
	v_cndmask_b32_e64 v22, 0, -1, vcc_lo
	v_cmp_le_u32_e32 vcc_lo, s65, v13
	v_cndmask_b32_e64 v31, 0, -1, vcc_lo
	;; [unrolled: 2-line block ×4, first 2 shown]
	v_cmp_eq_u32_e32 vcc_lo, s65, v13
	v_cndmask_b32_e32 v13, v31, v22, vcc_lo
	v_add_co_u32 v22, vcc_lo, v25, 1
	v_add_co_ci_u32_e64 v31, null, 0, v28, vcc_lo
	v_cmp_eq_u32_e32 vcc_lo, s65, v14
	v_xor_b32_e32 v14, s62, v19
	v_cndmask_b32_e32 v2, v32, v2, vcc_lo
	v_cmp_ne_u32_e32 vcc_lo, 0, v13
	v_cmp_ne_u32_e64 s0, 0, v2
	v_cndmask_b32_e32 v2, v22, v29, vcc_lo
	v_cndmask_b32_e32 v13, v31, v30, vcc_lo
                                        ; implicit-def: $vgpr22
	v_cndmask_b32_e64 v2, v25, v2, s0
	v_cndmask_b32_e64 v13, v28, v13, s0
	v_xor_b32_e32 v2, v2, v14
	v_xor_b32_e32 v19, v13, v14
	v_sub_co_u32 v13, vcc_lo, v2, v14
	v_sub_co_ci_u32_e64 v14, null, v19, v14, vcc_lo
.LBB43_21:                              ;   in Loop: Header=BB43_3 Depth=1
	s_or_saveexec_b32 s0, s61
	v_cvt_f32_u32_e32 v19, s36
	s_xor_b32 exec_lo, exec_lo, s0
	s_cbranch_execz .LBB43_23
; %bb.22:                               ;   in Loop: Header=BB43_3 Depth=1
	v_rcp_iflag_f32_e32 v2, v19
	s_sub_i32 s61, 0, s36
	v_mul_f32_e32 v2, 0x4f7ffffe, v2
	v_cvt_u32_f32_e32 v2, v2
	v_mul_lo_u32 v13, s61, v2
	v_mul_hi_u32 v13, v2, v13
	v_add_nc_u32_e32 v2, v2, v13
	v_mul_hi_u32 v2, v22, v2
	v_mul_lo_u32 v13, v2, s36
	v_add_nc_u32_e32 v14, 1, v2
	v_sub_nc_u32_e32 v13, v22, v13
	v_subrev_nc_u32_e32 v22, s36, v13
	v_cmp_le_u32_e32 vcc_lo, s36, v13
	v_cndmask_b32_e32 v13, v13, v22, vcc_lo
	v_cndmask_b32_e32 v2, v2, v14, vcc_lo
	v_cmp_le_u32_e32 vcc_lo, s36, v13
	v_add_nc_u32_e32 v14, 1, v2
	v_cndmask_b32_e32 v13, v2, v14, vcc_lo
	v_mov_b32_e32 v14, v1
.LBB43_23:                              ;   in Loop: Header=BB43_3 Depth=1
	s_or_b32 exec_lo, exec_lo, s0
	v_mul_lo_u32 v2, v14, s36
	v_mul_lo_u32 v22, v13, s37
	v_mad_u64_u32 v[28:29], null, v13, s36, 0
	v_mul_lo_u32 v25, v13, s17
	s_mov_b32 s0, exec_lo
	v_add3_u32 v2, v29, v22, v2
	v_sub_co_u32 v7, vcc_lo, v7, v28
	v_mul_lo_u32 v22, v14, s16
	v_sub_co_ci_u32_e64 v2, null, v8, v2, vcc_lo
	v_add_co_u32 v14, vcc_lo, v3, v7
	v_mad_u64_u32 v[7:8], null, v13, s16, 0
	v_add_co_ci_u32_e64 v2, null, v4, v2, vcc_lo
	v_mul_lo_u32 v28, v14, s19
	v_mad_u64_u32 v[13:14], null, v14, s18, 0
	v_mul_lo_u32 v2, v2, s18
	v_add3_u32 v8, v8, v25, v22
	v_lshlrev_b64 v[7:8], 1, v[7:8]
	v_add3_u32 v14, v14, v28, v2
	v_add_co_u32 v2, vcc_lo, s34, v7
	v_lshlrev_b64 v[13:14], 1, v[13:14]
	v_add_co_ci_u32_e64 v8, null, s35, v8, vcc_lo
	v_add_co_u32 v7, vcc_lo, v2, v13
	v_add_co_ci_u32_e64 v8, null, v8, v14, vcc_lo
	v_or_b32_e32 v2, s37, v26
	global_load_ushort v14, v[7:8], off
                                        ; implicit-def: $vgpr7_vgpr8
	v_cmpx_ne_u64_e32 0, v[1:2]
	s_xor_b32 s61, exec_lo, s0
	s_cbranch_execz .LBB43_25
; %bb.24:                               ;   in Loop: Header=BB43_3 Depth=1
	s_ashr_i32 s62, s37, 31
	v_add_co_u32 v8, vcc_lo, v23, v20
	s_add_u32 s64, s36, s62
	s_mov_b32 s63, s62
	s_addc_u32 s65, s37, s62
	v_add_co_ci_u32_e64 v13, null, v26, v20, vcc_lo
	s_xor_b64 s[64:65], s[64:65], s[62:63]
	v_cvt_f32_u32_e32 v2, s64
	v_cvt_f32_u32_e32 v7, s65
	s_sub_u32 s74, 0, s64
	s_subb_u32 s75, 0, s65
	v_xor_b32_e32 v13, v13, v20
	v_fmac_f32_e32 v2, 0x4f800000, v7
	v_rcp_f32_e32 v2, v2
	v_mul_f32_e32 v2, 0x5f7ffffc, v2
	v_mul_f32_e32 v7, 0x2f800000, v2
	v_trunc_f32_e32 v7, v7
	v_fmac_f32_e32 v2, 0xcf800000, v7
	v_cvt_u32_f32_e32 v7, v7
	v_cvt_u32_f32_e32 v2, v2
	v_readfirstlane_b32 s0, v7
	v_readfirstlane_b32 s63, v2
	s_mul_i32 s76, s74, s0
	v_xor_b32_e32 v2, v8, v20
	s_mul_hi_u32 s78, s74, s63
	s_mul_i32 s77, s75, s63
	s_add_i32 s76, s78, s76
	s_mul_i32 s79, s74, s63
	s_add_i32 s76, s76, s77
	s_mul_hi_u32 s78, s63, s79
	s_mul_i32 s81, s63, s76
	s_mul_hi_u32 s80, s0, s79
	s_mul_i32 s77, s0, s79
	s_mul_hi_u32 s79, s63, s76
	s_add_u32 s78, s78, s81
	s_addc_u32 s79, 0, s79
	s_mul_hi_u32 s82, s0, s76
	s_add_u32 s77, s78, s77
	s_mul_i32 s76, s0, s76
	s_addc_u32 s77, s79, s80
	s_addc_u32 s78, s82, 0
	s_add_u32 s76, s77, s76
	s_addc_u32 s77, 0, s78
	s_add_u32 s63, s63, s76
	s_cselect_b32 s76, -1, 0
	s_mul_hi_u32 s78, s74, s63
	s_cmp_lg_u32 s76, 0
	s_mul_i32 s76, s74, s63
	s_addc_u32 s0, s0, s77
	s_mul_i32 s75, s75, s63
	s_mul_i32 s74, s74, s0
	s_mul_hi_u32 s77, s63, s76
	s_add_i32 s74, s78, s74
	s_mul_hi_u32 s78, s0, s76
	s_add_i32 s74, s74, s75
	s_mul_i32 s75, s0, s76
	s_mul_i32 s80, s63, s74
	s_mul_hi_u32 s79, s63, s74
	s_add_u32 s77, s77, s80
	s_addc_u32 s79, 0, s79
	s_mul_hi_u32 s76, s0, s74
	s_add_u32 s75, s77, s75
	s_mul_i32 s74, s0, s74
	s_addc_u32 s75, s79, s78
	s_addc_u32 s76, s76, 0
	s_add_u32 s74, s75, s74
	s_addc_u32 s75, 0, s76
	s_add_u32 s63, s63, s74
	s_cselect_b32 s74, -1, 0
	v_mul_hi_u32 v28, v2, s63
	s_cmp_lg_u32 s74, 0
	v_mad_u64_u32 v[22:23], null, v13, s63, 0
	s_addc_u32 s0, s0, s75
	v_mad_u64_u32 v[7:8], null, v2, s0, 0
	v_mad_u64_u32 v[25:26], null, v13, s0, 0
	v_add_co_u32 v7, vcc_lo, v28, v7
	v_add_co_ci_u32_e64 v8, null, 0, v8, vcc_lo
	v_add_co_u32 v7, vcc_lo, v7, v22
	v_add_co_ci_u32_e32 v7, vcc_lo, v8, v23, vcc_lo
	v_add_co_ci_u32_e32 v8, vcc_lo, 0, v26, vcc_lo
	v_add_co_u32 v22, vcc_lo, v7, v25
	v_add_co_ci_u32_e64 v23, null, 0, v8, vcc_lo
	v_mul_lo_u32 v25, s65, v22
	v_mad_u64_u32 v[7:8], null, s64, v22, 0
	v_mul_lo_u32 v26, s64, v23
	v_sub_co_u32 v2, vcc_lo, v2, v7
	v_add3_u32 v8, v8, v26, v25
	v_sub_nc_u32_e32 v25, v13, v8
	v_sub_co_ci_u32_e64 v8, null, v13, v8, vcc_lo
	v_subrev_co_ci_u32_e64 v7, null, s65, v25, vcc_lo
	v_add_co_u32 v25, s0, v22, 2
	v_add_co_ci_u32_e64 v26, null, 0, v23, s0
	v_sub_co_u32 v28, s0, v2, s64
	v_subrev_co_ci_u32_e64 v7, null, 0, v7, s0
	v_cmp_le_u32_e32 vcc_lo, s64, v28
	v_cndmask_b32_e64 v13, 0, -1, vcc_lo
	v_cmp_le_u32_e32 vcc_lo, s65, v7
	v_cndmask_b32_e64 v28, 0, -1, vcc_lo
	;; [unrolled: 2-line block ×4, first 2 shown]
	v_cmp_eq_u32_e32 vcc_lo, s65, v7
	v_cndmask_b32_e32 v7, v28, v13, vcc_lo
	v_add_co_u32 v13, vcc_lo, v22, 1
	v_add_co_ci_u32_e64 v28, null, 0, v23, vcc_lo
	v_cmp_eq_u32_e32 vcc_lo, s65, v8
	v_xor_b32_e32 v8, s62, v20
	v_cndmask_b32_e32 v2, v29, v2, vcc_lo
	v_cmp_ne_u32_e32 vcc_lo, 0, v7
	v_cmp_ne_u32_e64 s0, 0, v2
	v_cndmask_b32_e32 v2, v13, v25, vcc_lo
	v_cndmask_b32_e32 v7, v28, v26, vcc_lo
	v_cndmask_b32_e64 v2, v22, v2, s0
	v_cndmask_b32_e64 v7, v23, v7, s0
                                        ; implicit-def: $vgpr23
	v_xor_b32_e32 v2, v2, v8
	v_xor_b32_e32 v13, v7, v8
	v_sub_co_u32 v7, vcc_lo, v2, v8
	v_sub_co_ci_u32_e64 v8, null, v13, v8, vcc_lo
.LBB43_25:                              ;   in Loop: Header=BB43_3 Depth=1
	s_andn2_saveexec_b32 s0, s61
	s_cbranch_execz .LBB43_27
; %bb.26:                               ;   in Loop: Header=BB43_3 Depth=1
	v_rcp_iflag_f32_e32 v2, v19
	s_sub_i32 s61, 0, s36
	v_mul_f32_e32 v2, 0x4f7ffffe, v2
	v_cvt_u32_f32_e32 v2, v2
	v_mul_lo_u32 v7, s61, v2
	v_mul_hi_u32 v7, v2, v7
	v_add_nc_u32_e32 v2, v2, v7
	v_mul_hi_u32 v2, v23, v2
	v_mul_lo_u32 v7, v2, s36
	v_add_nc_u32_e32 v8, 1, v2
	v_sub_nc_u32_e32 v7, v23, v7
	v_subrev_nc_u32_e32 v13, s36, v7
	v_cmp_le_u32_e32 vcc_lo, s36, v7
	v_cndmask_b32_e32 v7, v7, v13, vcc_lo
	v_cndmask_b32_e32 v2, v2, v8, vcc_lo
	v_cmp_le_u32_e32 vcc_lo, s36, v7
	v_add_nc_u32_e32 v8, 1, v2
	v_cndmask_b32_e32 v7, v2, v8, vcc_lo
	v_mov_b32_e32 v8, v1
.LBB43_27:                              ;   in Loop: Header=BB43_3 Depth=1
	s_or_b32 exec_lo, exec_lo, s0
	v_mul_lo_u32 v2, v8, s36
	v_mul_lo_u32 v13, v7, s37
	v_mad_u64_u32 v[22:23], null, v7, s36, 0
	v_mul_lo_u32 v20, v7, s17
	s_mov_b32 s0, exec_lo
	v_add3_u32 v2, v23, v13, v2
	v_mul_lo_u32 v13, v8, s16
	v_sub_co_u32 v8, vcc_lo, v9, v22
	v_sub_co_ci_u32_e64 v2, null, v10, v2, vcc_lo
	v_add_co_u32 v9, vcc_lo, v3, v8
	v_mad_u64_u32 v[7:8], null, v7, s16, 0
	v_add_co_ci_u32_e64 v2, null, v4, v2, vcc_lo
	v_mul_lo_u32 v22, v9, s19
	v_mad_u64_u32 v[9:10], null, v9, s18, 0
	v_mul_lo_u32 v2, v2, s18
	v_add3_u32 v8, v8, v20, v13
	v_lshlrev_b64 v[7:8], 1, v[7:8]
	v_add3_u32 v10, v10, v22, v2
	v_add_co_u32 v2, vcc_lo, s34, v7
	v_lshlrev_b64 v[9:10], 1, v[9:10]
	v_add_co_ci_u32_e64 v8, null, s35, v8, vcc_lo
	v_add_co_u32 v7, vcc_lo, v2, v9
	v_add_co_ci_u32_e64 v8, null, v8, v10, vcc_lo
	v_or_b32_e32 v2, s37, v27
	global_load_ushort v9, v[7:8], off
                                        ; implicit-def: $vgpr7_vgpr8
	v_cmpx_ne_u64_e32 0, v[1:2]
	s_xor_b32 s61, exec_lo, s0
	s_cbranch_execz .LBB43_29
; %bb.28:                               ;   in Loop: Header=BB43_3 Depth=1
	s_ashr_i32 s62, s37, 31
	v_add_co_u32 v8, vcc_lo, v24, v21
	s_add_u32 s64, s36, s62
	s_mov_b32 s63, s62
	s_addc_u32 s65, s37, s62
	v_add_co_ci_u32_e64 v10, null, v27, v21, vcc_lo
	s_xor_b64 s[64:65], s[64:65], s[62:63]
	v_cvt_f32_u32_e32 v2, s64
	v_cvt_f32_u32_e32 v7, s65
	s_sub_u32 s74, 0, s64
	s_subb_u32 s75, 0, s65
	v_xor_b32_e32 v10, v10, v21
	v_fmac_f32_e32 v2, 0x4f800000, v7
	v_rcp_f32_e32 v2, v2
	v_mul_f32_e32 v2, 0x5f7ffffc, v2
	v_mul_f32_e32 v7, 0x2f800000, v2
	v_trunc_f32_e32 v7, v7
	v_fmac_f32_e32 v2, 0xcf800000, v7
	v_cvt_u32_f32_e32 v7, v7
	v_cvt_u32_f32_e32 v2, v2
	v_readfirstlane_b32 s0, v7
	v_readfirstlane_b32 s63, v2
	s_mul_i32 s76, s74, s0
	v_xor_b32_e32 v2, v8, v21
	s_mul_hi_u32 s78, s74, s63
	s_mul_i32 s77, s75, s63
	s_add_i32 s76, s78, s76
	s_mul_i32 s79, s74, s63
	s_add_i32 s76, s76, s77
	s_mul_hi_u32 s78, s63, s79
	s_mul_i32 s81, s63, s76
	s_mul_hi_u32 s80, s0, s79
	s_mul_i32 s77, s0, s79
	s_mul_hi_u32 s79, s63, s76
	s_add_u32 s78, s78, s81
	s_addc_u32 s79, 0, s79
	s_mul_hi_u32 s82, s0, s76
	s_add_u32 s77, s78, s77
	s_mul_i32 s76, s0, s76
	s_addc_u32 s77, s79, s80
	s_addc_u32 s78, s82, 0
	s_add_u32 s76, s77, s76
	s_addc_u32 s77, 0, s78
	s_add_u32 s63, s63, s76
	s_cselect_b32 s76, -1, 0
	s_mul_hi_u32 s78, s74, s63
	s_cmp_lg_u32 s76, 0
	s_mul_i32 s76, s74, s63
	s_addc_u32 s0, s0, s77
	s_mul_i32 s75, s75, s63
	s_mul_i32 s74, s74, s0
	s_mul_hi_u32 s77, s63, s76
	s_add_i32 s74, s78, s74
	s_mul_hi_u32 s78, s0, s76
	s_add_i32 s74, s74, s75
	s_mul_i32 s75, s0, s76
	s_mul_i32 s80, s63, s74
	s_mul_hi_u32 s79, s63, s74
	s_add_u32 s77, s77, s80
	s_addc_u32 s79, 0, s79
	s_mul_hi_u32 s76, s0, s74
	s_add_u32 s75, s77, s75
	s_mul_i32 s74, s0, s74
	s_addc_u32 s75, s79, s78
	s_addc_u32 s76, s76, 0
	s_add_u32 s74, s75, s74
	s_addc_u32 s75, 0, s76
	s_add_u32 s63, s63, s74
	s_cselect_b32 s74, -1, 0
	v_mul_hi_u32 v13, v2, s63
	s_cmp_lg_u32 s74, 0
	v_mad_u64_u32 v[19:20], null, v10, s63, 0
	s_addc_u32 s0, s0, s75
	v_mad_u64_u32 v[7:8], null, v2, s0, 0
	v_mad_u64_u32 v[22:23], null, v10, s0, 0
	v_add_co_u32 v7, vcc_lo, v13, v7
	v_add_co_ci_u32_e64 v8, null, 0, v8, vcc_lo
	v_add_co_u32 v7, vcc_lo, v7, v19
	v_add_co_ci_u32_e32 v7, vcc_lo, v8, v20, vcc_lo
	v_add_co_ci_u32_e32 v8, vcc_lo, 0, v23, vcc_lo
	v_add_co_u32 v13, vcc_lo, v7, v22
	v_add_co_ci_u32_e64 v19, null, 0, v8, vcc_lo
	v_mul_lo_u32 v20, s65, v13
	v_mad_u64_u32 v[7:8], null, s64, v13, 0
	v_mul_lo_u32 v22, s64, v19
	v_sub_co_u32 v2, vcc_lo, v2, v7
	v_add3_u32 v8, v8, v22, v20
	v_sub_nc_u32_e32 v20, v10, v8
	v_sub_co_ci_u32_e64 v8, null, v10, v8, vcc_lo
	v_subrev_co_ci_u32_e64 v7, null, s65, v20, vcc_lo
	v_add_co_u32 v20, s0, v13, 2
	v_add_co_ci_u32_e64 v22, null, 0, v19, s0
	v_sub_co_u32 v23, s0, v2, s64
	v_subrev_co_ci_u32_e64 v7, null, 0, v7, s0
	v_cmp_le_u32_e32 vcc_lo, s64, v23
	v_cndmask_b32_e64 v10, 0, -1, vcc_lo
	v_cmp_le_u32_e32 vcc_lo, s65, v7
	v_cndmask_b32_e64 v23, 0, -1, vcc_lo
	v_cmp_le_u32_e32 vcc_lo, s64, v2
	v_cndmask_b32_e64 v2, 0, -1, vcc_lo
	v_cmp_le_u32_e32 vcc_lo, s65, v8
	v_cndmask_b32_e64 v24, 0, -1, vcc_lo
	v_cmp_eq_u32_e32 vcc_lo, s65, v7
	v_cndmask_b32_e32 v7, v23, v10, vcc_lo
	v_add_co_u32 v10, vcc_lo, v13, 1
	v_add_co_ci_u32_e64 v23, null, 0, v19, vcc_lo
	v_cmp_eq_u32_e32 vcc_lo, s65, v8
	v_xor_b32_e32 v8, s62, v21
	v_cndmask_b32_e32 v2, v24, v2, vcc_lo
	v_cmp_ne_u32_e32 vcc_lo, 0, v7
                                        ; implicit-def: $vgpr24
	v_cmp_ne_u32_e64 s0, 0, v2
	v_cndmask_b32_e32 v2, v10, v20, vcc_lo
	v_cndmask_b32_e32 v7, v23, v22, vcc_lo
	v_cndmask_b32_e64 v2, v13, v2, s0
	v_cndmask_b32_e64 v7, v19, v7, s0
                                        ; implicit-def: $vgpr19
	v_xor_b32_e32 v2, v2, v8
	v_xor_b32_e32 v10, v7, v8
	v_sub_co_u32 v7, vcc_lo, v2, v8
	v_sub_co_ci_u32_e64 v8, null, v10, v8, vcc_lo
.LBB43_29:                              ;   in Loop: Header=BB43_3 Depth=1
	s_andn2_saveexec_b32 s0, s61
	s_cbranch_execz .LBB43_31
; %bb.30:                               ;   in Loop: Header=BB43_3 Depth=1
	v_rcp_iflag_f32_e32 v2, v19
	s_sub_i32 s61, 0, s36
	v_mul_f32_e32 v2, 0x4f7ffffe, v2
	v_cvt_u32_f32_e32 v2, v2
	v_mul_lo_u32 v7, s61, v2
	v_mul_hi_u32 v7, v2, v7
	v_add_nc_u32_e32 v2, v2, v7
	v_mul_hi_u32 v2, v24, v2
	v_mul_lo_u32 v7, v2, s36
	v_add_nc_u32_e32 v8, 1, v2
	v_sub_nc_u32_e32 v7, v24, v7
	v_subrev_nc_u32_e32 v10, s36, v7
	v_cmp_le_u32_e32 vcc_lo, s36, v7
	v_cndmask_b32_e32 v7, v7, v10, vcc_lo
	v_cndmask_b32_e32 v2, v2, v8, vcc_lo
	v_cmp_le_u32_e32 vcc_lo, s36, v7
	v_add_nc_u32_e32 v8, 1, v2
	v_cndmask_b32_e32 v7, v2, v8, vcc_lo
	v_mov_b32_e32 v8, v1
.LBB43_31:                              ;   in Loop: Header=BB43_3 Depth=1
	s_or_b32 exec_lo, exec_lo, s0
	v_mul_lo_u32 v2, v8, s36
	v_mul_lo_u32 v10, v7, s37
	v_mad_u64_u32 v[19:20], null, v7, s36, 0
	v_mul_lo_u32 v13, v8, s16
	s_mov_b32 s0, exec_lo
	v_add3_u32 v2, v20, v10, v2
	v_sub_co_u32 v8, vcc_lo, v11, v19
	v_sub_co_ci_u32_e64 v2, null, v12, v2, vcc_lo
	v_add_co_u32 v10, vcc_lo, v3, v8
	v_mul_lo_u32 v12, v7, s17
	v_add_co_ci_u32_e64 v2, null, v4, v2, vcc_lo
	v_mad_u64_u32 v[7:8], null, v7, s16, 0
	v_mul_lo_u32 v19, v10, s19
	v_mad_u64_u32 v[10:11], null, v10, s18, 0
	v_mul_lo_u32 v2, v2, s18
	v_add3_u32 v8, v8, v12, v13
	v_add3_u32 v11, v11, v19, v2
	v_lshlrev_b64 v[7:8], 1, v[7:8]
	v_lshlrev_b64 v[10:11], 1, v[10:11]
	v_add_co_u32 v2, vcc_lo, s34, v7
	v_add_co_ci_u32_e64 v8, null, s35, v8, vcc_lo
	v_add_co_u32 v7, vcc_lo, v2, v10
	v_add_co_ci_u32_e64 v8, null, v8, v11, vcc_lo
	v_or_b32_e32 v2, s47, v4
	global_load_ushort v10, v[7:8], off
                                        ; implicit-def: $vgpr7_vgpr8
	v_cmpx_ne_u64_e32 0, v[1:2]
	s_xor_b32 s61, exec_lo, s0
	s_cbranch_execz .LBB43_33
; %bb.32:                               ;   in Loop: Header=BB43_3 Depth=1
	s_ashr_i32 s62, s47, 31
	v_add_co_u32 v8, vcc_lo, v3, v15
	s_add_u32 s64, s46, s62
	s_mov_b32 s63, s62
	s_addc_u32 s65, s47, s62
	v_add_co_ci_u32_e64 v11, null, v4, v15, vcc_lo
	s_xor_b64 s[64:65], s[64:65], s[62:63]
	v_cvt_f32_u32_e32 v2, s64
	v_cvt_f32_u32_e32 v7, s65
	s_sub_u32 s74, 0, s64
	s_subb_u32 s75, 0, s65
	v_xor_b32_e32 v13, v11, v15
	v_fmac_f32_e32 v2, 0x4f800000, v7
	v_rcp_f32_e32 v2, v2
	v_mul_f32_e32 v2, 0x5f7ffffc, v2
	v_mul_f32_e32 v7, 0x2f800000, v2
	v_trunc_f32_e32 v7, v7
	v_fmac_f32_e32 v2, 0xcf800000, v7
	v_cvt_u32_f32_e32 v7, v7
	v_cvt_u32_f32_e32 v2, v2
	v_readfirstlane_b32 s0, v7
	v_readfirstlane_b32 s63, v2
	s_mul_i32 s76, s74, s0
	v_xor_b32_e32 v2, v8, v15
	s_mul_hi_u32 s78, s74, s63
	s_mul_i32 s77, s75, s63
	s_add_i32 s76, s78, s76
	s_mul_i32 s79, s74, s63
	s_add_i32 s76, s76, s77
	s_mul_hi_u32 s78, s63, s79
	s_mul_i32 s81, s63, s76
	s_mul_hi_u32 s80, s0, s79
	s_mul_i32 s77, s0, s79
	s_mul_hi_u32 s79, s63, s76
	s_add_u32 s78, s78, s81
	s_addc_u32 s79, 0, s79
	s_mul_hi_u32 s82, s0, s76
	s_add_u32 s77, s78, s77
	s_mul_i32 s76, s0, s76
	s_addc_u32 s77, s79, s80
	s_addc_u32 s78, s82, 0
	s_add_u32 s76, s77, s76
	s_addc_u32 s77, 0, s78
	s_add_u32 s63, s63, s76
	s_cselect_b32 s76, -1, 0
	s_mul_hi_u32 s78, s74, s63
	s_cmp_lg_u32 s76, 0
	s_mul_i32 s76, s74, s63
	s_addc_u32 s0, s0, s77
	s_mul_i32 s75, s75, s63
	s_mul_i32 s74, s74, s0
	s_mul_hi_u32 s77, s63, s76
	s_add_i32 s74, s78, s74
	s_mul_hi_u32 s78, s0, s76
	s_add_i32 s74, s74, s75
	s_mul_i32 s75, s0, s76
	s_mul_i32 s80, s63, s74
	s_mul_hi_u32 s79, s63, s74
	s_add_u32 s77, s77, s80
	s_addc_u32 s79, 0, s79
	s_mul_hi_u32 s76, s0, s74
	s_add_u32 s75, s77, s75
	s_mul_i32 s74, s0, s74
	s_addc_u32 s75, s79, s78
	s_addc_u32 s76, s76, 0
	s_add_u32 s74, s75, s74
	s_addc_u32 s75, 0, s76
	s_add_u32 s63, s63, s74
	s_cselect_b32 s74, -1, 0
	v_mul_hi_u32 v21, v2, s63
	s_cmp_lg_u32 s74, 0
	v_mad_u64_u32 v[11:12], null, v13, s63, 0
	s_addc_u32 s0, s0, s75
	v_mad_u64_u32 v[7:8], null, v2, s0, 0
	v_mad_u64_u32 v[19:20], null, v13, s0, 0
	v_add_co_u32 v7, vcc_lo, v21, v7
	v_add_co_ci_u32_e64 v8, null, 0, v8, vcc_lo
	v_add_co_u32 v7, vcc_lo, v7, v11
	v_add_co_ci_u32_e32 v7, vcc_lo, v8, v12, vcc_lo
	v_add_co_ci_u32_e32 v8, vcc_lo, 0, v20, vcc_lo
	v_add_co_u32 v11, vcc_lo, v7, v19
	v_add_co_ci_u32_e64 v12, null, 0, v8, vcc_lo
	v_mul_lo_u32 v19, s65, v11
	v_mad_u64_u32 v[7:8], null, s64, v11, 0
	v_mul_lo_u32 v20, s64, v12
	v_sub_co_u32 v2, vcc_lo, v2, v7
	v_add3_u32 v8, v8, v20, v19
	v_sub_nc_u32_e32 v19, v13, v8
	v_sub_co_ci_u32_e64 v8, null, v13, v8, vcc_lo
	v_subrev_co_ci_u32_e64 v7, null, s65, v19, vcc_lo
	v_add_co_u32 v19, s0, v11, 2
	v_add_co_ci_u32_e64 v20, null, 0, v12, s0
	v_sub_co_u32 v21, s0, v2, s64
	v_subrev_co_ci_u32_e64 v7, null, 0, v7, s0
	v_cmp_le_u32_e32 vcc_lo, s64, v21
	v_cndmask_b32_e64 v13, 0, -1, vcc_lo
	v_cmp_le_u32_e32 vcc_lo, s65, v7
	v_cndmask_b32_e64 v21, 0, -1, vcc_lo
	;; [unrolled: 2-line block ×4, first 2 shown]
	v_cmp_eq_u32_e32 vcc_lo, s65, v7
	v_cndmask_b32_e32 v7, v21, v13, vcc_lo
	v_add_co_u32 v13, vcc_lo, v11, 1
	v_add_co_ci_u32_e64 v21, null, 0, v12, vcc_lo
	v_cmp_eq_u32_e32 vcc_lo, s65, v8
	v_xor_b32_e32 v8, s62, v15
	v_cndmask_b32_e32 v2, v22, v2, vcc_lo
	v_cmp_ne_u32_e32 vcc_lo, 0, v7
	v_cmp_ne_u32_e64 s0, 0, v2
	v_cndmask_b32_e32 v2, v13, v19, vcc_lo
	v_cndmask_b32_e32 v7, v21, v20, vcc_lo
	v_cndmask_b32_e64 v2, v11, v2, s0
	v_cndmask_b32_e64 v7, v12, v7, s0
	v_xor_b32_e32 v2, v2, v8
	v_xor_b32_e32 v11, v7, v8
	v_sub_co_u32 v7, vcc_lo, v2, v8
	v_sub_co_ci_u32_e64 v8, null, v11, v8, vcc_lo
.LBB43_33:                              ;   in Loop: Header=BB43_3 Depth=1
	s_andn2_saveexec_b32 s0, s61
	s_cbranch_execz .LBB43_35
; %bb.34:                               ;   in Loop: Header=BB43_3 Depth=1
	v_cvt_f32_u32_e32 v2, s46
	s_sub_i32 s61, 0, s46
	v_rcp_iflag_f32_e32 v2, v2
	v_mul_f32_e32 v2, 0x4f7ffffe, v2
	v_cvt_u32_f32_e32 v2, v2
	v_mul_lo_u32 v7, s61, v2
	v_mul_hi_u32 v7, v2, v7
	v_add_nc_u32_e32 v2, v2, v7
	v_mul_hi_u32 v2, v3, v2
	v_mul_lo_u32 v7, v2, s46
	v_add_nc_u32_e32 v8, 1, v2
	v_sub_nc_u32_e32 v7, v3, v7
	v_subrev_nc_u32_e32 v11, s46, v7
	v_cmp_le_u32_e32 vcc_lo, s46, v7
	v_cndmask_b32_e32 v7, v7, v11, vcc_lo
	v_cndmask_b32_e32 v2, v2, v8, vcc_lo
	v_cmp_le_u32_e32 vcc_lo, s46, v7
	v_add_nc_u32_e32 v8, 1, v2
	v_cndmask_b32_e32 v7, v2, v8, vcc_lo
	v_mov_b32_e32 v8, v1
.LBB43_35:                              ;   in Loop: Header=BB43_3 Depth=1
	s_or_b32 exec_lo, exec_lo, s0
	v_mad_u64_u32 v[11:12], null, s69, v7, v[3:4]
	v_mul_lo_u32 v2, s69, v8
	v_mul_lo_u32 v13, s70, v7
	v_mul_lo_u32 v19, v8, s20
	v_mul_lo_u32 v20, v7, s21
	v_mad_u64_u32 v[7:8], null, v7, s20, 0
	s_mov_b32 s0, exec_lo
	v_add3_u32 v2, v13, v12, v2
	v_mul_lo_u32 v13, v11, s23
	v_mad_u64_u32 v[11:12], null, v11, s22, 0
	v_add3_u32 v8, v8, v20, v19
	v_mul_lo_u32 v2, v2, s22
	v_lshlrev_b64 v[7:8], 1, v[7:8]
	v_add3_u32 v12, v12, v13, v2
	v_add_co_u32 v2, vcc_lo, s44, v7
	v_add_co_ci_u32_e64 v8, null, s45, v8, vcc_lo
	v_lshlrev_b64 v[11:12], 1, v[11:12]
	v_add_co_u32 v7, vcc_lo, v2, v11
	v_add_co_ci_u32_e64 v8, null, v8, v12, vcc_lo
	v_or_b32_e32 v2, s51, v4
	global_load_ushort v13, v[7:8], off
                                        ; implicit-def: $vgpr7_vgpr8
	v_cmpx_ne_u64_e32 0, v[1:2]
	s_xor_b32 s61, exec_lo, s0
	s_cbranch_execnz .LBB43_39
; %bb.36:                               ;   in Loop: Header=BB43_3 Depth=1
	s_andn2_saveexec_b32 s0, s61
	s_cbranch_execnz .LBB43_40
.LBB43_37:                              ;   in Loop: Header=BB43_3 Depth=1
	s_or_b32 exec_lo, exec_lo, s0
	s_andn2_b32 vcc_lo, exec_lo, s1
	s_cbranch_vccnz .LBB43_41
.LBB43_38:                              ;   in Loop: Header=BB43_3 Depth=1
	v_mad_u64_u32 v[11:12], null, s67, v5, v[3:4]
	v_mul_lo_u32 v2, s67, v6
	v_mul_lo_u32 v15, s68, v5
	v_sub_co_u32 v21, vcc_lo, 1, v5
	v_sub_co_ci_u32_e64 v22, null, 0, v6, vcc_lo
	v_mad_u64_u32 v[19:20], null, v11, s38, 0
	v_mul_lo_u32 v23, s9, v21
	v_add3_u32 v2, v15, v12, v2
	v_mul_lo_u32 v12, v11, s39
	v_mul_lo_u32 v15, s8, v22
	v_mad_u64_u32 v[21:22], null, s8, v21, v[3:4]
	v_mul_lo_u32 v24, v2, s38
	v_mul_lo_u32 v2, v2, s42
	v_add3_u32 v15, v23, v22, v15
	v_mul_lo_u32 v26, v21, s39
	v_add3_u32 v20, v20, v12, v24
	v_sub_co_u32 v12, vcc_lo, 2, v5
	v_sub_co_ci_u32_e64 v24, null, 0, v6, vcc_lo
	v_mul_lo_u32 v27, v15, s38
	v_lshlrev_b64 v[19:20], 1, v[19:20]
	v_mad_u64_u32 v[22:23], null, v21, s38, 0
	v_mul_lo_u32 v28, s8, v24
	v_mul_lo_u32 v29, s9, v12
	v_mad_u64_u32 v[24:25], null, s8, v12, v[3:4]
	v_add_co_u32 v19, vcc_lo, s30, v19
	v_add_co_ci_u32_e64 v20, null, s31, v20, vcc_lo
	v_add3_u32 v23, v23, v26, v27
	v_mul_lo_u32 v15, v15, s42
	v_add3_u32 v27, v29, v25, v28
	global_load_ushort v28, v[19:20], off
	v_mul_lo_u32 v26, v24, s39
	v_lshlrev_b64 v[19:20], 1, v[22:23]
	v_mad_u64_u32 v[22:23], null, v24, s38, 0
	v_mul_lo_u32 v25, v27, s38
	v_mul_lo_u32 v29, v11, s43
	v_mad_u64_u32 v[11:12], null, v11, s42, 0
	v_mul_lo_u32 v30, v21, s43
	v_add_co_u32 v19, vcc_lo, s30, v19
	v_add_co_ci_u32_e64 v20, null, s31, v20, vcc_lo
	v_add3_u32 v23, v23, v26, v25
	v_mad_u64_u32 v[25:26], null, v21, s42, 0
	v_add3_u32 v12, v12, v29, v2
	v_mul_lo_u32 v2, v27, s42
	v_lshlrev_b64 v[21:22], 1, v[22:23]
	v_mul_lo_u32 v27, v24, s43
	v_mad_u64_u32 v[23:24], null, v24, s42, 0
	v_add3_u32 v26, v26, v30, v15
	v_lshlrev_b64 v[11:12], 1, v[11:12]
	v_add_co_u32 v21, vcc_lo, s30, v21
	v_add_co_ci_u32_e64 v22, null, s31, v22, vcc_lo
	v_add3_u32 v24, v24, v27, v2
	v_lshlrev_b64 v[25:26], 1, v[25:26]
	v_add_co_u32 v11, vcc_lo, s40, v11
	v_add_co_ci_u32_e64 v12, null, s41, v12, vcc_lo
	v_lshlrev_b64 v[23:24], 1, v[23:24]
	v_add_co_u32 v25, vcc_lo, s40, v25
	v_add_co_ci_u32_e64 v26, null, s41, v26, vcc_lo
	v_add_co_u32 v23, vcc_lo, s40, v23
	v_add_co_ci_u32_e64 v24, null, s41, v24, vcc_lo
	global_load_ushort v2, v[11:12], off
	global_load_ushort v11, v[19:20], off
	;; [unrolled: 1-line block ×5, first 2 shown]
	s_waitcnt vmcnt(5)
	v_cvt_f32_f16_e32 v20, v28
	s_waitcnt vmcnt(4)
	v_cvt_f32_f16_e32 v19, v2
	;; [unrolled: 2-line block ×6, first 2 shown]
	s_branch .LBB43_42
.LBB43_39:                              ;   in Loop: Header=BB43_3 Depth=1
	s_ashr_i32 s62, s51, 31
	v_add_co_u32 v8, vcc_lo, v3, v15
	s_add_u32 s64, s50, s62
	s_mov_b32 s63, s62
	s_addc_u32 s65, s51, s62
	v_add_co_ci_u32_e64 v11, null, v4, v15, vcc_lo
	s_xor_b64 s[64:65], s[64:65], s[62:63]
	v_cvt_f32_u32_e32 v2, s64
	v_cvt_f32_u32_e32 v7, s65
	s_sub_u32 s74, 0, s64
	s_subb_u32 s75, 0, s65
	v_xor_b32_e32 v21, v11, v15
	v_fmac_f32_e32 v2, 0x4f800000, v7
	v_rcp_f32_e32 v2, v2
	v_mul_f32_e32 v2, 0x5f7ffffc, v2
	v_mul_f32_e32 v7, 0x2f800000, v2
	v_trunc_f32_e32 v7, v7
	v_fmac_f32_e32 v2, 0xcf800000, v7
	v_cvt_u32_f32_e32 v7, v7
	v_cvt_u32_f32_e32 v2, v2
	v_readfirstlane_b32 s0, v7
	v_readfirstlane_b32 s63, v2
	s_mul_i32 s76, s74, s0
	v_xor_b32_e32 v2, v8, v15
	s_mul_hi_u32 s78, s74, s63
	s_mul_i32 s77, s75, s63
	s_add_i32 s76, s78, s76
	s_mul_i32 s79, s74, s63
	s_add_i32 s76, s76, s77
	s_mul_hi_u32 s78, s63, s79
	s_mul_i32 s81, s63, s76
	s_mul_hi_u32 s80, s0, s79
	s_mul_i32 s77, s0, s79
	s_mul_hi_u32 s79, s63, s76
	s_add_u32 s78, s78, s81
	s_addc_u32 s79, 0, s79
	s_mul_hi_u32 s82, s0, s76
	s_add_u32 s77, s78, s77
	s_mul_i32 s76, s0, s76
	s_addc_u32 s77, s79, s80
	s_addc_u32 s78, s82, 0
	s_add_u32 s76, s77, s76
	s_addc_u32 s77, 0, s78
	s_add_u32 s63, s63, s76
	s_cselect_b32 s76, -1, 0
	s_mul_hi_u32 s78, s74, s63
	s_cmp_lg_u32 s76, 0
	s_mul_i32 s76, s74, s63
	s_addc_u32 s0, s0, s77
	s_mul_i32 s75, s75, s63
	s_mul_i32 s74, s74, s0
	s_mul_hi_u32 s77, s63, s76
	s_add_i32 s74, s78, s74
	s_mul_hi_u32 s78, s0, s76
	s_add_i32 s74, s74, s75
	s_mul_i32 s75, s0, s76
	s_mul_i32 s80, s63, s74
	s_mul_hi_u32 s79, s63, s74
	s_add_u32 s77, s77, s80
	s_addc_u32 s79, 0, s79
	s_mul_hi_u32 s76, s0, s74
	s_add_u32 s75, s77, s75
	s_mul_i32 s74, s0, s74
	s_addc_u32 s75, s79, s78
	s_addc_u32 s76, s76, 0
	s_add_u32 s74, s75, s74
	s_addc_u32 s75, 0, s76
	s_add_u32 s63, s63, s74
	s_cselect_b32 s74, -1, 0
	v_mul_hi_u32 v22, v2, s63
	s_cmp_lg_u32 s74, 0
	v_mad_u64_u32 v[11:12], null, v21, s63, 0
	s_addc_u32 s0, s0, s75
	v_mad_u64_u32 v[7:8], null, v2, s0, 0
	v_mad_u64_u32 v[19:20], null, v21, s0, 0
	v_add_co_u32 v7, vcc_lo, v22, v7
	v_add_co_ci_u32_e64 v8, null, 0, v8, vcc_lo
	v_add_co_u32 v7, vcc_lo, v7, v11
	v_add_co_ci_u32_e32 v7, vcc_lo, v8, v12, vcc_lo
	v_add_co_ci_u32_e32 v8, vcc_lo, 0, v20, vcc_lo
	v_add_co_u32 v11, vcc_lo, v7, v19
	v_add_co_ci_u32_e64 v12, null, 0, v8, vcc_lo
	v_mul_lo_u32 v19, s65, v11
	v_mad_u64_u32 v[7:8], null, s64, v11, 0
	v_mul_lo_u32 v20, s64, v12
	v_sub_co_u32 v2, vcc_lo, v2, v7
	v_add3_u32 v8, v8, v20, v19
	v_sub_nc_u32_e32 v19, v21, v8
	v_sub_co_ci_u32_e64 v8, null, v21, v8, vcc_lo
	v_subrev_co_ci_u32_e64 v7, null, s65, v19, vcc_lo
	v_add_co_u32 v19, s0, v11, 2
	v_add_co_ci_u32_e64 v20, null, 0, v12, s0
	v_sub_co_u32 v22, s0, v2, s64
	v_subrev_co_ci_u32_e64 v7, null, 0, v7, s0
	v_cmp_le_u32_e32 vcc_lo, s64, v22
	v_cndmask_b32_e64 v21, 0, -1, vcc_lo
	v_cmp_le_u32_e32 vcc_lo, s65, v7
	v_cndmask_b32_e64 v22, 0, -1, vcc_lo
	;; [unrolled: 2-line block ×4, first 2 shown]
	v_cmp_eq_u32_e32 vcc_lo, s65, v7
	v_cndmask_b32_e32 v7, v22, v21, vcc_lo
	v_add_co_u32 v21, vcc_lo, v11, 1
	v_add_co_ci_u32_e64 v22, null, 0, v12, vcc_lo
	v_cmp_eq_u32_e32 vcc_lo, s65, v8
	v_xor_b32_e32 v8, s62, v15
	v_cndmask_b32_e32 v2, v23, v2, vcc_lo
	v_cmp_ne_u32_e32 vcc_lo, 0, v7
	v_cmp_ne_u32_e64 s0, 0, v2
	v_cndmask_b32_e32 v2, v21, v19, vcc_lo
	v_cndmask_b32_e32 v7, v22, v20, vcc_lo
	v_cndmask_b32_e64 v2, v11, v2, s0
	v_cndmask_b32_e64 v7, v12, v7, s0
	v_xor_b32_e32 v2, v2, v8
	v_xor_b32_e32 v11, v7, v8
	v_sub_co_u32 v7, vcc_lo, v2, v8
	v_sub_co_ci_u32_e64 v8, null, v11, v8, vcc_lo
	s_andn2_saveexec_b32 s0, s61
	s_cbranch_execz .LBB43_37
.LBB43_40:                              ;   in Loop: Header=BB43_3 Depth=1
	v_cvt_f32_u32_e32 v2, s50
	s_sub_i32 s61, 0, s50
	v_rcp_iflag_f32_e32 v2, v2
	v_mul_f32_e32 v2, 0x4f7ffffe, v2
	v_cvt_u32_f32_e32 v2, v2
	v_mul_lo_u32 v7, s61, v2
	v_mul_hi_u32 v7, v2, v7
	v_add_nc_u32_e32 v2, v2, v7
	v_mul_hi_u32 v2, v3, v2
	v_mul_lo_u32 v7, v2, s50
	v_add_nc_u32_e32 v8, 1, v2
	v_sub_nc_u32_e32 v7, v3, v7
	v_subrev_nc_u32_e32 v11, s50, v7
	v_cmp_le_u32_e32 vcc_lo, s50, v7
	v_cndmask_b32_e32 v7, v7, v11, vcc_lo
	v_cndmask_b32_e32 v2, v2, v8, vcc_lo
	v_cmp_le_u32_e32 vcc_lo, s50, v7
	v_add_nc_u32_e32 v8, 1, v2
	v_cndmask_b32_e32 v7, v2, v8, vcc_lo
	v_mov_b32_e32 v8, v1
	s_or_b32 exec_lo, exec_lo, s0
	s_andn2_b32 vcc_lo, exec_lo, s1
	s_cbranch_vccz .LBB43_38
.LBB43_41:                              ;   in Loop: Header=BB43_3 Depth=1
	v_mov_b32_e32 v15, 0
	v_mov_b32_e32 v2, 0
	;; [unrolled: 1-line block ×6, first 2 shown]
.LBB43_42:                              ;   in Loop: Header=BB43_3 Depth=1
	s_waitcnt vmcnt(6)
	v_cvt_f32_f16_e32 v16, v16
	s_waitcnt vmcnt(3)
	v_cvt_f32_f16_e32 v14, v14
	v_cvt_f32_f16_e32 v18, v18
	s_waitcnt vmcnt(1)
	v_cvt_f32_f16_e32 v10, v10
	v_add_f32_e32 v14, v16, v14
	v_add_f32_e32 v11, v11, v18
	;; [unrolled: 1-line block ×4, first 2 shown]
	v_mul_f32_e32 v16, 0xbfb8aa3b, v14
	v_cmp_nlt_f32_e32 vcc_lo, 0x42ce8ed0, v14
	v_fma_f32 v19, 0xbfb8aa3b, v14, -v16
	v_rndne_f32_e32 v20, v16
	v_fmac_f32_e32 v19, 0xb2a5705f, v14
	v_sub_f32_e32 v16, v16, v20
	v_add_f32_e32 v16, v16, v19
	v_cvt_i32_f32_e32 v19, v20
	v_exp_f32_e32 v16, v16
	v_ldexp_f32 v16, v16, v19
	v_cndmask_b32_e32 v16, 0, v16, vcc_lo
	v_cmp_ngt_f32_e32 vcc_lo, 0xc2b17218, v14
	v_cndmask_b32_e32 v14, 0x7f800000, v16, vcc_lo
	v_add_f32_e32 v14, 1.0, v14
	v_div_scale_f32 v16, null, v14, v14, 1.0
	v_div_scale_f32 v21, vcc_lo, 1.0, v14, 1.0
	v_rcp_f32_e32 v19, v16
	v_fma_f32 v20, -v16, v19, 1.0
	v_fmac_f32_e32 v19, v20, v19
	v_mul_f32_e32 v20, v21, v19
	v_fma_f32 v22, -v16, v20, v21
	v_fmac_f32_e32 v20, v22, v19
	v_fma_f32 v16, -v16, v20, v21
	v_div_fmas_f32 v16, v16, v19, v20
	v_div_fixup_f32 v18, v16, v14, 1.0
	v_add_f32_e32 v14, v15, v10
                                        ; implicit-def: $vgpr15
	v_fmac_f32_e32 v11, v14, v18
	v_cmp_ngt_f32_e64 s0, 0x3f200000, |v11|
	s_and_saveexec_b32 s61, s0
	s_xor_b32 s0, exec_lo, s61
	s_cbranch_execz .LBB43_44
; %bb.43:                               ;   in Loop: Header=BB43_3 Depth=1
	v_add_f32_e64 v10, |v11|, |v11|
	v_mul_f32_e32 v15, 0x3fb8aa3b, v10
	v_cmp_ngt_f32_e32 vcc_lo, 0xc2ce8ed0, v10
	v_rndne_f32_e32 v16, v15
	v_fma_f32 v19, 0x3fb8aa3b, v10, -v15
	v_sub_f32_e32 v15, v15, v16
	v_fmac_f32_e32 v19, 0x32a5705f, v10
	v_cvt_i32_f32_e32 v16, v16
	v_add_f32_e32 v15, v15, v19
	v_exp_f32_e32 v15, v15
	v_ldexp_f32 v15, v15, v16
	v_cndmask_b32_e32 v15, 0, v15, vcc_lo
	v_cmp_nlt_f32_e32 vcc_lo, 0x42b17218, v10
	v_cndmask_b32_e32 v10, 0x7f800000, v15, vcc_lo
	v_add_f32_e32 v10, 1.0, v10
	v_rcp_f32_e32 v10, v10
	v_fma_f32 v15, v10, -2.0, 1.0
.LBB43_44:                              ;   in Loop: Header=BB43_3 Depth=1
	s_andn2_saveexec_b32 s0, s0
	s_cbranch_execz .LBB43_46
; %bb.45:                               ;   in Loop: Header=BB43_3 Depth=1
	v_mul_f32_e32 v10, v11, v11
	v_fmaak_f32 v15, s73, v10, 0x3ca908c9
	v_fmaak_f32 v15, v10, v15, 0xbd5c1c4e
	;; [unrolled: 1-line block ×4, first 2 shown]
	v_mul_f32_e64 v15, |v11|, v15
	v_fma_f32 v15, v10, v15, |v11|
.LBB43_46:                              ;   in Loop: Header=BB43_3 Depth=1
	s_or_b32 exec_lo, exec_lo, s0
	v_cvt_f32_f16_e32 v10, v17
	v_cvt_f32_f16_e32 v9, v9
	v_mad_u64_u32 v[19:20], null, s71, v7, v[3:4]
	v_mul_lo_u32 v26, s71, v8
	v_mul_lo_u32 v27, s72, v7
	v_add_f32_e32 v9, v10, v9
	v_mul_lo_u32 v8, v8, s24
	v_mul_lo_u32 v29, v7, s25
	v_mad_u64_u32 v[21:22], null, v7, s24, 0
	v_add_f32_e32 v9, v9, v12
	v_bfi_b32 v16, 0x7fffffff, v15, v11
	v_add3_u32 v7, v27, v20, v26
	v_mul_lo_u32 v20, v19, s27
	v_mul_lo_u32 v24, s59, v5
	v_add_f32_e32 v2, v2, v9
	v_add3_u32 v22, v22, v29, v8
	v_mul_lo_u32 v25, s58, v6
	s_waitcnt vmcnt(0)
	v_cvt_f32_f16_e32 v15, v13
	v_mul_f32_e32 v9, 0xbfb8aa3b, v2
	v_cmp_nlt_f32_e32 vcc_lo, 0x42ce8ed0, v2
	v_sub_f32_e32 v15, v15, v16
	v_fma_f32 v10, 0xbfb8aa3b, v2, -v9
	v_rndne_f32_e32 v12, v9
	v_fmac_f32_e32 v10, 0xb2a5705f, v2
	v_sub_f32_e32 v9, v9, v12
	v_add_f32_e32 v9, v9, v10
	v_cvt_i32_f32_e32 v10, v12
	v_exp_f32_e32 v9, v9
	v_ldexp_f32 v9, v9, v10
	v_cndmask_b32_e32 v9, 0, v9, vcc_lo
	v_cmp_ngt_f32_e32 vcc_lo, 0xc2b17218, v2
	v_cndmask_b32_e32 v2, 0x7f800000, v9, vcc_lo
	v_mad_u64_u32 v[9:10], null, s58, v5, 0
	v_add_f32_e32 v17, 1.0, v2
	v_add3_u32 v10, v10, v25, v24
	v_div_scale_f32 v2, null, v17, v17, 1.0
	v_div_scale_f32 v28, vcc_lo, 1.0, v17, 1.0
	v_rcp_f32_e32 v23, v2
	v_fma_f32 v12, -v2, v23, 1.0
	v_fmac_f32_e32 v23, v12, v23
	v_mad_u64_u32 v[11:12], null, v19, s26, 0
	v_mul_lo_u32 v19, v7, s26
	v_add_co_u32 v7, s0, v3, v9
	v_mul_f32_e32 v30, v28, v23
	v_add_co_ci_u32_e64 v8, null, v4, v10, s0
	s_mov_b32 s0, exec_lo
	v_fma_f32 v26, -v2, v30, v28
	v_add3_u32 v12, v12, v20, v19
	v_lshlrev_b64 v[19:20], 1, v[21:22]
	v_fmac_f32_e32 v30, v26, v23
	v_lshlrev_b64 v[11:12], 1, v[11:12]
	v_fma_f32 v21, -v2, v30, v28
	v_or_b32_e32 v2, s55, v8
	v_div_fmas_f32 v21, v21, v23, v30
	v_add_co_u32 v19, vcc_lo, s48, v19
	v_add_co_ci_u32_e64 v20, null, s49, v20, vcc_lo
	v_div_fixup_f32 v17, v21, v17, 1.0
	v_add_co_u32 v11, vcc_lo, v19, v11
	v_add_co_ci_u32_e64 v12, null, v20, v12, vcc_lo
	v_fma_mixlo_f16 v15, v17, v15, v16
	global_store_short v[11:12], v15, off
                                        ; implicit-def: $vgpr11_vgpr12
	v_cmpx_ne_u64_e32 0, v[1:2]
	s_xor_b32 s61, exec_lo, s0
	s_cbranch_execz .LBB43_48
; %bb.47:                               ;   in Loop: Header=BB43_3 Depth=1
	s_ashr_i32 s62, s55, 31
	v_ashrrev_i32_e32 v15, 31, v8
	s_add_u32 s64, s54, s62
	s_mov_b32 s63, s62
	s_addc_u32 s65, s55, s62
	s_xor_b64 s[64:65], s[64:65], s[62:63]
	v_add_co_u32 v7, vcc_lo, v7, v15
	v_cvt_f32_u32_e32 v2, s64
	v_cvt_f32_u32_e32 v11, s65
	s_sub_u32 s74, 0, s64
	s_subb_u32 s75, 0, s65
	v_add_co_ci_u32_e64 v8, null, v8, v15, vcc_lo
	v_fmac_f32_e32 v2, 0x4f800000, v11
	v_xor_b32_e32 v21, v8, v15
	v_rcp_f32_e32 v2, v2
	v_mul_f32_e32 v2, 0x5f7ffffc, v2
	v_mul_f32_e32 v11, 0x2f800000, v2
	v_trunc_f32_e32 v11, v11
	v_fmac_f32_e32 v2, 0xcf800000, v11
	v_cvt_u32_f32_e32 v11, v11
	v_cvt_u32_f32_e32 v2, v2
	v_readfirstlane_b32 s0, v11
	v_readfirstlane_b32 s63, v2
	s_mul_i32 s76, s74, s0
	v_xor_b32_e32 v2, v7, v15
	s_mul_hi_u32 s78, s74, s63
	s_mul_i32 s77, s75, s63
	s_add_i32 s76, s78, s76
	s_mul_i32 s79, s74, s63
	s_add_i32 s76, s76, s77
	s_mul_hi_u32 s78, s63, s79
	s_mul_i32 s81, s63, s76
	s_mul_hi_u32 s80, s0, s79
	s_mul_i32 s77, s0, s79
	s_mul_hi_u32 s79, s63, s76
	s_add_u32 s78, s78, s81
	s_addc_u32 s79, 0, s79
	s_mul_hi_u32 s82, s0, s76
	s_add_u32 s77, s78, s77
	s_mul_i32 s76, s0, s76
	s_addc_u32 s77, s79, s80
	s_addc_u32 s78, s82, 0
	s_add_u32 s76, s77, s76
	s_addc_u32 s77, 0, s78
	s_add_u32 s63, s63, s76
	s_cselect_b32 s76, -1, 0
	s_mul_hi_u32 s78, s74, s63
	s_cmp_lg_u32 s76, 0
	s_mul_i32 s76, s74, s63
	s_addc_u32 s0, s0, s77
	s_mul_i32 s75, s75, s63
	s_mul_i32 s74, s74, s0
	s_mul_hi_u32 s77, s63, s76
	s_add_i32 s74, s78, s74
	s_mul_hi_u32 s78, s0, s76
	s_add_i32 s74, s74, s75
	s_mul_i32 s75, s0, s76
	s_mul_i32 s80, s63, s74
	s_mul_hi_u32 s79, s63, s74
	s_add_u32 s77, s77, s80
	s_addc_u32 s79, 0, s79
	s_mul_hi_u32 s76, s0, s74
	s_add_u32 s75, s77, s75
	s_mul_i32 s74, s0, s74
	s_addc_u32 s75, s79, s78
	s_addc_u32 s76, s76, 0
	s_add_u32 s74, s75, s74
	s_addc_u32 s75, 0, s76
	s_add_u32 s63, s63, s74
	s_cselect_b32 s74, -1, 0
	v_mul_hi_u32 v22, v2, s63
	s_cmp_lg_u32 s74, 0
	v_mad_u64_u32 v[11:12], null, v21, s63, 0
	s_addc_u32 s0, s0, s75
	v_mad_u64_u32 v[7:8], null, v2, s0, 0
	v_mad_u64_u32 v[19:20], null, v21, s0, 0
	v_add_co_u32 v7, vcc_lo, v22, v7
	v_add_co_ci_u32_e64 v8, null, 0, v8, vcc_lo
	v_add_co_u32 v7, vcc_lo, v7, v11
	v_add_co_ci_u32_e32 v7, vcc_lo, v8, v12, vcc_lo
	v_add_co_ci_u32_e32 v8, vcc_lo, 0, v20, vcc_lo
	v_add_co_u32 v11, vcc_lo, v7, v19
	v_add_co_ci_u32_e64 v12, null, 0, v8, vcc_lo
	v_mul_lo_u32 v19, s65, v11
	v_mad_u64_u32 v[7:8], null, s64, v11, 0
	v_mul_lo_u32 v20, s64, v12
	v_sub_co_u32 v2, vcc_lo, v2, v7
	v_add3_u32 v8, v8, v20, v19
	v_sub_nc_u32_e32 v19, v21, v8
	v_sub_co_ci_u32_e64 v8, null, v21, v8, vcc_lo
	v_subrev_co_ci_u32_e64 v7, null, s65, v19, vcc_lo
	v_add_co_u32 v19, s0, v11, 2
	v_add_co_ci_u32_e64 v20, null, 0, v12, s0
	v_sub_co_u32 v22, s0, v2, s64
	v_subrev_co_ci_u32_e64 v7, null, 0, v7, s0
	v_cmp_le_u32_e32 vcc_lo, s64, v22
	v_cndmask_b32_e64 v21, 0, -1, vcc_lo
	v_cmp_le_u32_e32 vcc_lo, s65, v7
	v_cndmask_b32_e64 v22, 0, -1, vcc_lo
	;; [unrolled: 2-line block ×4, first 2 shown]
	v_cmp_eq_u32_e32 vcc_lo, s65, v7
	v_cndmask_b32_e32 v7, v22, v21, vcc_lo
	v_add_co_u32 v21, vcc_lo, v11, 1
	v_add_co_ci_u32_e64 v22, null, 0, v12, vcc_lo
	v_cmp_eq_u32_e32 vcc_lo, s65, v8
	v_xor_b32_e32 v8, s62, v15
	v_cndmask_b32_e32 v2, v23, v2, vcc_lo
	v_cmp_ne_u32_e32 vcc_lo, 0, v7
	v_cmp_ne_u32_e64 s0, 0, v2
	v_cndmask_b32_e32 v2, v21, v19, vcc_lo
	v_cndmask_b32_e32 v7, v22, v20, vcc_lo
	v_cndmask_b32_e64 v2, v11, v2, s0
	v_cndmask_b32_e64 v7, v12, v7, s0
	v_xor_b32_e32 v2, v2, v8
	v_xor_b32_e32 v7, v7, v8
	v_sub_co_u32 v11, vcc_lo, v2, v8
	v_sub_co_ci_u32_e64 v12, null, v7, v8, vcc_lo
                                        ; implicit-def: $vgpr7
.LBB43_48:                              ;   in Loop: Header=BB43_3 Depth=1
	s_or_saveexec_b32 s0, s61
	v_cvt_f32_u32_e32 v15, s54
	s_xor_b32 exec_lo, exec_lo, s0
	s_cbranch_execz .LBB43_50
; %bb.49:                               ;   in Loop: Header=BB43_3 Depth=1
	v_rcp_iflag_f32_e32 v2, v15
	s_sub_i32 s61, 0, s54
	v_mov_b32_e32 v12, v1
	v_mul_f32_e32 v2, 0x4f7ffffe, v2
	v_cvt_u32_f32_e32 v2, v2
	v_mul_lo_u32 v8, s61, v2
	v_mul_hi_u32 v8, v2, v8
	v_add_nc_u32_e32 v2, v2, v8
	v_mul_hi_u32 v2, v7, v2
	v_mul_lo_u32 v8, v2, s54
	v_sub_nc_u32_e32 v7, v7, v8
	v_add_nc_u32_e32 v8, 1, v2
	v_subrev_nc_u32_e32 v11, s54, v7
	v_cmp_le_u32_e32 vcc_lo, s54, v7
	v_cndmask_b32_e32 v7, v7, v11, vcc_lo
	v_cndmask_b32_e32 v2, v2, v8, vcc_lo
	v_cmp_le_u32_e32 vcc_lo, s54, v7
	v_add_nc_u32_e32 v8, 1, v2
	v_cndmask_b32_e32 v11, v2, v8, vcc_lo
.LBB43_50:                              ;   in Loop: Header=BB43_3 Depth=1
	s_or_b32 exec_lo, exec_lo, s0
	v_mul_lo_u32 v2, v12, s54
	v_mul_lo_u32 v7, v11, s55
	v_mad_u64_u32 v[19:20], null, v11, s54, 0
	v_mul_lo_u32 v12, v12, s4
	v_mul_lo_u32 v21, v11, s5
	s_mov_b32 s0, exec_lo
	v_add3_u32 v2, v20, v7, v2
	v_sub_co_u32 v9, vcc_lo, v9, v19
	v_lshlrev_b64 v[7:8], 2, v[5:6]
	v_alignbit_b32 v5, v6, v5, 30
	v_sub_co_ci_u32_e64 v2, null, v10, v2, vcc_lo
	v_add_co_u32 v19, vcc_lo, v3, v9
	v_mad_u64_u32 v[9:10], null, v11, s4, 0
	v_add_co_ci_u32_e64 v2, null, v4, v2, vcc_lo
	v_mul_lo_u32 v23, v19, s7
	v_mad_u64_u32 v[19:20], null, v19, s6, 0
	v_mul_lo_u32 v2, v2, s6
	v_mul_lo_u32 v11, s8, v5
	;; [unrolled: 1-line block ×3, first 2 shown]
	v_mad_u64_u32 v[5:6], null, s8, v7, s[8:9]
	v_add3_u32 v10, v10, v21, v12
	v_cvt_f16_f32_e32 v21, v18
	v_add3_u32 v20, v20, v23, v2
	v_lshlrev_b64 v[9:10], 1, v[9:10]
	v_add3_u32 v6, v22, v6, v11
	v_add_co_u32 v11, vcc_lo, v3, v5
	v_lshlrev_b64 v[18:19], 1, v[19:20]
	v_add_co_ci_u32_e64 v12, null, v4, v6, vcc_lo
	v_add_co_u32 v9, vcc_lo, s52, v9
	v_add_co_ci_u32_e64 v10, null, s53, v10, vcc_lo
	v_or_b32_e32 v2, s55, v12
	v_add_co_u32 v9, vcc_lo, v9, v18
	v_add_co_ci_u32_e64 v10, null, v10, v19, vcc_lo
	global_store_short v[9:10], v21, off
                                        ; implicit-def: $vgpr9_vgpr10
	v_cmpx_ne_u64_e32 0, v[1:2]
	s_xor_b32 s61, exec_lo, s0
	s_cbranch_execz .LBB43_52
; %bb.51:                               ;   in Loop: Header=BB43_3 Depth=1
	s_ashr_i32 s62, s55, 31
	v_ashrrev_i32_e32 v20, 31, v12
	s_add_u32 s64, s54, s62
	s_mov_b32 s63, s62
	s_addc_u32 s65, s55, s62
	s_xor_b64 s[64:65], s[64:65], s[62:63]
	v_add_co_u32 v10, vcc_lo, v11, v20
	v_cvt_f32_u32_e32 v2, s64
	v_cvt_f32_u32_e32 v9, s65
	s_sub_u32 s74, 0, s64
	s_subb_u32 s75, 0, s65
	v_add_co_ci_u32_e64 v11, null, v12, v20, vcc_lo
	v_fmac_f32_e32 v2, 0x4f800000, v9
	v_xor_b32_e32 v21, v11, v20
	v_rcp_f32_e32 v2, v2
	v_mul_f32_e32 v2, 0x5f7ffffc, v2
	v_mul_f32_e32 v9, 0x2f800000, v2
	v_trunc_f32_e32 v9, v9
	v_fmac_f32_e32 v2, 0xcf800000, v9
	v_cvt_u32_f32_e32 v9, v9
	v_cvt_u32_f32_e32 v2, v2
	v_readfirstlane_b32 s0, v9
	v_readfirstlane_b32 s63, v2
	s_mul_i32 s76, s74, s0
	v_xor_b32_e32 v2, v10, v20
	s_mul_hi_u32 s78, s74, s63
	s_mul_i32 s77, s75, s63
	s_add_i32 s76, s78, s76
	s_mul_i32 s79, s74, s63
	s_add_i32 s76, s76, s77
	s_mul_hi_u32 s78, s63, s79
	s_mul_i32 s81, s63, s76
	s_mul_hi_u32 s80, s0, s79
	s_mul_i32 s77, s0, s79
	s_mul_hi_u32 s79, s63, s76
	s_add_u32 s78, s78, s81
	s_addc_u32 s79, 0, s79
	s_mul_hi_u32 s82, s0, s76
	s_add_u32 s77, s78, s77
	s_mul_i32 s76, s0, s76
	s_addc_u32 s77, s79, s80
	s_addc_u32 s78, s82, 0
	s_add_u32 s76, s77, s76
	s_addc_u32 s77, 0, s78
	s_add_u32 s63, s63, s76
	s_cselect_b32 s76, -1, 0
	s_mul_hi_u32 s78, s74, s63
	s_cmp_lg_u32 s76, 0
	s_mul_i32 s76, s74, s63
	s_addc_u32 s0, s0, s77
	s_mul_i32 s75, s75, s63
	s_mul_i32 s74, s74, s0
	s_mul_hi_u32 s77, s63, s76
	s_add_i32 s74, s78, s74
	s_mul_hi_u32 s78, s0, s76
	s_add_i32 s74, s74, s75
	s_mul_i32 s75, s0, s76
	s_mul_i32 s80, s63, s74
	s_mul_hi_u32 s79, s63, s74
	s_add_u32 s77, s77, s80
	s_addc_u32 s79, 0, s79
	s_mul_hi_u32 s76, s0, s74
	s_add_u32 s75, s77, s75
	s_mul_i32 s74, s0, s74
	s_addc_u32 s75, s79, s78
	s_addc_u32 s76, s76, 0
	s_add_u32 s74, s75, s74
	s_addc_u32 s75, 0, s76
	s_add_u32 s63, s63, s74
	s_cselect_b32 s74, -1, 0
	v_mul_hi_u32 v22, v2, s63
	s_cmp_lg_u32 s74, 0
	v_mad_u64_u32 v[11:12], null, v21, s63, 0
	s_addc_u32 s0, s0, s75
	v_mad_u64_u32 v[9:10], null, v2, s0, 0
	v_mad_u64_u32 v[18:19], null, v21, s0, 0
	v_add_co_u32 v9, vcc_lo, v22, v9
	v_add_co_ci_u32_e64 v10, null, 0, v10, vcc_lo
	v_add_co_u32 v9, vcc_lo, v9, v11
	v_add_co_ci_u32_e32 v9, vcc_lo, v10, v12, vcc_lo
	v_add_co_ci_u32_e32 v10, vcc_lo, 0, v19, vcc_lo
	v_add_co_u32 v11, vcc_lo, v9, v18
	v_add_co_ci_u32_e64 v12, null, 0, v10, vcc_lo
	v_mul_lo_u32 v18, s65, v11
	v_mad_u64_u32 v[9:10], null, s64, v11, 0
	v_mul_lo_u32 v19, s64, v12
	v_sub_co_u32 v2, vcc_lo, v2, v9
	v_add3_u32 v10, v10, v19, v18
	v_sub_nc_u32_e32 v18, v21, v10
	v_sub_co_ci_u32_e64 v10, null, v21, v10, vcc_lo
	v_subrev_co_ci_u32_e64 v9, null, s65, v18, vcc_lo
	v_add_co_u32 v18, s0, v11, 2
	v_add_co_ci_u32_e64 v19, null, 0, v12, s0
	v_sub_co_u32 v22, s0, v2, s64
	v_subrev_co_ci_u32_e64 v9, null, 0, v9, s0
	v_cmp_le_u32_e32 vcc_lo, s64, v22
	v_cndmask_b32_e64 v21, 0, -1, vcc_lo
	v_cmp_le_u32_e32 vcc_lo, s65, v9
	v_cndmask_b32_e64 v22, 0, -1, vcc_lo
	;; [unrolled: 2-line block ×4, first 2 shown]
	v_cmp_eq_u32_e32 vcc_lo, s65, v9
	v_cndmask_b32_e32 v9, v22, v21, vcc_lo
	v_add_co_u32 v21, vcc_lo, v11, 1
	v_add_co_ci_u32_e64 v22, null, 0, v12, vcc_lo
	v_cmp_eq_u32_e32 vcc_lo, s65, v10
	v_xor_b32_e32 v10, s62, v20
	v_cndmask_b32_e32 v2, v23, v2, vcc_lo
	v_cmp_ne_u32_e32 vcc_lo, 0, v9
	v_cmp_ne_u32_e64 s0, 0, v2
	v_cndmask_b32_e32 v2, v21, v18, vcc_lo
	v_cndmask_b32_e32 v9, v22, v19, vcc_lo
	v_cndmask_b32_e64 v2, v11, v2, s0
	v_cndmask_b32_e64 v9, v12, v9, s0
	v_xor_b32_e32 v2, v2, v10
	v_xor_b32_e32 v11, v9, v10
	v_sub_co_u32 v9, vcc_lo, v2, v10
	v_sub_co_ci_u32_e64 v10, null, v11, v10, vcc_lo
                                        ; implicit-def: $vgpr11
.LBB43_52:                              ;   in Loop: Header=BB43_3 Depth=1
	s_andn2_saveexec_b32 s0, s61
	s_cbranch_execz .LBB43_54
; %bb.53:                               ;   in Loop: Header=BB43_3 Depth=1
	v_rcp_iflag_f32_e32 v2, v15
	s_sub_i32 s61, 0, s54
	v_mul_f32_e32 v2, 0x4f7ffffe, v2
	v_cvt_u32_f32_e32 v2, v2
	v_mul_lo_u32 v9, s61, v2
	v_mul_hi_u32 v9, v2, v9
	v_add_nc_u32_e32 v2, v2, v9
	v_mul_hi_u32 v2, v11, v2
	v_mul_lo_u32 v9, v2, s54
	v_add_nc_u32_e32 v10, 1, v2
	v_sub_nc_u32_e32 v9, v11, v9
	v_subrev_nc_u32_e32 v11, s54, v9
	v_cmp_le_u32_e32 vcc_lo, s54, v9
	v_cndmask_b32_e32 v9, v9, v11, vcc_lo
	v_cndmask_b32_e32 v2, v2, v10, vcc_lo
	v_cmp_le_u32_e32 vcc_lo, s54, v9
	v_add_nc_u32_e32 v10, 1, v2
	v_cndmask_b32_e32 v9, v2, v10, vcc_lo
	v_mov_b32_e32 v10, v1
.LBB43_54:                              ;   in Loop: Header=BB43_3 Depth=1
	s_or_b32 exec_lo, exec_lo, s0
	v_mul_lo_u32 v2, v10, s54
	v_mul_lo_u32 v18, v9, s55
	v_mad_u64_u32 v[11:12], null, v9, s54, 0
	v_mul_lo_u32 v19, v10, s4
	s_mov_b32 s0, exec_lo
	v_add3_u32 v2, v12, v18, v2
	v_sub_co_u32 v5, vcc_lo, v5, v11
	v_mul_lo_u32 v18, v9, s5
	v_mad_u64_u32 v[9:10], null, v9, s4, 0
	v_sub_co_ci_u32_e64 v2, null, v6, v2, vcc_lo
	v_add_co_u32 v5, vcc_lo, v3, v5
	v_add_co_ci_u32_e64 v2, null, v4, v2, vcc_lo
	v_add_co_u32 v6, vcc_lo, v7, 2
	v_add_co_ci_u32_e64 v20, null, 0, v8, vcc_lo
	v_mul_lo_u32 v21, v5, s7
	v_mul_lo_u32 v2, v2, s6
	v_mad_u64_u32 v[11:12], null, v5, s6, 0
	v_mul_lo_u32 v22, s9, v6
	v_mul_lo_u32 v20, s8, v20
	v_mad_u64_u32 v[5:6], null, s8, v6, 0
	v_add3_u32 v10, v10, v18, v19
	v_cvt_f16_f32_e32 v19, v17
	v_add3_u32 v12, v12, v21, v2
	v_lshlrev_b64 v[9:10], 1, v[9:10]
	v_add3_u32 v6, v6, v20, v22
	v_lshlrev_b64 v[17:18], 1, v[11:12]
	v_add_co_u32 v11, vcc_lo, v3, v5
	v_add_co_ci_u32_e64 v12, null, v4, v6, vcc_lo
	v_add_co_u32 v9, vcc_lo, s52, v9
	v_add_co_ci_u32_e64 v10, null, s53, v10, vcc_lo
	v_or_b32_e32 v2, s55, v12
	v_add_co_u32 v9, vcc_lo, v9, v17
	v_add_co_ci_u32_e64 v10, null, v10, v18, vcc_lo
	global_store_short v[9:10], v19, off
                                        ; implicit-def: $vgpr9_vgpr10
	v_cmpx_ne_u64_e32 0, v[1:2]
	s_xor_b32 s61, exec_lo, s0
	s_cbranch_execz .LBB43_56
; %bb.55:                               ;   in Loop: Header=BB43_3 Depth=1
	s_ashr_i32 s62, s55, 31
	v_ashrrev_i32_e32 v19, 31, v12
	s_add_u32 s64, s54, s62
	s_mov_b32 s63, s62
	s_addc_u32 s65, s55, s62
	s_xor_b64 s[64:65], s[64:65], s[62:63]
	v_add_co_u32 v10, vcc_lo, v11, v19
	v_cvt_f32_u32_e32 v2, s64
	v_cvt_f32_u32_e32 v9, s65
	s_sub_u32 s74, 0, s64
	s_subb_u32 s75, 0, s65
	v_add_co_ci_u32_e64 v11, null, v12, v19, vcc_lo
	v_fmac_f32_e32 v2, 0x4f800000, v9
	v_xor_b32_e32 v20, v11, v19
	v_rcp_f32_e32 v2, v2
	v_mul_f32_e32 v2, 0x5f7ffffc, v2
	v_mul_f32_e32 v9, 0x2f800000, v2
	v_trunc_f32_e32 v9, v9
	v_fmac_f32_e32 v2, 0xcf800000, v9
	v_cvt_u32_f32_e32 v9, v9
	v_cvt_u32_f32_e32 v2, v2
	v_readfirstlane_b32 s0, v9
	v_readfirstlane_b32 s63, v2
	s_mul_i32 s76, s74, s0
	v_xor_b32_e32 v2, v10, v19
	s_mul_hi_u32 s78, s74, s63
	s_mul_i32 s77, s75, s63
	s_add_i32 s76, s78, s76
	s_mul_i32 s79, s74, s63
	s_add_i32 s76, s76, s77
	s_mul_hi_u32 s78, s63, s79
	s_mul_i32 s81, s63, s76
	s_mul_hi_u32 s80, s0, s79
	s_mul_i32 s77, s0, s79
	s_mul_hi_u32 s79, s63, s76
	s_add_u32 s78, s78, s81
	s_addc_u32 s79, 0, s79
	s_mul_hi_u32 s82, s0, s76
	s_add_u32 s77, s78, s77
	s_mul_i32 s76, s0, s76
	s_addc_u32 s77, s79, s80
	s_addc_u32 s78, s82, 0
	s_add_u32 s76, s77, s76
	s_addc_u32 s77, 0, s78
	s_add_u32 s63, s63, s76
	s_cselect_b32 s76, -1, 0
	s_mul_hi_u32 s78, s74, s63
	s_cmp_lg_u32 s76, 0
	s_mul_i32 s76, s74, s63
	s_addc_u32 s0, s0, s77
	s_mul_i32 s75, s75, s63
	s_mul_i32 s74, s74, s0
	s_mul_hi_u32 s77, s63, s76
	s_add_i32 s74, s78, s74
	s_mul_hi_u32 s78, s0, s76
	s_add_i32 s74, s74, s75
	s_mul_i32 s75, s0, s76
	s_mul_i32 s80, s63, s74
	s_mul_hi_u32 s79, s63, s74
	s_add_u32 s77, s77, s80
	s_addc_u32 s79, 0, s79
	s_mul_hi_u32 s76, s0, s74
	s_add_u32 s75, s77, s75
	s_mul_i32 s74, s0, s74
	s_addc_u32 s75, s79, s78
	s_addc_u32 s76, s76, 0
	s_add_u32 s74, s75, s74
	s_addc_u32 s75, 0, s76
	s_add_u32 s63, s63, s74
	s_cselect_b32 s74, -1, 0
	v_mul_hi_u32 v21, v2, s63
	s_cmp_lg_u32 s74, 0
	v_mad_u64_u32 v[11:12], null, v20, s63, 0
	s_addc_u32 s0, s0, s75
	v_mad_u64_u32 v[9:10], null, v2, s0, 0
	v_mad_u64_u32 v[17:18], null, v20, s0, 0
	v_add_co_u32 v9, vcc_lo, v21, v9
	v_add_co_ci_u32_e64 v10, null, 0, v10, vcc_lo
	v_add_co_u32 v9, vcc_lo, v9, v11
	v_add_co_ci_u32_e32 v9, vcc_lo, v10, v12, vcc_lo
	v_add_co_ci_u32_e32 v10, vcc_lo, 0, v18, vcc_lo
	v_add_co_u32 v11, vcc_lo, v9, v17
	v_add_co_ci_u32_e64 v12, null, 0, v10, vcc_lo
	v_mul_lo_u32 v17, s65, v11
	v_mad_u64_u32 v[9:10], null, s64, v11, 0
	v_mul_lo_u32 v18, s64, v12
	v_sub_co_u32 v2, vcc_lo, v2, v9
	v_add3_u32 v10, v10, v18, v17
	v_sub_nc_u32_e32 v17, v20, v10
	v_sub_co_ci_u32_e64 v10, null, v20, v10, vcc_lo
	v_subrev_co_ci_u32_e64 v9, null, s65, v17, vcc_lo
	v_add_co_u32 v17, s0, v11, 2
	v_add_co_ci_u32_e64 v18, null, 0, v12, s0
	v_sub_co_u32 v21, s0, v2, s64
	v_subrev_co_ci_u32_e64 v9, null, 0, v9, s0
	v_cmp_le_u32_e32 vcc_lo, s64, v21
	v_cndmask_b32_e64 v20, 0, -1, vcc_lo
	v_cmp_le_u32_e32 vcc_lo, s65, v9
	v_cndmask_b32_e64 v21, 0, -1, vcc_lo
	;; [unrolled: 2-line block ×4, first 2 shown]
	v_cmp_eq_u32_e32 vcc_lo, s65, v9
	v_cndmask_b32_e32 v9, v21, v20, vcc_lo
	v_add_co_u32 v20, vcc_lo, v11, 1
	v_add_co_ci_u32_e64 v21, null, 0, v12, vcc_lo
	v_cmp_eq_u32_e32 vcc_lo, s65, v10
	v_xor_b32_e32 v10, s62, v19
	v_cndmask_b32_e32 v2, v22, v2, vcc_lo
	v_cmp_ne_u32_e32 vcc_lo, 0, v9
	v_cmp_ne_u32_e64 s0, 0, v2
	v_cndmask_b32_e32 v2, v20, v17, vcc_lo
	v_cndmask_b32_e32 v9, v21, v18, vcc_lo
	v_cndmask_b32_e64 v2, v11, v2, s0
	v_cndmask_b32_e64 v9, v12, v9, s0
	v_xor_b32_e32 v2, v2, v10
	v_xor_b32_e32 v11, v9, v10
	v_sub_co_u32 v9, vcc_lo, v2, v10
	v_sub_co_ci_u32_e64 v10, null, v11, v10, vcc_lo
                                        ; implicit-def: $vgpr11
.LBB43_56:                              ;   in Loop: Header=BB43_3 Depth=1
	s_andn2_saveexec_b32 s0, s61
	s_cbranch_execz .LBB43_58
; %bb.57:                               ;   in Loop: Header=BB43_3 Depth=1
	v_rcp_iflag_f32_e32 v2, v15
	s_sub_i32 s61, 0, s54
	v_mul_f32_e32 v2, 0x4f7ffffe, v2
	v_cvt_u32_f32_e32 v2, v2
	v_mul_lo_u32 v9, s61, v2
	v_mul_hi_u32 v9, v2, v9
	v_add_nc_u32_e32 v2, v2, v9
	v_mul_hi_u32 v2, v11, v2
	v_mul_lo_u32 v9, v2, s54
	v_add_nc_u32_e32 v10, 1, v2
	v_sub_nc_u32_e32 v9, v11, v9
	v_subrev_nc_u32_e32 v11, s54, v9
	v_cmp_le_u32_e32 vcc_lo, s54, v9
	v_cndmask_b32_e32 v9, v9, v11, vcc_lo
	v_cndmask_b32_e32 v2, v2, v10, vcc_lo
	v_cmp_le_u32_e32 vcc_lo, s54, v9
	v_add_nc_u32_e32 v10, 1, v2
	v_cndmask_b32_e32 v9, v2, v10, vcc_lo
	v_mov_b32_e32 v10, v1
.LBB43_58:                              ;   in Loop: Header=BB43_3 Depth=1
	s_or_b32 exec_lo, exec_lo, s0
	v_mul_lo_u32 v2, v10, s54
	v_mul_lo_u32 v17, v9, s55
	v_mad_u64_u32 v[11:12], null, v9, s54, 0
	v_mul_lo_u32 v18, v10, s4
	s_mov_b32 s0, exec_lo
	v_add3_u32 v2, v12, v17, v2
	v_sub_co_u32 v5, vcc_lo, v5, v11
	v_mul_lo_u32 v17, v9, s5
	v_mad_u64_u32 v[9:10], null, v9, s4, 0
	v_sub_co_ci_u32_e64 v2, null, v6, v2, vcc_lo
	v_add_co_u32 v5, vcc_lo, v3, v5
	v_add_co_ci_u32_e64 v2, null, v4, v2, vcc_lo
	v_add_co_u32 v6, vcc_lo, v7, 3
	v_add_co_ci_u32_e64 v19, null, 0, v8, vcc_lo
	v_mul_lo_u32 v20, v5, s7
	v_mul_lo_u32 v2, v2, s6
	v_mad_u64_u32 v[11:12], null, v5, s6, 0
	v_mul_lo_u32 v21, s9, v6
	v_mul_lo_u32 v19, s8, v19
	v_mad_u64_u32 v[5:6], null, s8, v6, 0
	v_add3_u32 v10, v10, v17, v18
	v_cvt_f16_f32_e32 v18, v16
	v_add3_u32 v12, v12, v20, v2
	v_lshlrev_b64 v[9:10], 1, v[9:10]
	v_add3_u32 v6, v6, v19, v21
	v_lshlrev_b64 v[16:17], 1, v[11:12]
	v_add_co_u32 v11, vcc_lo, v3, v5
	v_add_co_ci_u32_e64 v12, null, v4, v6, vcc_lo
	v_add_co_u32 v9, vcc_lo, s52, v9
	v_add_co_ci_u32_e64 v10, null, s53, v10, vcc_lo
	v_or_b32_e32 v2, s55, v12
	v_add_co_u32 v9, vcc_lo, v9, v16
	v_add_co_ci_u32_e64 v10, null, v10, v17, vcc_lo
	global_store_short v[9:10], v18, off
                                        ; implicit-def: $vgpr9_vgpr10
	v_cmpx_ne_u64_e32 0, v[1:2]
	s_xor_b32 s61, exec_lo, s0
	s_cbranch_execz .LBB43_60
; %bb.59:                               ;   in Loop: Header=BB43_3 Depth=1
	s_ashr_i32 s62, s55, 31
	v_ashrrev_i32_e32 v18, 31, v12
	s_add_u32 s64, s54, s62
	s_mov_b32 s63, s62
	s_addc_u32 s65, s55, s62
	s_xor_b64 s[64:65], s[64:65], s[62:63]
	v_add_co_u32 v10, vcc_lo, v11, v18
	v_cvt_f32_u32_e32 v2, s64
	v_cvt_f32_u32_e32 v9, s65
	s_sub_u32 s74, 0, s64
	s_subb_u32 s75, 0, s65
	v_add_co_ci_u32_e64 v11, null, v12, v18, vcc_lo
	v_fmac_f32_e32 v2, 0x4f800000, v9
	v_xor_b32_e32 v19, v11, v18
	v_rcp_f32_e32 v2, v2
	v_mul_f32_e32 v2, 0x5f7ffffc, v2
	v_mul_f32_e32 v9, 0x2f800000, v2
	v_trunc_f32_e32 v9, v9
	v_fmac_f32_e32 v2, 0xcf800000, v9
	v_cvt_u32_f32_e32 v9, v9
	v_cvt_u32_f32_e32 v2, v2
	v_readfirstlane_b32 s0, v9
	v_readfirstlane_b32 s63, v2
	s_mul_i32 s76, s74, s0
	v_xor_b32_e32 v2, v10, v18
	s_mul_hi_u32 s78, s74, s63
	s_mul_i32 s77, s75, s63
	s_add_i32 s76, s78, s76
	s_mul_i32 s79, s74, s63
	s_add_i32 s76, s76, s77
	s_mul_hi_u32 s78, s63, s79
	s_mul_i32 s81, s63, s76
	s_mul_hi_u32 s80, s0, s79
	s_mul_i32 s77, s0, s79
	s_mul_hi_u32 s79, s63, s76
	s_add_u32 s78, s78, s81
	s_addc_u32 s79, 0, s79
	s_mul_hi_u32 s82, s0, s76
	s_add_u32 s77, s78, s77
	s_mul_i32 s76, s0, s76
	s_addc_u32 s77, s79, s80
	s_addc_u32 s78, s82, 0
	s_add_u32 s76, s77, s76
	s_addc_u32 s77, 0, s78
	s_add_u32 s63, s63, s76
	s_cselect_b32 s76, -1, 0
	s_mul_hi_u32 s78, s74, s63
	s_cmp_lg_u32 s76, 0
	s_mul_i32 s76, s74, s63
	s_addc_u32 s0, s0, s77
	s_mul_i32 s75, s75, s63
	s_mul_i32 s74, s74, s0
	s_mul_hi_u32 s77, s63, s76
	s_add_i32 s74, s78, s74
	s_mul_hi_u32 s78, s0, s76
	s_add_i32 s74, s74, s75
	s_mul_i32 s75, s0, s76
	s_mul_i32 s80, s63, s74
	s_mul_hi_u32 s79, s63, s74
	s_add_u32 s77, s77, s80
	s_addc_u32 s79, 0, s79
	s_mul_hi_u32 s76, s0, s74
	s_add_u32 s75, s77, s75
	s_mul_i32 s74, s0, s74
	s_addc_u32 s75, s79, s78
	s_addc_u32 s76, s76, 0
	s_add_u32 s74, s75, s74
	s_addc_u32 s75, 0, s76
	s_add_u32 s63, s63, s74
	s_cselect_b32 s74, -1, 0
	v_mul_hi_u32 v20, v2, s63
	s_cmp_lg_u32 s74, 0
	v_mad_u64_u32 v[11:12], null, v19, s63, 0
	s_addc_u32 s0, s0, s75
	v_mad_u64_u32 v[9:10], null, v2, s0, 0
	v_mad_u64_u32 v[16:17], null, v19, s0, 0
	v_add_co_u32 v9, vcc_lo, v20, v9
	v_add_co_ci_u32_e64 v10, null, 0, v10, vcc_lo
	v_add_co_u32 v9, vcc_lo, v9, v11
	v_add_co_ci_u32_e32 v9, vcc_lo, v10, v12, vcc_lo
	v_add_co_ci_u32_e32 v10, vcc_lo, 0, v17, vcc_lo
	v_add_co_u32 v11, vcc_lo, v9, v16
	v_add_co_ci_u32_e64 v12, null, 0, v10, vcc_lo
	v_mul_lo_u32 v16, s65, v11
	v_mad_u64_u32 v[9:10], null, s64, v11, 0
	v_mul_lo_u32 v17, s64, v12
	v_sub_co_u32 v2, vcc_lo, v2, v9
	v_add3_u32 v10, v10, v17, v16
	v_sub_nc_u32_e32 v16, v19, v10
	v_sub_co_ci_u32_e64 v10, null, v19, v10, vcc_lo
	v_subrev_co_ci_u32_e64 v9, null, s65, v16, vcc_lo
	v_add_co_u32 v16, s0, v11, 2
	v_add_co_ci_u32_e64 v17, null, 0, v12, s0
	v_sub_co_u32 v20, s0, v2, s64
	v_subrev_co_ci_u32_e64 v9, null, 0, v9, s0
	v_cmp_le_u32_e32 vcc_lo, s64, v20
	v_cndmask_b32_e64 v19, 0, -1, vcc_lo
	v_cmp_le_u32_e32 vcc_lo, s65, v9
	v_cndmask_b32_e64 v20, 0, -1, vcc_lo
	;; [unrolled: 2-line block ×4, first 2 shown]
	v_cmp_eq_u32_e32 vcc_lo, s65, v9
	v_cndmask_b32_e32 v9, v20, v19, vcc_lo
	v_add_co_u32 v19, vcc_lo, v11, 1
	v_add_co_ci_u32_e64 v20, null, 0, v12, vcc_lo
	v_cmp_eq_u32_e32 vcc_lo, s65, v10
	v_xor_b32_e32 v10, s62, v18
	v_cndmask_b32_e32 v2, v21, v2, vcc_lo
	v_cmp_ne_u32_e32 vcc_lo, 0, v9
	v_cmp_ne_u32_e64 s0, 0, v2
	v_cndmask_b32_e32 v2, v19, v16, vcc_lo
	v_cndmask_b32_e32 v9, v20, v17, vcc_lo
	v_cndmask_b32_e64 v2, v11, v2, s0
	v_cndmask_b32_e64 v9, v12, v9, s0
	v_xor_b32_e32 v2, v2, v10
	v_xor_b32_e32 v11, v9, v10
	v_sub_co_u32 v9, vcc_lo, v2, v10
	v_sub_co_ci_u32_e64 v10, null, v11, v10, vcc_lo
                                        ; implicit-def: $vgpr11
.LBB43_60:                              ;   in Loop: Header=BB43_3 Depth=1
	s_andn2_saveexec_b32 s0, s61
	s_cbranch_execz .LBB43_62
; %bb.61:                               ;   in Loop: Header=BB43_3 Depth=1
	v_rcp_iflag_f32_e32 v2, v15
	s_sub_i32 s61, 0, s54
	v_mul_f32_e32 v2, 0x4f7ffffe, v2
	v_cvt_u32_f32_e32 v2, v2
	v_mul_lo_u32 v9, s61, v2
	v_mul_hi_u32 v9, v2, v9
	v_add_nc_u32_e32 v2, v2, v9
	v_mul_hi_u32 v2, v11, v2
	v_mul_lo_u32 v9, v2, s54
	v_add_nc_u32_e32 v10, 1, v2
	v_sub_nc_u32_e32 v9, v11, v9
	v_subrev_nc_u32_e32 v11, s54, v9
	v_cmp_le_u32_e32 vcc_lo, s54, v9
	v_cndmask_b32_e32 v9, v9, v11, vcc_lo
	v_cndmask_b32_e32 v2, v2, v10, vcc_lo
	v_cmp_le_u32_e32 vcc_lo, s54, v9
	v_add_nc_u32_e32 v10, 1, v2
	v_cndmask_b32_e32 v9, v2, v10, vcc_lo
	v_mov_b32_e32 v10, v1
.LBB43_62:                              ;   in Loop: Header=BB43_3 Depth=1
	s_or_b32 exec_lo, exec_lo, s0
	v_mul_lo_u32 v2, v10, s54
	v_mul_lo_u32 v16, v9, s55
	v_mad_u64_u32 v[11:12], null, v9, s54, 0
	v_mul_lo_u32 v17, v10, s4
	s_mov_b32 s0, exec_lo
	v_add3_u32 v2, v12, v16, v2
	v_sub_co_u32 v5, vcc_lo, v5, v11
	v_mul_lo_u32 v12, v9, s5
	v_mad_u64_u32 v[9:10], null, v9, s4, 0
	v_sub_co_ci_u32_e64 v2, null, v6, v2, vcc_lo
	v_add_co_u32 v5, vcc_lo, v3, v5
	v_add_co_ci_u32_e64 v2, null, v4, v2, vcc_lo
	v_add_co_u32 v6, vcc_lo, v7, 4
	v_add_co_ci_u32_e64 v11, null, 0, v8, vcc_lo
	v_mul_lo_u32 v16, v5, s7
	v_mul_lo_u32 v2, v2, s6
	v_mad_u64_u32 v[7:8], null, v5, s6, 0
	v_mul_lo_u32 v18, s9, v6
	v_mul_lo_u32 v19, s8, v11
	v_mad_u64_u32 v[5:6], null, s8, v6, 0
	v_add3_u32 v10, v10, v12, v17
	v_add3_u32 v8, v8, v16, v2
	v_lshlrev_b64 v[11:12], 1, v[9:10]
	v_add3_u32 v6, v6, v19, v18
	v_add_co_u32 v9, vcc_lo, v3, v5
	v_lshlrev_b64 v[7:8], 1, v[7:8]
	v_add_co_ci_u32_e64 v10, null, v4, v6, vcc_lo
	v_add_co_u32 v11, vcc_lo, s52, v11
	v_add_co_ci_u32_e64 v12, null, s53, v12, vcc_lo
	v_or_b32_e32 v2, s55, v10
	v_add_co_u32 v7, vcc_lo, v11, v7
	v_add_co_ci_u32_e64 v8, null, v12, v8, vcc_lo
	global_store_short v[7:8], v13, off
                                        ; implicit-def: $vgpr7_vgpr8
	v_cmpx_ne_u64_e32 0, v[1:2]
	s_xor_b32 s61, exec_lo, s0
	s_cbranch_execz .LBB43_64
; %bb.63:                               ;   in Loop: Header=BB43_3 Depth=1
	s_ashr_i32 s62, s55, 31
	v_ashrrev_i32_e32 v13, 31, v10
	s_add_u32 s64, s54, s62
	s_mov_b32 s63, s62
	s_addc_u32 s65, s55, s62
	s_xor_b64 s[64:65], s[64:65], s[62:63]
	v_add_co_u32 v8, vcc_lo, v9, v13
	v_cvt_f32_u32_e32 v2, s64
	v_cvt_f32_u32_e32 v7, s65
	s_sub_u32 s74, 0, s64
	s_subb_u32 s75, 0, s65
	v_add_co_ci_u32_e64 v9, null, v10, v13, vcc_lo
	v_fmac_f32_e32 v2, 0x4f800000, v7
	v_xor_b32_e32 v15, v9, v13
	v_rcp_f32_e32 v2, v2
	v_mul_f32_e32 v2, 0x5f7ffffc, v2
	v_mul_f32_e32 v7, 0x2f800000, v2
	v_trunc_f32_e32 v7, v7
	v_fmac_f32_e32 v2, 0xcf800000, v7
	v_cvt_u32_f32_e32 v7, v7
	v_cvt_u32_f32_e32 v2, v2
	v_readfirstlane_b32 s0, v7
	v_readfirstlane_b32 s63, v2
	s_mul_i32 s76, s74, s0
	v_xor_b32_e32 v2, v8, v13
	s_mul_hi_u32 s78, s74, s63
	s_mul_i32 s77, s75, s63
	s_add_i32 s76, s78, s76
	s_mul_i32 s79, s74, s63
	s_add_i32 s76, s76, s77
	s_mul_hi_u32 s78, s63, s79
	s_mul_i32 s81, s63, s76
	s_mul_hi_u32 s80, s0, s79
	s_mul_i32 s77, s0, s79
	s_mul_hi_u32 s79, s63, s76
	s_add_u32 s78, s78, s81
	s_addc_u32 s79, 0, s79
	s_mul_hi_u32 s82, s0, s76
	s_add_u32 s77, s78, s77
	s_mul_i32 s76, s0, s76
	s_addc_u32 s77, s79, s80
	s_addc_u32 s78, s82, 0
	s_add_u32 s76, s77, s76
	s_addc_u32 s77, 0, s78
	s_add_u32 s63, s63, s76
	s_cselect_b32 s76, -1, 0
	s_mul_hi_u32 s78, s74, s63
	s_cmp_lg_u32 s76, 0
	s_mul_i32 s76, s74, s63
	s_addc_u32 s0, s0, s77
	s_mul_i32 s75, s75, s63
	s_mul_i32 s74, s74, s0
	s_mul_hi_u32 s77, s63, s76
	s_add_i32 s74, s78, s74
	s_mul_hi_u32 s78, s0, s76
	s_add_i32 s74, s74, s75
	s_mul_i32 s75, s0, s76
	s_mul_i32 s80, s63, s74
	s_mul_hi_u32 s79, s63, s74
	s_add_u32 s77, s77, s80
	s_addc_u32 s79, 0, s79
	s_mul_hi_u32 s76, s0, s74
	s_add_u32 s75, s77, s75
	s_mul_i32 s74, s0, s74
	s_addc_u32 s75, s79, s78
	s_addc_u32 s76, s76, 0
	s_add_u32 s74, s75, s74
	s_addc_u32 s75, 0, s76
	s_add_u32 s63, s63, s74
	s_cselect_b32 s74, -1, 0
	v_mul_hi_u32 v16, v2, s63
	s_cmp_lg_u32 s74, 0
	v_mad_u64_u32 v[9:10], null, v15, s63, 0
	s_addc_u32 s0, s0, s75
	v_mad_u64_u32 v[7:8], null, v2, s0, 0
	v_mad_u64_u32 v[11:12], null, v15, s0, 0
	v_add_co_u32 v7, vcc_lo, v16, v7
	v_add_co_ci_u32_e64 v8, null, 0, v8, vcc_lo
	v_add_co_u32 v7, vcc_lo, v7, v9
	v_add_co_ci_u32_e32 v7, vcc_lo, v8, v10, vcc_lo
	v_add_co_ci_u32_e32 v8, vcc_lo, 0, v12, vcc_lo
	v_add_co_u32 v9, vcc_lo, v7, v11
	v_add_co_ci_u32_e64 v10, null, 0, v8, vcc_lo
	v_mul_lo_u32 v11, s65, v9
	v_mad_u64_u32 v[7:8], null, s64, v9, 0
	v_mul_lo_u32 v12, s64, v10
	v_sub_co_u32 v2, vcc_lo, v2, v7
	v_add3_u32 v8, v8, v12, v11
	v_sub_nc_u32_e32 v11, v15, v8
	v_sub_co_ci_u32_e64 v8, null, v15, v8, vcc_lo
	v_subrev_co_ci_u32_e64 v7, null, s65, v11, vcc_lo
	v_add_co_u32 v11, s0, v9, 2
	v_add_co_ci_u32_e64 v12, null, 0, v10, s0
	v_sub_co_u32 v16, s0, v2, s64
	v_subrev_co_ci_u32_e64 v7, null, 0, v7, s0
	v_cmp_le_u32_e32 vcc_lo, s64, v16
	v_cndmask_b32_e64 v15, 0, -1, vcc_lo
	v_cmp_le_u32_e32 vcc_lo, s65, v7
	v_cndmask_b32_e64 v16, 0, -1, vcc_lo
	;; [unrolled: 2-line block ×4, first 2 shown]
	v_cmp_eq_u32_e32 vcc_lo, s65, v7
	v_cndmask_b32_e32 v7, v16, v15, vcc_lo
	v_add_co_u32 v15, vcc_lo, v9, 1
	v_add_co_ci_u32_e64 v16, null, 0, v10, vcc_lo
	v_cmp_eq_u32_e32 vcc_lo, s65, v8
	v_xor_b32_e32 v8, s62, v13
	v_cndmask_b32_e32 v2, v17, v2, vcc_lo
	v_cmp_ne_u32_e32 vcc_lo, 0, v7
	v_cmp_ne_u32_e64 s0, 0, v2
	v_cndmask_b32_e32 v2, v15, v11, vcc_lo
	v_cndmask_b32_e32 v7, v16, v12, vcc_lo
                                        ; implicit-def: $vgpr15
	v_cndmask_b32_e64 v2, v9, v2, s0
	v_cndmask_b32_e64 v7, v10, v7, s0
	v_xor_b32_e32 v2, v2, v8
	v_xor_b32_e32 v9, v7, v8
	v_sub_co_u32 v7, vcc_lo, v2, v8
	v_sub_co_ci_u32_e64 v8, null, v9, v8, vcc_lo
                                        ; implicit-def: $vgpr9
.LBB43_64:                              ;   in Loop: Header=BB43_3 Depth=1
	s_andn2_saveexec_b32 s0, s61
	s_cbranch_execz .LBB43_2
; %bb.65:                               ;   in Loop: Header=BB43_3 Depth=1
	v_rcp_iflag_f32_e32 v2, v15
	s_sub_i32 s61, 0, s54
	v_mul_f32_e32 v2, 0x4f7ffffe, v2
	v_cvt_u32_f32_e32 v2, v2
	v_mul_lo_u32 v7, s61, v2
	v_mul_hi_u32 v7, v2, v7
	v_add_nc_u32_e32 v2, v2, v7
	v_mul_hi_u32 v2, v9, v2
	v_mul_lo_u32 v7, v2, s54
	v_add_nc_u32_e32 v8, 1, v2
	v_sub_nc_u32_e32 v7, v9, v7
	v_subrev_nc_u32_e32 v9, s54, v7
	v_cmp_le_u32_e32 vcc_lo, s54, v7
	v_cndmask_b32_e32 v7, v7, v9, vcc_lo
	v_cndmask_b32_e32 v2, v2, v8, vcc_lo
	v_cmp_le_u32_e32 vcc_lo, s54, v7
	v_add_nc_u32_e32 v8, 1, v2
	v_cndmask_b32_e32 v7, v2, v8, vcc_lo
	v_mov_b32_e32 v8, v1
	s_branch .LBB43_2
.LBB43_66:
	s_endpgm
	.section	.rodata,"a",@progbits
	.p2align	6, 0x0
	.amdhsa_kernel _ZN2at6native12_GLOBAL__N_16kernel16gru_cell_forwardIN3c104HalfEflLi2EEEvNS_4cuda6detail10TensorInfoIT_T1_EESB_SB_SB_SB_SB_SB_SA_SA_
		.amdhsa_group_segment_fixed_size 0
		.amdhsa_private_segment_fixed_size 0
		.amdhsa_kernarg_size 3184
		.amdhsa_user_sgpr_count 6
		.amdhsa_user_sgpr_private_segment_buffer 1
		.amdhsa_user_sgpr_dispatch_ptr 0
		.amdhsa_user_sgpr_queue_ptr 0
		.amdhsa_user_sgpr_kernarg_segment_ptr 1
		.amdhsa_user_sgpr_dispatch_id 0
		.amdhsa_user_sgpr_flat_scratch_init 0
		.amdhsa_user_sgpr_private_segment_size 0
		.amdhsa_wavefront_size32 1
		.amdhsa_uses_dynamic_stack 0
		.amdhsa_system_sgpr_private_segment_wavefront_offset 0
		.amdhsa_system_sgpr_workgroup_id_x 1
		.amdhsa_system_sgpr_workgroup_id_y 0
		.amdhsa_system_sgpr_workgroup_id_z 0
		.amdhsa_system_sgpr_workgroup_info 0
		.amdhsa_system_vgpr_workitem_id 0
		.amdhsa_next_free_vgpr 34
		.amdhsa_next_free_sgpr 83
		.amdhsa_reserve_vcc 1
		.amdhsa_reserve_flat_scratch 0
		.amdhsa_float_round_mode_32 0
		.amdhsa_float_round_mode_16_64 0
		.amdhsa_float_denorm_mode_32 3
		.amdhsa_float_denorm_mode_16_64 3
		.amdhsa_dx10_clamp 1
		.amdhsa_ieee_mode 1
		.amdhsa_fp16_overflow 0
		.amdhsa_workgroup_processor_mode 1
		.amdhsa_memory_ordered 1
		.amdhsa_forward_progress 1
		.amdhsa_shared_vgpr_count 0
		.amdhsa_exception_fp_ieee_invalid_op 0
		.amdhsa_exception_fp_denorm_src 0
		.amdhsa_exception_fp_ieee_div_zero 0
		.amdhsa_exception_fp_ieee_overflow 0
		.amdhsa_exception_fp_ieee_underflow 0
		.amdhsa_exception_fp_ieee_inexact 0
		.amdhsa_exception_int_div_zero 0
	.end_amdhsa_kernel
	.section	.text._ZN2at6native12_GLOBAL__N_16kernel16gru_cell_forwardIN3c104HalfEflLi2EEEvNS_4cuda6detail10TensorInfoIT_T1_EESB_SB_SB_SB_SB_SB_SA_SA_,"axG",@progbits,_ZN2at6native12_GLOBAL__N_16kernel16gru_cell_forwardIN3c104HalfEflLi2EEEvNS_4cuda6detail10TensorInfoIT_T1_EESB_SB_SB_SB_SB_SB_SA_SA_,comdat
.Lfunc_end43:
	.size	_ZN2at6native12_GLOBAL__N_16kernel16gru_cell_forwardIN3c104HalfEflLi2EEEvNS_4cuda6detail10TensorInfoIT_T1_EESB_SB_SB_SB_SB_SB_SA_SA_, .Lfunc_end43-_ZN2at6native12_GLOBAL__N_16kernel16gru_cell_forwardIN3c104HalfEflLi2EEEvNS_4cuda6detail10TensorInfoIT_T1_EESB_SB_SB_SB_SB_SB_SA_SA_
                                        ; -- End function
	.set _ZN2at6native12_GLOBAL__N_16kernel16gru_cell_forwardIN3c104HalfEflLi2EEEvNS_4cuda6detail10TensorInfoIT_T1_EESB_SB_SB_SB_SB_SB_SA_SA_.num_vgpr, 34
	.set _ZN2at6native12_GLOBAL__N_16kernel16gru_cell_forwardIN3c104HalfEflLi2EEEvNS_4cuda6detail10TensorInfoIT_T1_EESB_SB_SB_SB_SB_SB_SA_SA_.num_agpr, 0
	.set _ZN2at6native12_GLOBAL__N_16kernel16gru_cell_forwardIN3c104HalfEflLi2EEEvNS_4cuda6detail10TensorInfoIT_T1_EESB_SB_SB_SB_SB_SB_SA_SA_.numbered_sgpr, 83
	.set _ZN2at6native12_GLOBAL__N_16kernel16gru_cell_forwardIN3c104HalfEflLi2EEEvNS_4cuda6detail10TensorInfoIT_T1_EESB_SB_SB_SB_SB_SB_SA_SA_.num_named_barrier, 0
	.set _ZN2at6native12_GLOBAL__N_16kernel16gru_cell_forwardIN3c104HalfEflLi2EEEvNS_4cuda6detail10TensorInfoIT_T1_EESB_SB_SB_SB_SB_SB_SA_SA_.private_seg_size, 0
	.set _ZN2at6native12_GLOBAL__N_16kernel16gru_cell_forwardIN3c104HalfEflLi2EEEvNS_4cuda6detail10TensorInfoIT_T1_EESB_SB_SB_SB_SB_SB_SA_SA_.uses_vcc, 1
	.set _ZN2at6native12_GLOBAL__N_16kernel16gru_cell_forwardIN3c104HalfEflLi2EEEvNS_4cuda6detail10TensorInfoIT_T1_EESB_SB_SB_SB_SB_SB_SA_SA_.uses_flat_scratch, 0
	.set _ZN2at6native12_GLOBAL__N_16kernel16gru_cell_forwardIN3c104HalfEflLi2EEEvNS_4cuda6detail10TensorInfoIT_T1_EESB_SB_SB_SB_SB_SB_SA_SA_.has_dyn_sized_stack, 0
	.set _ZN2at6native12_GLOBAL__N_16kernel16gru_cell_forwardIN3c104HalfEflLi2EEEvNS_4cuda6detail10TensorInfoIT_T1_EESB_SB_SB_SB_SB_SB_SA_SA_.has_recursion, 0
	.set _ZN2at6native12_GLOBAL__N_16kernel16gru_cell_forwardIN3c104HalfEflLi2EEEvNS_4cuda6detail10TensorInfoIT_T1_EESB_SB_SB_SB_SB_SB_SA_SA_.has_indirect_call, 0
	.section	.AMDGPU.csdata,"",@progbits
; Kernel info:
; codeLenInByte = 15008
; TotalNumSgprs: 85
; NumVgprs: 34
; ScratchSize: 0
; MemoryBound: 0
; FloatMode: 240
; IeeeMode: 1
; LDSByteSize: 0 bytes/workgroup (compile time only)
; SGPRBlocks: 0
; VGPRBlocks: 4
; NumSGPRsForWavesPerEU: 85
; NumVGPRsForWavesPerEU: 34
; Occupancy: 16
; WaveLimiterHint : 1
; COMPUTE_PGM_RSRC2:SCRATCH_EN: 0
; COMPUTE_PGM_RSRC2:USER_SGPR: 6
; COMPUTE_PGM_RSRC2:TRAP_HANDLER: 0
; COMPUTE_PGM_RSRC2:TGID_X_EN: 1
; COMPUTE_PGM_RSRC2:TGID_Y_EN: 0
; COMPUTE_PGM_RSRC2:TGID_Z_EN: 0
; COMPUTE_PGM_RSRC2:TIDIG_COMP_CNT: 0
	.section	.text._ZN2at6native12_GLOBAL__N_16kernel16gru_cell_forwardIN3c108BFloat16EfiLi1EEEvNS_4cuda6detail10TensorInfoIT_T1_EESB_SB_SB_SB_SB_SB_SA_SA_,"axG",@progbits,_ZN2at6native12_GLOBAL__N_16kernel16gru_cell_forwardIN3c108BFloat16EfiLi1EEEvNS_4cuda6detail10TensorInfoIT_T1_EESB_SB_SB_SB_SB_SB_SA_SA_,comdat
	.globl	_ZN2at6native12_GLOBAL__N_16kernel16gru_cell_forwardIN3c108BFloat16EfiLi1EEEvNS_4cuda6detail10TensorInfoIT_T1_EESB_SB_SB_SB_SB_SB_SA_SA_ ; -- Begin function _ZN2at6native12_GLOBAL__N_16kernel16gru_cell_forwardIN3c108BFloat16EfiLi1EEEvNS_4cuda6detail10TensorInfoIT_T1_EESB_SB_SB_SB_SB_SB_SA_SA_
	.p2align	8
	.type	_ZN2at6native12_GLOBAL__N_16kernel16gru_cell_forwardIN3c108BFloat16EfiLi1EEEvNS_4cuda6detail10TensorInfoIT_T1_EESB_SB_SB_SB_SB_SB_SA_SA_,@function
_ZN2at6native12_GLOBAL__N_16kernel16gru_cell_forwardIN3c108BFloat16EfiLi1EEEvNS_4cuda6detail10TensorInfoIT_T1_EESB_SB_SB_SB_SB_SB_SA_SA_: ; @_ZN2at6native12_GLOBAL__N_16kernel16gru_cell_forwardIN3c108BFloat16EfiLi1EEEvNS_4cuda6detail10TensorInfoIT_T1_EESB_SB_SB_SB_SB_SB_SA_SA_
; %bb.0:
	s_clause 0x1
	s_load_dword s7, s[4:5], 0x5fc
	s_load_dwordx2 s[2:3], s[4:5], 0x5e8
	s_add_u32 s0, s4, 0x5f0
	s_addc_u32 s1, s5, 0
	s_waitcnt lgkmcnt(0)
	s_and_b32 s25, s7, 0xffff
	v_mad_u64_u32 v[0:1], null, s6, s25, v[0:1]
	s_mov_b32 s6, exec_lo
	v_cmpx_gt_i32_e64 s3, v0
	s_cbranch_execz .LBB44_9
; %bb.1:
	s_clause 0x3
	s_load_dwordx2 s[6:7], s[4:5], 0x1b0
	s_load_dword s20, s[4:5], 0x21c
	s_load_dwordx2 s[8:9], s[4:5], 0x288
	s_load_dword s21, s[4:5], 0x2f4
	s_load_dword s0, s[0:1], 0x0
	s_clause 0x7
	s_load_dword s30, s[4:5], 0x3cc
	s_load_dword s31, s[4:5], 0x4a4
	s_load_dwordx2 s[10:11], s[4:5], 0x360
	s_load_dwordx2 s[12:13], s[4:5], 0x438
	s_load_dwordx2 s[14:15], s[4:5], 0x0
	s_load_dword s1, s[4:5], 0x6c
	s_load_dwordx2 s[16:17], s[4:5], 0xd8
	s_load_dword s24, s[4:5], 0x144
	s_mov_b32 s33, 0xbbbac73d
	s_waitcnt lgkmcnt(0)
	s_cmp_lg_u64 s[6:7], 0
	s_cselect_b32 s22, -1, 0
	s_abs_i32 s23, s2
	v_mul_lo_u32 v3, v0, s31
	v_cvt_f32_u32_e32 v1, s23
	s_sub_i32 s18, 0, s23
	s_mul_i32 s25, s0, s25
	s_ashr_i32 s26, s2, 31
	s_lshl_b32 s27, s2, 1
	v_rcp_iflag_f32_e32 v1, v1
	s_lshl_b32 s28, s2, 2
	s_sub_i32 s29, 0, s2
	s_mul_i32 s31, s25, s31
	v_mul_f32_e32 v1, 0x4f7ffffe, v1
	v_cvt_u32_f32_e32 v2, v1
	v_mul_lo_u32 v1, s18, v2
	s_clause 0x1
	s_load_dwordx2 s[18:19], s[4:5], 0x510
	s_load_dword s4, s[4:5], 0x57c
	s_mov_b32 s5, 0
	v_mul_hi_u32 v4, v2, v1
	v_mul_lo_u32 v1, v0, s30
	s_mul_i32 s30, s25, s30
	v_add_nc_u32_e32 v5, v2, v4
	s_branch .LBB44_3
.LBB44_2:                               ;   in Loop: Header=BB44_3 Depth=1
	s_or_b32 exec_lo, exec_lo, s0
	v_lshlrev_b32_e32 v8, 16, v8
	v_lshlrev_b32_e32 v9, 16, v9
	v_bfi_b32 v19, 0x7fffffff, v13, v12
	v_bfe_u32 v13, v11, 16, 1
	v_bfe_u32 v17, v10, 16, 1
	v_cmp_o_f32_e64 s0, v10, v10
	v_add_f32_e32 v8, v8, v9
	v_add_f32_e32 v8, v8, v15
	;; [unrolled: 1-line block ×3, first 2 shown]
	v_mul_f32_e32 v8, 0xbfb8aa3b, v14
	v_cmp_nlt_f32_e32 vcc_lo, 0x42ce8ed0, v14
	v_fma_f32 v9, 0xbfb8aa3b, v14, -v8
	v_rndne_f32_e32 v15, v8
	v_fmac_f32_e32 v9, 0xb2a5705f, v14
	v_sub_f32_e32 v8, v8, v15
	v_cvt_i32_f32_e32 v15, v15
	v_add_f32_e32 v8, v8, v9
	v_exp_f32_e32 v16, v8
	v_mad_u64_u32 v[8:9], null, s28, v4, v[0:1]
	v_ashrrev_i32_e32 v4, 31, v3
	s_waitcnt vmcnt(0)
	v_lshlrev_b32_e32 v9, 16, v2
	v_add_nc_u32_e32 v1, s30, v1
	v_sub_f32_e32 v20, v9, v19
	v_ldexp_f32 v12, v16, v15
	v_lshlrev_b32_e32 v15, 2, v7
	v_lshlrev_b32_e32 v16, 2, v6
	v_lshlrev_b64 v[6:7], 1, v[3:4]
	v_add3_u32 v9, v11, v13, 0x7fff
	v_cndmask_b32_e32 v12, 0, v12, vcc_lo
	v_cmp_ngt_f32_e32 vcc_lo, 0xc2b17218, v14
	v_bfe_u32 v13, v19, 16, 1
	v_add3_u32 v14, v10, v17, 0x7fff
	v_lshrrev_b32_e32 v9, 16, v9
	s_waitcnt lgkmcnt(0)
	v_mul_lo_u32 v8, v8, s4
	v_cndmask_b32_e32 v4, 0x7f800000, v12, vcc_lo
	v_sub_nc_u32_e32 v12, v15, v16
	v_add_co_u32 v6, vcc_lo, s12, v6
	v_add_co_ci_u32_e64 v7, null, s13, v7, vcc_lo
	v_add_f32_e32 v4, 1.0, v4
	v_cmp_o_f32_e32 vcc_lo, v11, v11
	v_or_b32_e32 v15, 1, v12
	v_add3_u32 v13, v19, v13, 0x7fff
	v_or_b32_e32 v17, 2, v12
	v_div_scale_f32 v16, null, v4, v4, 1.0
	v_cndmask_b32_e32 v24, 0x7fc0, v9, vcc_lo
	v_or_b32_e32 v21, 3, v12
	v_div_scale_f32 v26, vcc_lo, 1.0, v4, 1.0
	v_rcp_f32_e32 v18, v16
	v_add_nc_u32_e32 v23, 4, v12
	v_mad_u64_u32 v[11:12], null, s2, v15, v[0:1]
	v_lshrrev_b32_e32 v25, 16, v13
	v_mad_u64_u32 v[12:13], null, s2, v17, v[0:1]
	v_lshrrev_b32_e32 v22, 16, v14
	v_mad_u64_u32 v[13:14], null, s2, v21, v[0:1]
	v_fma_f32 v9, -v16, v18, 1.0
	v_mad_u64_u32 v[14:15], null, s2, v23, v[0:1]
	v_mul_lo_u32 v12, v12, s4
	v_cndmask_b32_e64 v22, 0x7fc0, v22, s0
	v_fmac_f32_e32 v18, v9, v18
	v_mul_lo_u32 v15, v13, s4
	v_ashrrev_i32_e32 v9, 31, v8
	v_cmp_o_f32_e64 s0, v19, v19
	v_mul_lo_u32 v17, v14, s4
	v_mul_f32_e32 v21, v26, v18
	v_add_nc_u32_e32 v0, s25, v0
	v_lshlrev_b64 v[8:9], 1, v[8:9]
	v_cndmask_b32_e64 v23, 0x7fc0, v25, s0
	v_add_nc_u32_e32 v3, s31, v3
	v_fma_f32 v10, -v16, v21, v26
	v_cmp_le_i32_e64 s0, s3, v0
	v_fmac_f32_e32 v21, v10, v18
	v_mul_lo_u32 v10, v11, s4
	s_or_b32 s5, s0, s5
	v_fma_f32 v11, -v16, v21, v26
	v_ashrrev_i32_e32 v16, 31, v15
	v_div_fmas_f32 v13, v11, v18, v21
	v_ashrrev_i32_e32 v11, 31, v10
	v_ashrrev_i32_e32 v18, 31, v17
	v_lshlrev_b64 v[14:15], 1, v[15:16]
	v_add_co_u32 v8, vcc_lo, s18, v8
	v_div_fixup_f32 v4, v13, v4, 1.0
	v_ashrrev_i32_e32 v13, 31, v12
	v_lshlrev_b64 v[10:11], 1, v[10:11]
	v_lshlrev_b64 v[16:17], 1, v[17:18]
	v_add_co_ci_u32_e64 v9, null, s19, v9, vcc_lo
	v_fma_f32 v19, v4, v20, v19
	v_lshlrev_b64 v[12:13], 1, v[12:13]
	v_bfe_u32 v18, v4, 16, 1
	v_add_co_u32 v10, vcc_lo, s18, v10
	v_bfe_u32 v20, v19, 16, 1
	v_add_co_ci_u32_e64 v11, null, s19, v11, vcc_lo
	v_add3_u32 v18, v4, v18, 0x7fff
	v_add_co_u32 v12, vcc_lo, s18, v12
	v_add_co_ci_u32_e64 v13, null, s19, v13, vcc_lo
	v_add_co_u32 v14, vcc_lo, s18, v14
	v_add3_u32 v20, v19, v20, 0x7fff
	v_lshrrev_b32_e32 v18, 16, v18
	v_add_co_ci_u32_e64 v15, null, s19, v15, vcc_lo
	v_cmp_o_f32_e32 vcc_lo, v4, v4
	v_lshrrev_b32_e32 v20, 16, v20
	v_cndmask_b32_e32 v4, 0x7fc0, v18, vcc_lo
	v_cmp_o_f32_e32 vcc_lo, v19, v19
	v_cndmask_b32_e32 v18, 0x7fc0, v20, vcc_lo
	v_add_co_u32 v16, vcc_lo, s18, v16
	v_add_co_ci_u32_e64 v17, null, s19, v17, vcc_lo
	global_store_short v[6:7], v18, off
	global_store_short v[8:9], v24, off
	;; [unrolled: 1-line block ×6, first 2 shown]
	s_andn2_b32 exec_lo, exec_lo, s5
	s_cbranch_execz .LBB44_9
.LBB44_3:                               ; =>This Inner Loop Header: Depth=1
	v_sub_nc_u32_e32 v2, 0, v0
	v_max_i32_e32 v2, v0, v2
	v_mul_hi_u32 v4, v2, v5
	v_mul_lo_u32 v6, v4, s23
	v_sub_nc_u32_e32 v2, v2, v6
	v_add_nc_u32_e32 v6, 1, v4
	v_subrev_nc_u32_e32 v7, s23, v2
	v_cmp_le_u32_e32 vcc_lo, s23, v2
	v_cndmask_b32_e32 v4, v4, v6, vcc_lo
	v_cndmask_b32_e32 v2, v2, v7, vcc_lo
	v_ashrrev_i32_e32 v6, 31, v0
	v_add_nc_u32_e32 v7, 1, v4
	v_cmp_le_u32_e32 vcc_lo, s23, v2
	v_xor_b32_e32 v6, s26, v6
	v_cndmask_b32_e32 v2, v4, v7, vcc_lo
	v_xor_b32_e32 v7, v2, v6
	v_lshlrev_b32_e32 v2, 1, v6
	v_sub_nc_u32_e32 v4, v7, v6
	v_lshlrev_b32_e32 v10, 1, v7
	v_mad_u64_u32 v[8:9], null, s27, v4, v[0:1]
	v_sub_nc_u32_e32 v9, v10, v2
	v_ashrrev_i32_e32 v2, 31, v1
	v_or_b32_e32 v10, 1, v9
	v_add_nc_u32_e32 v12, 2, v9
	v_mul_lo_u32 v9, v8, s1
	v_mul_lo_u32 v11, v8, s24
	v_mad_u64_u32 v[13:14], null, s2, v10, v[0:1]
	v_mad_u64_u32 v[14:15], null, s2, v12, v[0:1]
	v_lshlrev_b64 v[15:16], 1, v[1:2]
	v_ashrrev_i32_e32 v10, 31, v9
	v_ashrrev_i32_e32 v12, 31, v11
	v_mul_lo_u32 v8, v13, s1
	v_mul_lo_u32 v13, v13, s24
	;; [unrolled: 1-line block ×3, first 2 shown]
	v_lshlrev_b64 v[21:22], 1, v[9:10]
	v_mul_lo_u32 v19, v14, s24
	v_lshlrev_b64 v[10:11], 1, v[11:12]
	v_add_co_u32 v15, vcc_lo, s10, v15
	v_ashrrev_i32_e32 v9, 31, v8
	v_add_co_ci_u32_e64 v16, null, s11, v16, vcc_lo
	v_ashrrev_i32_e32 v18, 31, v17
	v_add_co_u32 v21, vcc_lo, s14, v21
	v_ashrrev_i32_e32 v14, 31, v13
	v_add_co_ci_u32_e64 v22, null, s15, v22, vcc_lo
	v_lshlrev_b64 v[8:9], 1, v[8:9]
	v_add_co_u32 v23, vcc_lo, s16, v10
	v_ashrrev_i32_e32 v20, 31, v19
	v_add_co_ci_u32_e64 v24, null, s17, v11, vcc_lo
	v_lshlrev_b64 v[10:11], 1, v[17:18]
	v_lshlrev_b64 v[12:13], 1, v[13:14]
	;; [unrolled: 1-line block ×3, first 2 shown]
	v_add_co_u32 v8, vcc_lo, s14, v8
	v_add_co_ci_u32_e64 v9, null, s15, v9, vcc_lo
	v_add_co_u32 v10, vcc_lo, s14, v10
	v_add_co_ci_u32_e64 v11, null, s15, v11, vcc_lo
	;; [unrolled: 2-line block ×4, first 2 shown]
	s_clause 0x2
	global_load_ushort v12, v[21:22], off
	global_load_ushort v8, v[8:9], off
	global_load_ushort v11, v[10:11], off
	s_clause 0x2
	global_load_ushort v13, v[23:24], off
	global_load_ushort v9, v[19:20], off
	;; [unrolled: 1-line block ×4, first 2 shown]
	v_mov_b32_e32 v16, 0
	v_mov_b32_e32 v14, 0
	;; [unrolled: 1-line block ×6, first 2 shown]
	s_andn2_b32 vcc_lo, exec_lo, s22
	s_cbranch_vccnz .LBB44_5
; %bb.4:                                ;   in Loop: Header=BB44_3 Depth=1
	v_sub_nc_u32_e32 v16, v6, v7
	v_mad_u64_u32 v[14:15], null, s29, v4, v[0:1]
	v_mul_lo_u32 v18, s2, v16
	v_add_nc_u32_e32 v16, 2, v16
	v_mul_lo_u32 v15, v14, s20
	v_mul_lo_u32 v17, v14, s21
	v_mad_u64_u32 v[19:20], null, s2, v16, v[0:1]
	v_add3_u32 v21, v18, s2, v0
	v_ashrrev_i32_e32 v16, 31, v15
	v_mul_lo_u32 v14, v21, s20
	v_mul_lo_u32 v20, v19, s20
	;; [unrolled: 1-line block ×4, first 2 shown]
	v_lshlrev_b64 v[26:27], 1, v[15:16]
	v_ashrrev_i32_e32 v18, 31, v17
	v_ashrrev_i32_e32 v15, 31, v14
	v_ashrrev_i32_e32 v21, 31, v20
	v_ashrrev_i32_e32 v23, 31, v22
	v_ashrrev_i32_e32 v25, 31, v24
	v_lshlrev_b64 v[16:17], 1, v[17:18]
	v_lshlrev_b64 v[14:15], 1, v[14:15]
	;; [unrolled: 1-line block ×3, first 2 shown]
	v_add_co_u32 v18, vcc_lo, s6, v26
	v_add_co_ci_u32_e64 v19, null, s7, v27, vcc_lo
	v_lshlrev_b64 v[22:23], 1, v[22:23]
	v_add_co_u32 v14, vcc_lo, s6, v14
	v_add_co_ci_u32_e64 v15, null, s7, v15, vcc_lo
	v_add_co_u32 v20, vcc_lo, s6, v20
	v_lshlrev_b64 v[24:25], 1, v[24:25]
	v_add_co_ci_u32_e64 v21, null, s7, v21, vcc_lo
	v_add_co_u32 v16, vcc_lo, s8, v16
	v_add_co_ci_u32_e64 v17, null, s9, v17, vcc_lo
	v_add_co_u32 v22, vcc_lo, s8, v22
	;; [unrolled: 2-line block ×3, first 2 shown]
	v_add_co_ci_u32_e64 v25, null, s9, v25, vcc_lo
	global_load_ushort v18, v[18:19], off
	global_load_ushort v16, v[16:17], off
	s_clause 0x1
	global_load_ushort v14, v[14:15], off
	global_load_ushort v17, v[20:21], off
	s_clause 0x1
	global_load_ushort v20, v[24:25], off
	global_load_ushort v21, v[22:23], off
	s_waitcnt vmcnt(5)
	v_lshlrev_b32_e32 v19, 16, v18
	s_waitcnt vmcnt(4)
	v_lshlrev_b32_e32 v18, 16, v16
	;; [unrolled: 2-line block ×6, first 2 shown]
.LBB44_5:                               ;   in Loop: Header=BB44_3 Depth=1
	s_waitcnt vmcnt(6)
	v_lshlrev_b32_e32 v12, 16, v12
	s_waitcnt vmcnt(3)
	v_lshlrev_b32_e32 v13, 16, v13
	v_lshlrev_b32_e32 v11, 16, v11
	s_waitcnt vmcnt(1)
	v_lshlrev_b32_e32 v10, 16, v10
	v_add_f32_e32 v12, v12, v13
	v_add_f32_e32 v10, v16, v10
	;; [unrolled: 1-line block ×4, first 2 shown]
	v_mul_f32_e32 v13, 0xbfb8aa3b, v12
	v_cmp_nlt_f32_e32 vcc_lo, 0x42ce8ed0, v12
	v_fma_f32 v18, 0xbfb8aa3b, v12, -v13
	v_rndne_f32_e32 v19, v13
	v_fmac_f32_e32 v18, 0xb2a5705f, v12
	v_sub_f32_e32 v13, v13, v19
	v_add_f32_e32 v13, v13, v18
	v_cvt_i32_f32_e32 v18, v19
	v_exp_f32_e32 v13, v13
	v_ldexp_f32 v13, v13, v18
	v_cndmask_b32_e32 v13, 0, v13, vcc_lo
	v_cmp_ngt_f32_e32 vcc_lo, 0xc2b17218, v12
	v_cndmask_b32_e32 v12, 0x7f800000, v13, vcc_lo
	v_add_f32_e32 v13, 1.0, v12
	v_div_scale_f32 v12, null, v13, v13, 1.0
	v_div_scale_f32 v20, vcc_lo, 1.0, v13, 1.0
	v_rcp_f32_e32 v18, v12
	v_fma_f32 v19, -v12, v18, 1.0
	v_fmac_f32_e32 v18, v19, v18
	v_mul_f32_e32 v19, v20, v18
	v_fma_f32 v21, -v12, v19, v20
	v_fmac_f32_e32 v19, v21, v18
	v_fma_f32 v12, -v12, v19, v20
	v_div_fmas_f32 v18, v12, v18, v19
	v_add_f32_e32 v12, v17, v11
	v_div_fixup_f32 v11, v18, v13, 1.0
                                        ; implicit-def: $vgpr13
	v_fmac_f32_e32 v12, v10, v11
	v_cmp_ngt_f32_e64 s0, 0x3f200000, |v12|
	s_and_saveexec_b32 s34, s0
	s_xor_b32 s0, exec_lo, s34
	s_cbranch_execz .LBB44_7
; %bb.6:                                ;   in Loop: Header=BB44_3 Depth=1
	v_add_f32_e64 v13, |v12|, |v12|
	v_mul_f32_e32 v16, 0x3fb8aa3b, v13
	v_cmp_ngt_f32_e32 vcc_lo, 0xc2ce8ed0, v13
	v_rndne_f32_e32 v17, v16
	v_fma_f32 v18, 0x3fb8aa3b, v13, -v16
	v_sub_f32_e32 v16, v16, v17
	v_fmac_f32_e32 v18, 0x32a5705f, v13
	v_cvt_i32_f32_e32 v17, v17
	v_add_f32_e32 v16, v16, v18
	v_exp_f32_e32 v16, v16
	v_ldexp_f32 v16, v16, v17
	v_cndmask_b32_e32 v16, 0, v16, vcc_lo
	v_cmp_nlt_f32_e32 vcc_lo, 0x42b17218, v13
	v_cndmask_b32_e32 v13, 0x7f800000, v16, vcc_lo
	v_add_f32_e32 v13, 1.0, v13
	v_rcp_f32_e32 v13, v13
	v_fma_f32 v13, v13, -2.0, 1.0
.LBB44_7:                               ;   in Loop: Header=BB44_3 Depth=1
	s_andn2_saveexec_b32 s0, s0
	s_cbranch_execz .LBB44_2
; %bb.8:                                ;   in Loop: Header=BB44_3 Depth=1
	v_mul_f32_e32 v13, v12, v12
	v_fmaak_f32 v16, s33, v13, 0x3ca908c9
	v_fmaak_f32 v16, v13, v16, 0xbd5c1c4e
	;; [unrolled: 1-line block ×4, first 2 shown]
	v_mul_f32_e64 v16, |v12|, v16
	v_fma_f32 v13, v13, v16, |v12|
	s_branch .LBB44_2
.LBB44_9:
	s_endpgm
	.section	.rodata,"a",@progbits
	.p2align	6, 0x0
	.amdhsa_kernel _ZN2at6native12_GLOBAL__N_16kernel16gru_cell_forwardIN3c108BFloat16EfiLi1EEEvNS_4cuda6detail10TensorInfoIT_T1_EESB_SB_SB_SB_SB_SB_SA_SA_
		.amdhsa_group_segment_fixed_size 0
		.amdhsa_private_segment_fixed_size 0
		.amdhsa_kernarg_size 1776
		.amdhsa_user_sgpr_count 6
		.amdhsa_user_sgpr_private_segment_buffer 1
		.amdhsa_user_sgpr_dispatch_ptr 0
		.amdhsa_user_sgpr_queue_ptr 0
		.amdhsa_user_sgpr_kernarg_segment_ptr 1
		.amdhsa_user_sgpr_dispatch_id 0
		.amdhsa_user_sgpr_flat_scratch_init 0
		.amdhsa_user_sgpr_private_segment_size 0
		.amdhsa_wavefront_size32 1
		.amdhsa_uses_dynamic_stack 0
		.amdhsa_system_sgpr_private_segment_wavefront_offset 0
		.amdhsa_system_sgpr_workgroup_id_x 1
		.amdhsa_system_sgpr_workgroup_id_y 0
		.amdhsa_system_sgpr_workgroup_id_z 0
		.amdhsa_system_sgpr_workgroup_info 0
		.amdhsa_system_vgpr_workitem_id 0
		.amdhsa_next_free_vgpr 28
		.amdhsa_next_free_sgpr 35
		.amdhsa_reserve_vcc 1
		.amdhsa_reserve_flat_scratch 0
		.amdhsa_float_round_mode_32 0
		.amdhsa_float_round_mode_16_64 0
		.amdhsa_float_denorm_mode_32 3
		.amdhsa_float_denorm_mode_16_64 3
		.amdhsa_dx10_clamp 1
		.amdhsa_ieee_mode 1
		.amdhsa_fp16_overflow 0
		.amdhsa_workgroup_processor_mode 1
		.amdhsa_memory_ordered 1
		.amdhsa_forward_progress 1
		.amdhsa_shared_vgpr_count 0
		.amdhsa_exception_fp_ieee_invalid_op 0
		.amdhsa_exception_fp_denorm_src 0
		.amdhsa_exception_fp_ieee_div_zero 0
		.amdhsa_exception_fp_ieee_overflow 0
		.amdhsa_exception_fp_ieee_underflow 0
		.amdhsa_exception_fp_ieee_inexact 0
		.amdhsa_exception_int_div_zero 0
	.end_amdhsa_kernel
	.section	.text._ZN2at6native12_GLOBAL__N_16kernel16gru_cell_forwardIN3c108BFloat16EfiLi1EEEvNS_4cuda6detail10TensorInfoIT_T1_EESB_SB_SB_SB_SB_SB_SA_SA_,"axG",@progbits,_ZN2at6native12_GLOBAL__N_16kernel16gru_cell_forwardIN3c108BFloat16EfiLi1EEEvNS_4cuda6detail10TensorInfoIT_T1_EESB_SB_SB_SB_SB_SB_SA_SA_,comdat
.Lfunc_end44:
	.size	_ZN2at6native12_GLOBAL__N_16kernel16gru_cell_forwardIN3c108BFloat16EfiLi1EEEvNS_4cuda6detail10TensorInfoIT_T1_EESB_SB_SB_SB_SB_SB_SA_SA_, .Lfunc_end44-_ZN2at6native12_GLOBAL__N_16kernel16gru_cell_forwardIN3c108BFloat16EfiLi1EEEvNS_4cuda6detail10TensorInfoIT_T1_EESB_SB_SB_SB_SB_SB_SA_SA_
                                        ; -- End function
	.set _ZN2at6native12_GLOBAL__N_16kernel16gru_cell_forwardIN3c108BFloat16EfiLi1EEEvNS_4cuda6detail10TensorInfoIT_T1_EESB_SB_SB_SB_SB_SB_SA_SA_.num_vgpr, 28
	.set _ZN2at6native12_GLOBAL__N_16kernel16gru_cell_forwardIN3c108BFloat16EfiLi1EEEvNS_4cuda6detail10TensorInfoIT_T1_EESB_SB_SB_SB_SB_SB_SA_SA_.num_agpr, 0
	.set _ZN2at6native12_GLOBAL__N_16kernel16gru_cell_forwardIN3c108BFloat16EfiLi1EEEvNS_4cuda6detail10TensorInfoIT_T1_EESB_SB_SB_SB_SB_SB_SA_SA_.numbered_sgpr, 35
	.set _ZN2at6native12_GLOBAL__N_16kernel16gru_cell_forwardIN3c108BFloat16EfiLi1EEEvNS_4cuda6detail10TensorInfoIT_T1_EESB_SB_SB_SB_SB_SB_SA_SA_.num_named_barrier, 0
	.set _ZN2at6native12_GLOBAL__N_16kernel16gru_cell_forwardIN3c108BFloat16EfiLi1EEEvNS_4cuda6detail10TensorInfoIT_T1_EESB_SB_SB_SB_SB_SB_SA_SA_.private_seg_size, 0
	.set _ZN2at6native12_GLOBAL__N_16kernel16gru_cell_forwardIN3c108BFloat16EfiLi1EEEvNS_4cuda6detail10TensorInfoIT_T1_EESB_SB_SB_SB_SB_SB_SA_SA_.uses_vcc, 1
	.set _ZN2at6native12_GLOBAL__N_16kernel16gru_cell_forwardIN3c108BFloat16EfiLi1EEEvNS_4cuda6detail10TensorInfoIT_T1_EESB_SB_SB_SB_SB_SB_SA_SA_.uses_flat_scratch, 0
	.set _ZN2at6native12_GLOBAL__N_16kernel16gru_cell_forwardIN3c108BFloat16EfiLi1EEEvNS_4cuda6detail10TensorInfoIT_T1_EESB_SB_SB_SB_SB_SB_SA_SA_.has_dyn_sized_stack, 0
	.set _ZN2at6native12_GLOBAL__N_16kernel16gru_cell_forwardIN3c108BFloat16EfiLi1EEEvNS_4cuda6detail10TensorInfoIT_T1_EESB_SB_SB_SB_SB_SB_SA_SA_.has_recursion, 0
	.set _ZN2at6native12_GLOBAL__N_16kernel16gru_cell_forwardIN3c108BFloat16EfiLi1EEEvNS_4cuda6detail10TensorInfoIT_T1_EESB_SB_SB_SB_SB_SB_SA_SA_.has_indirect_call, 0
	.section	.AMDGPU.csdata,"",@progbits
; Kernel info:
; codeLenInByte = 2324
; TotalNumSgprs: 37
; NumVgprs: 28
; ScratchSize: 0
; MemoryBound: 0
; FloatMode: 240
; IeeeMode: 1
; LDSByteSize: 0 bytes/workgroup (compile time only)
; SGPRBlocks: 0
; VGPRBlocks: 3
; NumSGPRsForWavesPerEU: 37
; NumVGPRsForWavesPerEU: 28
; Occupancy: 16
; WaveLimiterHint : 1
; COMPUTE_PGM_RSRC2:SCRATCH_EN: 0
; COMPUTE_PGM_RSRC2:USER_SGPR: 6
; COMPUTE_PGM_RSRC2:TRAP_HANDLER: 0
; COMPUTE_PGM_RSRC2:TGID_X_EN: 1
; COMPUTE_PGM_RSRC2:TGID_Y_EN: 0
; COMPUTE_PGM_RSRC2:TGID_Z_EN: 0
; COMPUTE_PGM_RSRC2:TIDIG_COMP_CNT: 0
	.section	.text._ZN2at6native12_GLOBAL__N_16kernel16gru_cell_forwardIN3c108BFloat16EfiLi2EEEvNS_4cuda6detail10TensorInfoIT_T1_EESB_SB_SB_SB_SB_SB_SA_SA_,"axG",@progbits,_ZN2at6native12_GLOBAL__N_16kernel16gru_cell_forwardIN3c108BFloat16EfiLi2EEEvNS_4cuda6detail10TensorInfoIT_T1_EESB_SB_SB_SB_SB_SB_SA_SA_,comdat
	.globl	_ZN2at6native12_GLOBAL__N_16kernel16gru_cell_forwardIN3c108BFloat16EfiLi2EEEvNS_4cuda6detail10TensorInfoIT_T1_EESB_SB_SB_SB_SB_SB_SA_SA_ ; -- Begin function _ZN2at6native12_GLOBAL__N_16kernel16gru_cell_forwardIN3c108BFloat16EfiLi2EEEvNS_4cuda6detail10TensorInfoIT_T1_EESB_SB_SB_SB_SB_SB_SA_SA_
	.p2align	8
	.type	_ZN2at6native12_GLOBAL__N_16kernel16gru_cell_forwardIN3c108BFloat16EfiLi2EEEvNS_4cuda6detail10TensorInfoIT_T1_EESB_SB_SB_SB_SB_SB_SA_SA_,@function
_ZN2at6native12_GLOBAL__N_16kernel16gru_cell_forwardIN3c108BFloat16EfiLi2EEEvNS_4cuda6detail10TensorInfoIT_T1_EESB_SB_SB_SB_SB_SB_SA_SA_: ; @_ZN2at6native12_GLOBAL__N_16kernel16gru_cell_forwardIN3c108BFloat16EfiLi2EEEvNS_4cuda6detail10TensorInfoIT_T1_EESB_SB_SB_SB_SB_SB_SA_SA_
; %bb.0:
	s_clause 0x1
	s_load_dword s2, s[4:5], 0x5fc
	s_load_dwordx2 s[8:9], s[4:5], 0x5e8
	s_add_u32 s0, s4, 0x5f0
	s_addc_u32 s1, s5, 0
	s_mov_b32 s3, exec_lo
	s_waitcnt lgkmcnt(0)
	s_and_b32 s2, s2, 0xffff
	v_mad_u64_u32 v[0:1], null, s6, s2, v[0:1]
	v_cmpx_gt_i32_e64 s9, v0
	s_cbranch_execz .LBB45_9
; %bb.1:
	s_clause 0x2
	s_load_dwordx2 s[6:7], s[4:5], 0x1b0
	s_load_dword s3, s[4:5], 0xc
	s_load_dword s30, s[4:5], 0xe4
	;; [unrolled: 1-line block ×3, first 2 shown]
	s_clause 0xf
	s_load_dwordx2 s[10:11], s[4:5], 0x288
	s_load_dword s31, s[4:5], 0x2f4
	s_load_dwordx2 s[12:13], s[4:5], 0x360
	s_load_dword s0, s[4:5], 0x36c
	s_load_dwordx2 s[14:15], s[4:5], 0x0
	s_load_dwordx2 s[16:17], s[4:5], 0x6c
	;; [unrolled: 1-line block ×3, first 2 shown]
	s_load_dword s1, s[4:5], 0x444
	s_load_dword s33, s[4:5], 0x51c
	s_load_dwordx2 s[20:21], s[4:5], 0x144
	s_load_dword s34, s[4:5], 0x21c
	s_load_dwordx2 s[22:23], s[4:5], 0x3cc
	s_load_dwordx2 s[24:25], s[4:5], 0x438
	;; [unrolled: 1-line block ×5, first 2 shown]
	s_mov_b32 s55, 0xbbbac73d
	s_waitcnt lgkmcnt(0)
	s_cmp_lg_u64 s[6:7], 0
	s_cselect_b32 s35, -1, 0
	s_abs_i32 s36, s8
	s_abs_i32 s39, s3
	v_cvt_f32_u32_e32 v1, s36
	v_cvt_f32_u32_e32 v2, s39
	s_abs_i32 s41, s0
	s_abs_i32 s40, s30
	v_cvt_f32_u32_e32 v4, s41
	v_rcp_iflag_f32_e32 v1, v1
	v_rcp_iflag_f32_e32 v2, v2
	s_abs_i32 s42, s1
	s_abs_i32 s43, s33
	v_cvt_f32_u32_e32 v3, s40
	v_cvt_f32_u32_e32 v5, s42
	;; [unrolled: 1-line block ×3, first 2 shown]
	v_rcp_iflag_f32_e32 v4, v4
	s_mul_i32 s37, s37, s2
	v_rcp_iflag_f32_e32 v3, v3
	v_rcp_iflag_f32_e32 v5, v5
	;; [unrolled: 1-line block ×3, first 2 shown]
	v_mul_f32_e32 v1, 0x4f7ffffe, v1
	v_mul_f32_e32 v2, 0x4f7ffffe, v2
	s_sub_i32 s2, 0, s36
	s_sub_i32 s44, 0, s39
	s_sub_i32 s45, 0, s40
	v_cvt_u32_f32_e32 v1, v1
	v_cvt_u32_f32_e32 v2, v2
	v_mul_f32_e32 v4, 0x4f7ffffe, v4
	v_mul_f32_e32 v3, 0x4f7ffffe, v3
	v_mul_f32_e32 v5, 0x4f7ffffe, v5
	v_mul_f32_e32 v6, 0x4f7ffffe, v6
	v_mul_lo_u32 v7, s2, v1
	v_mul_lo_u32 v8, s44, v2
	v_cvt_u32_f32_e32 v4, v4
	v_cvt_u32_f32_e32 v3, v3
	v_cvt_u32_f32_e32 v5, v5
	v_cvt_u32_f32_e32 v6, v6
	s_sub_i32 s2, 0, s41
	s_sub_i32 s44, 0, s42
	v_mul_lo_u32 v10, s2, v4
	s_sub_i32 s2, 0, s43
	v_mul_lo_u32 v9, s45, v3
	v_mul_hi_u32 v7, v1, v7
	v_mul_lo_u32 v11, s44, v5
	v_mul_hi_u32 v8, v2, v8
	v_mul_lo_u32 v12, s2, v6
	s_ashr_i32 s38, s8, 31
	s_mov_b32 s44, 0
	s_ashr_i32 s45, s3, 31
	v_mul_hi_u32 v9, v3, v9
	v_add_nc_u32_e32 v1, v1, v7
	v_mul_hi_u32 v7, v4, v10
	v_mul_hi_u32 v10, v5, v11
	v_add_nc_u32_e32 v2, v2, v8
	v_mul_hi_u32 v8, v6, v12
	s_ashr_i32 s46, s30, 31
	s_ashr_i32 s47, s0, 31
	v_add_nc_u32_e32 v3, v3, v9
	s_ashr_i32 s48, s1, 31
	v_add_nc_u32_e32 v4, v4, v7
	v_add_nc_u32_e32 v5, v5, v10
	s_ashr_i32 s49, s33, 31
	v_add_nc_u32_e32 v6, v6, v8
	s_lshl_b32 s50, s8, 1
	s_lshl_b32 s51, s8, 2
	s_sub_i32 s52, 0, s8
	s_sub_i32 s53, 0, s0
	;; [unrolled: 1-line block ×3, first 2 shown]
	s_branch .LBB45_3
.LBB45_2:                               ;   in Loop: Header=BB45_3 Depth=1
	s_or_b32 exec_lo, exec_lo, s0
	v_lshlrev_b32_e32 v16, 16, v16
	v_lshlrev_b32_e32 v17, 16, v17
	v_bfe_u32 v21, v14, 16, 1
	v_bfi_b32 v19, 0x7fffffff, v20, v19
	s_waitcnt vmcnt(0)
	v_lshlrev_b32_e32 v20, 16, v9
	v_mul_lo_u32 v13, s51, v13
	v_add_f32_e32 v16, v16, v17
	v_mul_hi_u32 v17, v7, v5
	v_lshlrev_b32_e32 v11, 2, v11
	v_lshlrev_b32_e32 v10, 2, v10
	v_cmp_o_f32_e32 vcc_lo, v14, v14
	v_add_f32_e32 v16, v16, v18
	v_sub_f32_e32 v18, v20, v19
	v_xor_b32_e32 v8, s48, v8
	v_sub_nc_u32_e32 v10, v11, v10
	v_mul_lo_u32 v20, v17, s42
	v_add_f32_e32 v15, v15, v16
	v_add3_u32 v16, v14, v21, 0x7fff
	v_add_nc_u32_e32 v11, v0, v13
	v_add_nc_u32_e32 v22, 1, v17
	v_or_b32_e32 v23, 1, v10
	v_mul_f32_e32 v21, 0xbfb8aa3b, v15
	v_lshrrev_b32_e32 v16, 16, v16
	v_sub_nc_u32_e32 v7, v7, v20
	v_ashrrev_i32_e32 v11, 31, v11
	v_or_b32_e32 v24, 2, v10
	v_fma_f32 v25, 0xbfb8aa3b, v15, -v21
	v_rndne_f32_e32 v26, v21
	v_cndmask_b32_e32 v14, 0x7fc0, v16, vcc_lo
	v_cmp_le_u32_e32 vcc_lo, s42, v7
	v_or_b32_e32 v27, 3, v10
	v_fmac_f32_e32 v25, 0xb2a5705f, v15
	v_sub_f32_e32 v21, v21, v26
	v_cvt_i32_f32_e32 v26, v26
	v_cndmask_b32_e32 v17, v17, v22, vcc_lo
	v_subrev_nc_u32_e32 v22, s42, v7
	v_add_nc_u32_e32 v10, 4, v10
	v_add_f32_e32 v21, v21, v25
	v_add3_u32 v25, v11, v13, v0
	v_mul_lo_u32 v16, s8, v23
	v_cndmask_b32_e32 v7, v7, v22, vcc_lo
	v_cmp_nlt_f32_e32 vcc_lo, 0x42ce8ed0, v15
	v_exp_f32_e32 v21, v21
	v_mul_lo_u32 v20, s8, v10
	v_xor_b32_e32 v10, s49, v11
	v_xor_b32_e32 v11, v25, v11
	v_mul_lo_u32 v23, s8, v24
	v_mul_lo_u32 v24, s8, v27
	v_add_nc_u32_e32 v22, 1, v17
	v_add_nc_u32_e32 v25, v0, v16
	v_mul_hi_u32 v29, v11, v6
	v_ldexp_f32 v21, v21, v26
	v_add_nc_u32_e32 v26, v0, v20
	v_add_nc_u32_e32 v27, v0, v23
	;; [unrolled: 1-line block ×3, first 2 shown]
	v_ashrrev_i32_e32 v25, 31, v25
	v_cndmask_b32_e32 v21, 0, v21, vcc_lo
	v_cmp_ngt_f32_e32 vcc_lo, 0xc2b17218, v15
	v_ashrrev_i32_e32 v27, 31, v27
	v_add_nc_u32_e32 v34, 1, v29
	v_ashrrev_i32_e32 v26, 31, v26
	v_cndmask_b32_e32 v15, 0x7f800000, v21, vcc_lo
	v_cmp_le_u32_e32 vcc_lo, s42, v7
	v_ashrrev_i32_e32 v21, 31, v28
	v_add3_u32 v28, v25, v16, v0
	v_add3_u32 v31, v27, v23, v0
	v_add_f32_e32 v15, 1.0, v15
	v_cndmask_b32_e32 v7, v17, v22, vcc_lo
	v_mul_lo_u32 v17, v29, s43
	v_xor_b32_e32 v22, s49, v25
	v_xor_b32_e32 v25, v28, v25
	v_div_scale_f32 v30, null, v15, v15, 1.0
	v_xor_b32_e32 v28, v31, v27
	v_xor_b32_e32 v7, v7, v8
	v_add3_u32 v32, v21, v24, v0
	v_sub_nc_u32_e32 v11, v11, v17
	v_rcp_f32_e32 v17, v30
	v_mul_hi_u32 v37, v28, v6
	v_add3_u32 v33, v26, v20, v0
	v_xor_b32_e32 v32, v32, v21
	v_subrev_nc_u32_e32 v31, s43, v11
	v_cmp_le_u32_e32 vcc_lo, s43, v11
	v_xor_b32_e32 v27, s49, v27
	v_xor_b32_e32 v33, v33, v26
	v_mul_hi_u32 v38, v32, v6
	v_xor_b32_e32 v21, s49, v21
	v_cndmask_b32_e32 v29, v29, v34, vcc_lo
	v_fma_f32 v35, -v30, v17, 1.0
	v_cndmask_b32_e32 v11, v11, v31, vcc_lo
	v_div_scale_f32 v36, vcc_lo, 1.0, v15, 1.0
	v_add_nc_u32_e32 v31, 1, v29
	v_fmac_f32_e32 v17, v35, v17
	v_cmp_le_u32_e64 s0, s43, v11
	v_mul_hi_u32 v34, v25, v6
	v_sub_nc_u32_e32 v35, v7, v8
	v_mul_hi_u32 v39, v33, v6
	v_cndmask_b32_e64 v11, v29, v31, s0
	v_mul_f32_e32 v29, v36, v17
	v_mad_u64_u32 v[7:8], null, s54, v35, v[0:1]
	v_mul_lo_u32 v8, v34, s43
	v_xor_b32_e32 v11, v11, v10
	v_fma_f32 v31, -v30, v29, v36
	v_sub_nc_u32_e32 v11, v11, v10
	v_fmac_f32_e32 v29, v31, v17
	v_sub_nc_u32_e32 v10, v25, v8
	v_mul_lo_u32 v7, v7, s27
	v_add_nc_u32_e32 v8, 1, v34
	v_mul_lo_u32 v25, v11, s33
	v_fma_f32 v30, -v30, v29, v36
	v_cmp_le_u32_e64 s0, s43, v10
	v_div_fmas_f32 v17, v30, v17, v29
	v_subrev_nc_u32_e32 v29, s43, v10
	v_cndmask_b32_e64 v31, v34, v8, s0
	v_mad_u64_u32 v[7:8], null, v35, s26, v[7:8]
	v_sub_nc_u32_e32 v8, v13, v25
	v_div_fixup_f32 v13, v17, v15, 1.0
	v_cndmask_b32_e64 v10, v10, v29, s0
	v_add_nc_u32_e32 v15, 1, v31
	v_mul_lo_u32 v17, v37, s43
	v_add_nc_u32_e32 v25, v0, v8
	v_fma_f32 v18, v13, v18, v19
	v_cmp_le_u32_e32 vcc_lo, s43, v10
	v_ashrrev_i32_e32 v8, 31, v7
	v_add_nc_u32_e32 v29, 1, v37
	v_mul_lo_u32 v10, v25, s5
	v_bfe_u32 v30, v18, 16, 1
	v_cndmask_b32_e32 v15, v31, v15, vcc_lo
	v_lshlrev_b64 v[7:8], 1, v[7:8]
	v_sub_nc_u32_e32 v17, v28, v17
	v_mul_lo_u32 v25, v38, s43
	v_add3_u32 v28, v18, v30, 0x7fff
	v_xor_b32_e32 v15, v15, v22
	v_mad_u64_u32 v[10:11], null, v11, s4, v[10:11]
	v_add_co_u32 v7, vcc_lo, s24, v7
	v_lshrrev_b32_e32 v11, 16, v28
	v_add_co_ci_u32_e64 v8, null, s25, v8, vcc_lo
	v_cmp_o_f32_e32 vcc_lo, v18, v18
	v_sub_nc_u32_e32 v15, v15, v22
	v_cndmask_b32_e32 v18, 0x7fc0, v11, vcc_lo
	v_cmp_le_u32_e32 vcc_lo, s43, v17
	v_mul_lo_u32 v22, v15, s33
	v_ashrrev_i32_e32 v11, 31, v10
	global_store_short v[7:8], v18, off
	v_cndmask_b32_e32 v28, v37, v29, vcc_lo
	v_subrev_nc_u32_e32 v29, s43, v17
	v_sub_nc_u32_e32 v7, v32, v25
	v_mul_lo_u32 v25, v39, s43
	v_sub_nc_u32_e32 v8, v16, v22
	v_add_nc_u32_e32 v18, 1, v28
	v_cndmask_b32_e32 v16, v17, v29, vcc_lo
	v_add_nc_u32_e32 v17, 1, v38
	v_subrev_nc_u32_e32 v22, s43, v7
	v_cmp_le_u32_e32 vcc_lo, s43, v7
	v_cmp_le_u32_e64 s0, s43, v16
	v_cndmask_b32_e32 v17, v38, v17, vcc_lo
	v_cndmask_b32_e32 v7, v7, v22, vcc_lo
	v_cndmask_b32_e64 v16, v28, v18, s0
	v_sub_nc_u32_e32 v22, v33, v25
	v_add_nc_u32_e32 v25, 1, v39
	v_add_nc_u32_e32 v18, 1, v17
	v_cmp_le_u32_e32 vcc_lo, s43, v7
	v_xor_b32_e32 v16, v16, v27
	v_cndmask_b32_e32 v7, v17, v18, vcc_lo
	v_subrev_nc_u32_e32 v17, s43, v22
	v_cmp_le_u32_e32 vcc_lo, s43, v22
	v_sub_nc_u32_e32 v16, v16, v27
	v_xor_b32_e32 v7, v7, v21
	v_cndmask_b32_e32 v18, v39, v25, vcc_lo
	v_add_nc_u32_e32 v25, v0, v8
	v_cndmask_b32_e32 v8, v22, v17, vcc_lo
	v_sub_nc_u32_e32 v21, v7, v21
	v_xor_b32_e32 v22, s49, v26
	v_add_nc_u32_e32 v17, 1, v18
	v_bfe_u32 v26, v13, 16, 1
	v_cmp_le_u32_e32 vcc_lo, s43, v8
	v_lshlrev_b64 v[7:8], 1, v[10:11]
	v_mul_lo_u32 v10, v25, s5
	v_mul_lo_u32 v25, v21, s33
	v_cndmask_b32_e32 v17, v18, v17, vcc_lo
	v_mul_lo_u32 v18, v16, s33
	v_add_co_u32 v7, vcc_lo, s28, v7
	v_add_co_ci_u32_e64 v8, null, s29, v8, vcc_lo
	v_xor_b32_e32 v17, v17, v22
	v_mad_u64_u32 v[10:11], null, v15, s4, v[10:11]
	v_sub_nc_u32_e32 v11, v23, v18
	global_store_short v[7:8], v14, off
	v_sub_nc_u32_e32 v15, v17, v22
	v_sub_nc_u32_e32 v17, v24, v25
	v_add3_u32 v18, v13, v26, 0x7fff
	v_add_nc_u32_e32 v7, v0, v11
	v_cmp_o_f32_e32 vcc_lo, v13, v13
	v_mul_lo_u32 v14, v15, s33
	v_add_nc_u32_e32 v8, v0, v17
	v_ashrrev_i32_e32 v11, 31, v10
	v_mul_lo_u32 v7, v7, s5
	v_lshrrev_b32_e32 v17, 16, v18
	v_bfe_u32 v18, v19, 16, 1
	v_mul_lo_u32 v8, v8, s5
	v_lshlrev_b64 v[10:11], 1, v[10:11]
	v_sub_nc_u32_e32 v14, v20, v14
	v_cndmask_b32_e32 v17, 0x7fc0, v17, vcc_lo
	v_add3_u32 v18, v19, v18, 0x7fff
	v_add_nc_u32_e32 v20, v0, v14
	v_mad_u64_u32 v[13:14], null, v16, s4, v[7:8]
	v_mad_u64_u32 v[7:8], null, v21, s4, v[8:9]
	v_mul_lo_u32 v8, v20, s5
	v_add_co_u32 v10, vcc_lo, s28, v10
	v_add_co_ci_u32_e64 v11, null, s29, v11, vcc_lo
	v_ashrrev_i32_e32 v14, 31, v13
	v_lshrrev_b32_e32 v18, 16, v18
	v_cmp_o_f32_e32 vcc_lo, v19, v19
	v_mad_u64_u32 v[15:16], null, v15, s4, v[8:9]
	v_ashrrev_i32_e32 v8, 31, v7
	v_bfe_u32 v16, v12, 16, 1
	v_lshlrev_b64 v[13:14], 1, v[13:14]
	v_cndmask_b32_e32 v18, 0x7fc0, v18, vcc_lo
	v_add_nc_u32_e32 v0, s37, v0
	v_lshlrev_b64 v[7:8], 1, v[7:8]
	v_add3_u32 v19, v12, v16, 0x7fff
	v_ashrrev_i32_e32 v16, 31, v15
	v_add_co_u32 v13, vcc_lo, s28, v13
	v_add_co_ci_u32_e64 v14, null, s29, v14, vcc_lo
	v_add_co_u32 v7, vcc_lo, s28, v7
	v_lshrrev_b32_e32 v19, 16, v19
	v_lshlrev_b64 v[15:16], 1, v[15:16]
	v_add_co_ci_u32_e64 v8, null, s29, v8, vcc_lo
	v_cmp_o_f32_e32 vcc_lo, v12, v12
	global_store_short v[10:11], v17, off
	global_store_short v[13:14], v18, off
	v_add_co_u32 v15, s0, s28, v15
	v_cndmask_b32_e32 v12, 0x7fc0, v19, vcc_lo
	v_cmp_le_i32_e32 vcc_lo, s9, v0
	v_add_co_ci_u32_e64 v16, null, s29, v16, s0
	global_store_short v[7:8], v9, off
	global_store_short v[15:16], v12, off
	s_or_b32 s44, vcc_lo, s44
	s_andn2_b32 exec_lo, exec_lo, s44
	s_cbranch_execz .LBB45_9
.LBB45_3:                               ; =>This Inner Loop Header: Depth=1
	v_sub_nc_u32_e32 v7, 0, v0
	v_max_i32_e32 v7, v0, v7
	v_mul_hi_u32 v8, v7, v1
	v_mul_hi_u32 v14, v7, v4
	v_mul_lo_u32 v9, v8, s36
	v_add_nc_u32_e32 v10, 1, v8
	v_add_nc_u32_e32 v16, 1, v14
	v_sub_nc_u32_e32 v9, v7, v9
	v_subrev_nc_u32_e32 v11, s36, v9
	v_cmp_le_u32_e32 vcc_lo, s36, v9
	v_cndmask_b32_e32 v12, v8, v10, vcc_lo
	v_cndmask_b32_e32 v9, v9, v11, vcc_lo
	v_ashrrev_i32_e32 v8, 31, v0
	v_add_nc_u32_e32 v11, 1, v12
	v_cmp_le_u32_e32 vcc_lo, s36, v9
	v_xor_b32_e32 v10, s38, v8
	v_xor_b32_e32 v19, s47, v8
	v_cndmask_b32_e32 v9, v12, v11, vcc_lo
	v_mul_lo_u32 v12, v14, s41
	v_xor_b32_e32 v11, v9, v10
	v_lshlrev_b32_e32 v9, 1, v10
	v_sub_nc_u32_e32 v12, v7, v12
	v_sub_nc_u32_e32 v13, v11, v10
	v_lshlrev_b32_e32 v15, 1, v11
	v_cmp_le_u32_e32 vcc_lo, s41, v12
	v_mul_lo_u32 v18, s50, v13
	v_sub_nc_u32_e32 v9, v15, v9
	v_subrev_nc_u32_e32 v17, s41, v12
	v_cndmask_b32_e32 v14, v14, v16, vcc_lo
	v_or_b32_e32 v15, 1, v9
	v_add_nc_u32_e32 v9, 2, v9
	v_add_nc_u32_e32 v16, v0, v18
	v_cndmask_b32_e32 v12, v12, v17, vcc_lo
	v_add_nc_u32_e32 v17, 1, v14
	v_mul_lo_u32 v15, s8, v15
	v_mul_lo_u32 v20, s8, v9
	v_ashrrev_i32_e32 v16, 31, v16
	v_cmp_le_u32_e32 vcc_lo, s41, v12
	v_add3_u32 v12, v16, v18, v0
	v_cndmask_b32_e32 v9, v14, v17, vcc_lo
	v_add_nc_u32_e32 v14, v0, v15
	v_add_nc_u32_e32 v17, v0, v20
	v_xor_b32_e32 v21, s45, v16
	v_xor_b32_e32 v12, v12, v16
	;; [unrolled: 1-line block ×3, first 2 shown]
	v_ashrrev_i32_e32 v14, 31, v14
	v_ashrrev_i32_e32 v17, 31, v17
	v_xor_b32_e32 v9, v9, v19
	v_mul_hi_u32 v22, v12, v2
	v_mul_hi_u32 v25, v12, v3
	v_add3_u32 v24, v14, v15, v0
	v_add3_u32 v26, v17, v20, v0
	v_xor_b32_e32 v23, s45, v14
	v_xor_b32_e32 v27, s45, v17
	;; [unrolled: 1-line block ×6, first 2 shown]
	v_mul_lo_u32 v26, v22, s39
	v_mul_lo_u32 v29, v25, s40
	v_mul_hi_u32 v30, v14, v2
	v_add_nc_u32_e32 v31, 1, v22
	v_mul_hi_u32 v32, v17, v2
	v_add_nc_u32_e32 v33, 1, v25
	v_mul_hi_u32 v34, v14, v3
	v_mul_hi_u32 v35, v17, v3
	v_sub_nc_u32_e32 v26, v12, v26
	v_sub_nc_u32_e32 v12, v12, v29
	v_mul_lo_u32 v29, v30, s39
	v_add_nc_u32_e32 v36, 1, v30
	v_mul_lo_u32 v37, v32, s39
	v_subrev_nc_u32_e32 v43, s39, v26
	v_cmp_le_u32_e32 vcc_lo, s39, v26
	v_cmp_le_u32_e64 s0, s40, v12
	v_mul_lo_u32 v39, v34, s40
	v_mul_lo_u32 v41, v35, s40
	v_sub_nc_u32_e32 v29, v14, v29
	v_cndmask_b32_e32 v22, v22, v31, vcc_lo
	v_cndmask_b32_e32 v26, v26, v43, vcc_lo
	v_cndmask_b32_e64 v25, v25, v33, s0
	v_subrev_nc_u32_e32 v31, s40, v12
	v_sub_nc_u32_e32 v37, v17, v37
	v_add_nc_u32_e32 v33, 1, v22
	v_cmp_le_u32_e32 vcc_lo, s39, v26
	v_add_nc_u32_e32 v38, 1, v32
	v_cndmask_b32_e64 v12, v12, v31, s0
	v_add_nc_u32_e32 v31, 1, v25
	v_sub_nc_u32_e32 v14, v14, v39
	v_cndmask_b32_e32 v22, v22, v33, vcc_lo
	v_cmp_le_u32_e32 vcc_lo, s39, v29
	v_sub_nc_u32_e32 v17, v17, v41
	v_cmp_le_u32_e64 s0, s39, v37
	v_subrev_nc_u32_e32 v33, s39, v37
	v_cmp_le_u32_e64 s1, s40, v12
	v_cndmask_b32_e32 v26, v30, v36, vcc_lo
	v_subrev_nc_u32_e32 v30, s39, v29
	v_add_nc_u32_e32 v40, 1, v34
	v_add_nc_u32_e32 v42, 1, v35
	v_cndmask_b32_e64 v32, v32, v38, s0
	v_cndmask_b32_e64 v12, v25, v31, s1
	v_cndmask_b32_e32 v29, v29, v30, vcc_lo
	v_cmp_le_u32_e64 s1, s40, v14
	v_subrev_nc_u32_e32 v31, s40, v14
	v_cmp_le_u32_e64 s2, s40, v17
	v_xor_b32_e32 v22, v22, v21
	v_add_nc_u32_e32 v30, 1, v26
	v_cndmask_b32_e64 v33, v37, v33, s0
	v_cmp_le_u32_e32 vcc_lo, s39, v29
	v_cndmask_b32_e64 v25, v34, v40, s1
	v_cndmask_b32_e64 v34, v35, v42, s2
	v_subrev_nc_u32_e32 v35, s40, v17
	v_add_nc_u32_e32 v36, 1, v32
	v_cndmask_b32_e64 v14, v14, v31, s1
	v_sub_nc_u32_e32 v21, v22, v21
	v_cndmask_b32_e32 v22, v26, v30, vcc_lo
	v_cmp_le_u32_e32 vcc_lo, s39, v33
	v_xor_b32_e32 v12, v12, v16
	v_add_nc_u32_e32 v31, 1, v25
	v_cndmask_b32_e64 v17, v17, v35, s2
	v_add_nc_u32_e32 v35, 1, v34
	v_cndmask_b32_e32 v26, v32, v36, vcc_lo
	v_cmp_le_u32_e32 vcc_lo, s40, v14
	v_sub_nc_u32_e32 v29, v12, v16
	v_xor_b32_e32 v16, v22, v23
	v_sub_nc_u32_e32 v30, v9, v19
	v_xor_b32_e32 v22, v26, v27
	v_cndmask_b32_e32 v12, v25, v31, vcc_lo
	v_cmp_le_u32_e32 vcc_lo, s40, v17
	v_mul_lo_u32 v17, v21, s3
	v_sub_nc_u32_e32 v23, v16, v23
	v_mul_lo_u32 v25, v29, s30
	v_xor_b32_e32 v12, v12, v28
	v_cndmask_b32_e32 v14, v34, v35, vcc_lo
	v_sub_nc_u32_e32 v22, v22, v27
	v_mul_lo_u32 v16, v23, s3
	v_sub_nc_u32_e32 v26, v12, v28
	v_xor_b32_e32 v14, v14, v24
	v_sub_nc_u32_e32 v12, v18, v17
	v_mul_lo_u32 v17, v22, s3
	v_sub_nc_u32_e32 v28, v14, v24
	v_sub_nc_u32_e32 v14, v18, v25
	v_mul_lo_u32 v18, v26, s30
	v_add_nc_u32_e32 v12, v0, v12
	v_sub_nc_u32_e32 v16, v15, v16
	v_mul_lo_u32 v19, v28, s30
	v_add_nc_u32_e32 v14, v0, v14
	v_sub_nc_u32_e32 v17, v20, v17
	v_mul_lo_u32 v9, v12, s17
	v_add_nc_u32_e32 v16, v0, v16
	v_sub_nc_u32_e32 v15, v15, v18
	v_mul_lo_u32 v12, v14, s21
	v_add_nc_u32_e32 v17, v0, v17
	v_sub_nc_u32_e32 v18, v20, v19
	v_mul_lo_u32 v14, v16, s17
	v_add_nc_u32_e32 v19, v0, v15
	v_mad_u64_u32 v[15:16], null, v21, s16, v[9:10]
	v_add_nc_u32_e32 v25, v0, v18
	v_mul_lo_u32 v9, v17, s17
	v_mad_u64_u32 v[17:18], null, v29, s20, v[12:13]
	v_mul_lo_u32 v12, v19, s21
	v_mad_u64_u32 v[19:20], null, v23, s16, v[14:15]
	v_ashrrev_i32_e32 v16, 31, v15
	v_mad_u64_u32 v[23:24], null, s53, v30, v[0:1]
	v_mad_u64_u32 v[21:22], null, v22, s16, v[9:10]
	v_lshlrev_b64 v[14:15], 1, v[15:16]
	v_ashrrev_i32_e32 v20, 31, v19
	v_mul_lo_u32 v9, v25, s21
	v_mad_u64_u32 v[24:25], null, v26, s20, v[12:13]
	v_mul_lo_u32 v12, v23, s23
	v_lshlrev_b64 v[19:20], 1, v[19:20]
	v_add_co_u32 v14, vcc_lo, s14, v14
	v_ashrrev_i32_e32 v22, 31, v21
	v_add_co_ci_u32_e64 v15, null, s15, v15, vcc_lo
	v_add_co_u32 v26, vcc_lo, s14, v19
	v_ashrrev_i32_e32 v18, 31, v17
	v_add_co_ci_u32_e64 v27, null, s15, v20, vcc_lo
	v_mad_u64_u32 v[19:20], null, v28, s20, v[9:10]
	v_mad_u64_u32 v[28:29], null, v30, s22, v[12:13]
	v_lshlrev_b64 v[21:22], 1, v[21:22]
	v_lshlrev_b64 v[16:17], 1, v[17:18]
	v_ashrrev_i32_e32 v25, 31, v24
	v_ashrrev_i32_e32 v20, 31, v19
	v_add_co_u32 v21, vcc_lo, s14, v21
	v_ashrrev_i32_e32 v29, 31, v28
	v_add_co_ci_u32_e64 v22, null, s15, v22, vcc_lo
	v_lshlrev_b64 v[23:24], 1, v[24:25]
	v_add_co_u32 v30, vcc_lo, s18, v16
	v_add_co_ci_u32_e64 v31, null, s19, v17, vcc_lo
	v_lshlrev_b64 v[16:17], 1, v[19:20]
	v_lshlrev_b64 v[18:19], 1, v[28:29]
	v_add_co_u32 v23, vcc_lo, s18, v23
	v_add_co_ci_u32_e64 v24, null, s19, v24, vcc_lo
	v_add_co_u32 v28, vcc_lo, s18, v16
	v_add_co_ci_u32_e64 v29, null, s19, v17, vcc_lo
	;; [unrolled: 2-line block ×3, first 2 shown]
	s_clause 0x2
	global_load_ushort v19, v[14:15], off
	global_load_ushort v16, v[26:27], off
	;; [unrolled: 1-line block ×3, first 2 shown]
	s_clause 0x2
	global_load_ushort v20, v[30:31], off
	global_load_ushort v17, v[23:24], off
	;; [unrolled: 1-line block ×4, first 2 shown]
	v_mov_b32_e32 v21, 0
	v_mov_b32_e32 v15, 0
	;; [unrolled: 1-line block ×6, first 2 shown]
	s_andn2_b32 vcc_lo, exec_lo, s35
	s_cbranch_vccnz .LBB45_5
; %bb.4:                                ;   in Loop: Header=BB45_3 Depth=1
	v_sub_nc_u32_e32 v15, v10, v11
	v_mad_u64_u32 v[21:22], null, s52, v13, v[0:1]
	v_mul_lo_u32 v18, s8, v15
	v_add_nc_u32_e32 v15, 2, v15
	v_mul_lo_u32 v22, v21, s34
	v_mul_lo_u32 v24, v21, s31
	v_mad_u64_u32 v[26:27], null, s8, v15, v[0:1]
	v_add3_u32 v15, v18, s8, v0
	v_ashrrev_i32_e32 v23, 31, v22
	v_mul_lo_u32 v21, v15, s34
	v_mul_lo_u32 v27, v26, s34
	;; [unrolled: 1-line block ×4, first 2 shown]
	v_lshlrev_b64 v[33:34], 1, v[22:23]
	v_ashrrev_i32_e32 v25, 31, v24
	v_ashrrev_i32_e32 v22, 31, v21
	;; [unrolled: 1-line block ×5, first 2 shown]
	v_lshlrev_b64 v[23:24], 1, v[24:25]
	v_lshlrev_b64 v[21:22], 1, v[21:22]
	;; [unrolled: 1-line block ×3, first 2 shown]
	v_add_co_u32 v25, vcc_lo, s6, v33
	v_add_co_ci_u32_e64 v26, null, s7, v34, vcc_lo
	v_lshlrev_b64 v[29:30], 1, v[29:30]
	v_add_co_u32 v21, vcc_lo, s6, v21
	v_add_co_ci_u32_e64 v22, null, s7, v22, vcc_lo
	v_add_co_u32 v27, vcc_lo, s6, v27
	v_lshlrev_b64 v[31:32], 1, v[31:32]
	v_add_co_ci_u32_e64 v28, null, s7, v28, vcc_lo
	v_add_co_u32 v23, vcc_lo, s10, v23
	v_add_co_ci_u32_e64 v24, null, s11, v24, vcc_lo
	v_add_co_u32 v29, vcc_lo, s10, v29
	;; [unrolled: 2-line block ×3, first 2 shown]
	v_add_co_ci_u32_e64 v32, null, s11, v32, vcc_lo
	global_load_ushort v15, v[25:26], off
	global_load_ushort v18, v[23:24], off
	s_clause 0x1
	global_load_ushort v21, v[21:22], off
	global_load_ushort v22, v[27:28], off
	s_clause 0x1
	global_load_ushort v25, v[31:32], off
	global_load_ushort v26, v[29:30], off
	s_waitcnt vmcnt(5)
	v_lshlrev_b32_e32 v24, 16, v15
	s_waitcnt vmcnt(4)
	v_lshlrev_b32_e32 v23, 16, v18
	;; [unrolled: 2-line block ×6, first 2 shown]
.LBB45_5:                               ;   in Loop: Header=BB45_3 Depth=1
	s_waitcnt vmcnt(6)
	v_lshlrev_b32_e32 v19, 16, v19
	s_waitcnt vmcnt(3)
	v_lshlrev_b32_e32 v20, 16, v20
	v_lshlrev_b32_e32 v14, 16, v14
	s_waitcnt vmcnt(1)
	v_lshlrev_b32_e32 v12, 16, v12
	v_add_f32_e32 v19, v19, v20
	v_add_f32_e32 v12, v21, v12
	;; [unrolled: 1-line block ×4, first 2 shown]
	v_mul_f32_e32 v20, 0xbfb8aa3b, v19
	v_cmp_nlt_f32_e32 vcc_lo, 0x42ce8ed0, v19
	v_fma_f32 v23, 0xbfb8aa3b, v19, -v20
	v_rndne_f32_e32 v24, v20
	v_fmac_f32_e32 v23, 0xb2a5705f, v19
	v_sub_f32_e32 v20, v20, v24
	v_add_f32_e32 v20, v20, v23
	v_cvt_i32_f32_e32 v23, v24
	v_exp_f32_e32 v20, v20
	v_ldexp_f32 v20, v20, v23
	v_cndmask_b32_e32 v20, 0, v20, vcc_lo
	v_cmp_ngt_f32_e32 vcc_lo, 0xc2b17218, v19
	v_cndmask_b32_e32 v19, 0x7f800000, v20, vcc_lo
	v_add_f32_e32 v20, 1.0, v19
	v_div_scale_f32 v19, null, v20, v20, 1.0
	v_div_scale_f32 v25, vcc_lo, 1.0, v20, 1.0
	v_rcp_f32_e32 v23, v19
	v_fma_f32 v24, -v19, v23, 1.0
	v_fmac_f32_e32 v23, v24, v23
	v_mul_f32_e32 v24, v25, v23
	v_fma_f32 v26, -v19, v24, v25
	v_fmac_f32_e32 v24, v26, v23
	v_fma_f32 v19, -v19, v24, v25
	v_div_fmas_f32 v23, v19, v23, v24
	v_add_f32_e32 v19, v22, v14
	v_div_fixup_f32 v14, v23, v20, 1.0
                                        ; implicit-def: $vgpr20
	v_fmac_f32_e32 v19, v12, v14
	v_cmp_ngt_f32_e64 s0, 0x3f200000, |v19|
	s_and_saveexec_b32 s1, s0
	s_xor_b32 s0, exec_lo, s1
	s_cbranch_execz .LBB45_7
; %bb.6:                                ;   in Loop: Header=BB45_3 Depth=1
	v_add_f32_e64 v20, |v19|, |v19|
	v_mul_f32_e32 v21, 0x3fb8aa3b, v20
	v_cmp_ngt_f32_e32 vcc_lo, 0xc2ce8ed0, v20
	v_rndne_f32_e32 v22, v21
	v_fma_f32 v23, 0x3fb8aa3b, v20, -v21
	v_sub_f32_e32 v21, v21, v22
	v_fmac_f32_e32 v23, 0x32a5705f, v20
	v_cvt_i32_f32_e32 v22, v22
	v_add_f32_e32 v21, v21, v23
	v_exp_f32_e32 v21, v21
	v_ldexp_f32 v21, v21, v22
	v_cndmask_b32_e32 v21, 0, v21, vcc_lo
	v_cmp_nlt_f32_e32 vcc_lo, 0x42b17218, v20
	v_cndmask_b32_e32 v20, 0x7f800000, v21, vcc_lo
	v_add_f32_e32 v20, 1.0, v20
	v_rcp_f32_e32 v20, v20
	v_fma_f32 v20, v20, -2.0, 1.0
.LBB45_7:                               ;   in Loop: Header=BB45_3 Depth=1
	s_andn2_saveexec_b32 s0, s0
	s_cbranch_execz .LBB45_2
; %bb.8:                                ;   in Loop: Header=BB45_3 Depth=1
	v_mul_f32_e32 v20, v19, v19
	v_fmaak_f32 v21, s55, v20, 0x3ca908c9
	v_fmaak_f32 v21, v20, v21, 0xbd5c1c4e
	;; [unrolled: 1-line block ×4, first 2 shown]
	v_mul_f32_e64 v21, |v19|, v21
	v_fma_f32 v20, v20, v21, |v19|
	s_branch .LBB45_2
.LBB45_9:
	s_endpgm
	.section	.rodata,"a",@progbits
	.p2align	6, 0x0
	.amdhsa_kernel _ZN2at6native12_GLOBAL__N_16kernel16gru_cell_forwardIN3c108BFloat16EfiLi2EEEvNS_4cuda6detail10TensorInfoIT_T1_EESB_SB_SB_SB_SB_SB_SA_SA_
		.amdhsa_group_segment_fixed_size 0
		.amdhsa_private_segment_fixed_size 0
		.amdhsa_kernarg_size 1776
		.amdhsa_user_sgpr_count 6
		.amdhsa_user_sgpr_private_segment_buffer 1
		.amdhsa_user_sgpr_dispatch_ptr 0
		.amdhsa_user_sgpr_queue_ptr 0
		.amdhsa_user_sgpr_kernarg_segment_ptr 1
		.amdhsa_user_sgpr_dispatch_id 0
		.amdhsa_user_sgpr_flat_scratch_init 0
		.amdhsa_user_sgpr_private_segment_size 0
		.amdhsa_wavefront_size32 1
		.amdhsa_uses_dynamic_stack 0
		.amdhsa_system_sgpr_private_segment_wavefront_offset 0
		.amdhsa_system_sgpr_workgroup_id_x 1
		.amdhsa_system_sgpr_workgroup_id_y 0
		.amdhsa_system_sgpr_workgroup_id_z 0
		.amdhsa_system_sgpr_workgroup_info 0
		.amdhsa_system_vgpr_workitem_id 0
		.amdhsa_next_free_vgpr 44
		.amdhsa_next_free_sgpr 56
		.amdhsa_reserve_vcc 1
		.amdhsa_reserve_flat_scratch 0
		.amdhsa_float_round_mode_32 0
		.amdhsa_float_round_mode_16_64 0
		.amdhsa_float_denorm_mode_32 3
		.amdhsa_float_denorm_mode_16_64 3
		.amdhsa_dx10_clamp 1
		.amdhsa_ieee_mode 1
		.amdhsa_fp16_overflow 0
		.amdhsa_workgroup_processor_mode 1
		.amdhsa_memory_ordered 1
		.amdhsa_forward_progress 1
		.amdhsa_shared_vgpr_count 0
		.amdhsa_exception_fp_ieee_invalid_op 0
		.amdhsa_exception_fp_denorm_src 0
		.amdhsa_exception_fp_ieee_div_zero 0
		.amdhsa_exception_fp_ieee_overflow 0
		.amdhsa_exception_fp_ieee_underflow 0
		.amdhsa_exception_fp_ieee_inexact 0
		.amdhsa_exception_int_div_zero 0
	.end_amdhsa_kernel
	.section	.text._ZN2at6native12_GLOBAL__N_16kernel16gru_cell_forwardIN3c108BFloat16EfiLi2EEEvNS_4cuda6detail10TensorInfoIT_T1_EESB_SB_SB_SB_SB_SB_SA_SA_,"axG",@progbits,_ZN2at6native12_GLOBAL__N_16kernel16gru_cell_forwardIN3c108BFloat16EfiLi2EEEvNS_4cuda6detail10TensorInfoIT_T1_EESB_SB_SB_SB_SB_SB_SA_SA_,comdat
.Lfunc_end45:
	.size	_ZN2at6native12_GLOBAL__N_16kernel16gru_cell_forwardIN3c108BFloat16EfiLi2EEEvNS_4cuda6detail10TensorInfoIT_T1_EESB_SB_SB_SB_SB_SB_SA_SA_, .Lfunc_end45-_ZN2at6native12_GLOBAL__N_16kernel16gru_cell_forwardIN3c108BFloat16EfiLi2EEEvNS_4cuda6detail10TensorInfoIT_T1_EESB_SB_SB_SB_SB_SB_SA_SA_
                                        ; -- End function
	.set _ZN2at6native12_GLOBAL__N_16kernel16gru_cell_forwardIN3c108BFloat16EfiLi2EEEvNS_4cuda6detail10TensorInfoIT_T1_EESB_SB_SB_SB_SB_SB_SA_SA_.num_vgpr, 44
	.set _ZN2at6native12_GLOBAL__N_16kernel16gru_cell_forwardIN3c108BFloat16EfiLi2EEEvNS_4cuda6detail10TensorInfoIT_T1_EESB_SB_SB_SB_SB_SB_SA_SA_.num_agpr, 0
	.set _ZN2at6native12_GLOBAL__N_16kernel16gru_cell_forwardIN3c108BFloat16EfiLi2EEEvNS_4cuda6detail10TensorInfoIT_T1_EESB_SB_SB_SB_SB_SB_SA_SA_.numbered_sgpr, 56
	.set _ZN2at6native12_GLOBAL__N_16kernel16gru_cell_forwardIN3c108BFloat16EfiLi2EEEvNS_4cuda6detail10TensorInfoIT_T1_EESB_SB_SB_SB_SB_SB_SA_SA_.num_named_barrier, 0
	.set _ZN2at6native12_GLOBAL__N_16kernel16gru_cell_forwardIN3c108BFloat16EfiLi2EEEvNS_4cuda6detail10TensorInfoIT_T1_EESB_SB_SB_SB_SB_SB_SA_SA_.private_seg_size, 0
	.set _ZN2at6native12_GLOBAL__N_16kernel16gru_cell_forwardIN3c108BFloat16EfiLi2EEEvNS_4cuda6detail10TensorInfoIT_T1_EESB_SB_SB_SB_SB_SB_SA_SA_.uses_vcc, 1
	.set _ZN2at6native12_GLOBAL__N_16kernel16gru_cell_forwardIN3c108BFloat16EfiLi2EEEvNS_4cuda6detail10TensorInfoIT_T1_EESB_SB_SB_SB_SB_SB_SA_SA_.uses_flat_scratch, 0
	.set _ZN2at6native12_GLOBAL__N_16kernel16gru_cell_forwardIN3c108BFloat16EfiLi2EEEvNS_4cuda6detail10TensorInfoIT_T1_EESB_SB_SB_SB_SB_SB_SA_SA_.has_dyn_sized_stack, 0
	.set _ZN2at6native12_GLOBAL__N_16kernel16gru_cell_forwardIN3c108BFloat16EfiLi2EEEvNS_4cuda6detail10TensorInfoIT_T1_EESB_SB_SB_SB_SB_SB_SA_SA_.has_recursion, 0
	.set _ZN2at6native12_GLOBAL__N_16kernel16gru_cell_forwardIN3c108BFloat16EfiLi2EEEvNS_4cuda6detail10TensorInfoIT_T1_EESB_SB_SB_SB_SB_SB_SA_SA_.has_indirect_call, 0
	.section	.AMDGPU.csdata,"",@progbits
; Kernel info:
; codeLenInByte = 3960
; TotalNumSgprs: 58
; NumVgprs: 44
; ScratchSize: 0
; MemoryBound: 0
; FloatMode: 240
; IeeeMode: 1
; LDSByteSize: 0 bytes/workgroup (compile time only)
; SGPRBlocks: 0
; VGPRBlocks: 5
; NumSGPRsForWavesPerEU: 58
; NumVGPRsForWavesPerEU: 44
; Occupancy: 16
; WaveLimiterHint : 1
; COMPUTE_PGM_RSRC2:SCRATCH_EN: 0
; COMPUTE_PGM_RSRC2:USER_SGPR: 6
; COMPUTE_PGM_RSRC2:TRAP_HANDLER: 0
; COMPUTE_PGM_RSRC2:TGID_X_EN: 1
; COMPUTE_PGM_RSRC2:TGID_Y_EN: 0
; COMPUTE_PGM_RSRC2:TGID_Z_EN: 0
; COMPUTE_PGM_RSRC2:TIDIG_COMP_CNT: 0
	.section	.text._ZN2at6native12_GLOBAL__N_16kernel16gru_cell_forwardIN3c108BFloat16EflLi1EEEvNS_4cuda6detail10TensorInfoIT_T1_EESB_SB_SB_SB_SB_SB_SA_SA_,"axG",@progbits,_ZN2at6native12_GLOBAL__N_16kernel16gru_cell_forwardIN3c108BFloat16EflLi1EEEvNS_4cuda6detail10TensorInfoIT_T1_EESB_SB_SB_SB_SB_SB_SA_SA_,comdat
	.globl	_ZN2at6native12_GLOBAL__N_16kernel16gru_cell_forwardIN3c108BFloat16EflLi1EEEvNS_4cuda6detail10TensorInfoIT_T1_EESB_SB_SB_SB_SB_SB_SA_SA_ ; -- Begin function _ZN2at6native12_GLOBAL__N_16kernel16gru_cell_forwardIN3c108BFloat16EflLi1EEEvNS_4cuda6detail10TensorInfoIT_T1_EESB_SB_SB_SB_SB_SB_SA_SA_
	.p2align	8
	.type	_ZN2at6native12_GLOBAL__N_16kernel16gru_cell_forwardIN3c108BFloat16EflLi1EEEvNS_4cuda6detail10TensorInfoIT_T1_EESB_SB_SB_SB_SB_SB_SA_SA_,@function
_ZN2at6native12_GLOBAL__N_16kernel16gru_cell_forwardIN3c108BFloat16EflLi1EEEvNS_4cuda6detail10TensorInfoIT_T1_EESB_SB_SB_SB_SB_SB_SA_SA_: ; @_ZN2at6native12_GLOBAL__N_16kernel16gru_cell_forwardIN3c108BFloat16EflLi1EEEvNS_4cuda6detail10TensorInfoIT_T1_EESB_SB_SB_SB_SB_SB_SA_SA_
; %bb.0:
	s_clause 0x1
	s_load_dword s2, s[4:5], 0xb7c
	s_load_dwordx4 s[8:11], s[4:5], 0xb60
	v_mov_b32_e32 v1, 0
	s_add_u32 s0, s4, 0xb70
	s_addc_u32 s1, s5, 0
	s_waitcnt lgkmcnt(0)
	s_and_b32 s26, s2, 0xffff
	s_mov_b32 s2, exec_lo
	v_mad_u64_u32 v[3:4], null, s6, s26, v[0:1]
	v_mov_b32_e32 v4, v1
	v_cmpx_gt_i64_e64 s[10:11], v[3:4]
	s_cbranch_execz .LBB46_14
; %bb.1:
	s_clause 0x1
	s_load_dwordx2 s[30:31], s[4:5], 0x750
	s_load_dwordx2 s[2:3], s[4:5], 0x340
	s_load_dword s0, s[0:1], 0x0
	s_clause 0x6
	s_load_dwordx2 s[34:35], s[4:5], 0x680
	s_load_dwordx2 s[36:37], s[4:5], 0x8f0
	;; [unrolled: 1-line block ×7, first 2 shown]
	v_cvt_f32_u32_e32 v0, s8
	s_clause 0x4
	s_load_dwordx2 s[18:19], s[4:5], 0x410
	s_load_dwordx2 s[20:21], s[4:5], 0x4e0
	;; [unrolled: 1-line block ×5, first 2 shown]
	s_mov_b32 s1, 0
	v_rcp_iflag_f32_e32 v0, v0
	s_waitcnt lgkmcnt(0)
	v_mul_lo_u32 v2, 0, s30
	v_mul_lo_u32 v7, v3, s31
	v_mad_u64_u32 v[5:6], null, v3, s30, 0
	v_mul_lo_u32 v9, 0, s36
	v_mul_f32_e32 v0, 0x4f7ffffe, v0
	s_cmp_lg_u64 s[2:3], 0
	s_mul_i32 s33, s0, s26
	s_cselect_b32 s40, -1, 0
	s_lshl_b64 s[26:27], s[8:9], 1
	v_add3_u32 v6, v6, v7, v2
	v_mul_lo_u32 v2, v3, s37
	v_mad_u64_u32 v[7:8], null, v3, s36, 0
	v_cvt_u32_f32_e32 v0, v0
	s_lshl_b64 s[28:29], s[8:9], 2
	s_sub_u32 s41, 0, s8
	s_subb_u32 s42, 0, s9
	s_sub_i32 s43, 0, s8
	v_lshlrev_b64 v[5:6], 1, v[5:6]
	v_add3_u32 v8, v8, v2, v9
	v_mul_lo_u32 v2, s43, v0
	s_mul_i32 s0, s33, s31
	s_mul_hi_u32 s31, s33, s30
	s_mul_i32 s30, s33, s30
	v_lshlrev_b64 v[7:8], 1, v[7:8]
	v_add_co_u32 v5, vcc_lo, s34, v5
	v_add_co_ci_u32_e64 v6, null, s35, v6, vcc_lo
	v_mul_hi_u32 v2, v0, v2
	v_add_co_u32 v7, vcc_lo, s38, v7
	s_add_i32 s31, s31, s0
	s_mul_i32 s0, s33, s37
	s_mul_hi_u32 s34, s33, s36
	v_add_co_ci_u32_e64 v8, null, s39, v8, vcc_lo
	v_add_nc_u32_e32 v0, v0, v2
	s_add_i32 s35, s34, s0
	s_mul_i32 s34, s33, s36
	s_lshl_b64 s[30:31], s[30:31], 1
	s_lshl_b64 s[34:35], s[34:35], 1
	s_ashr_i32 s36, s9, 31
	s_mov_b32 s43, 0xbbbac73d
	s_branch .LBB46_3
.LBB46_2:                               ;   in Loop: Header=BB46_3 Depth=1
	s_or_b32 exec_lo, exec_lo, s0
	v_lshlrev_b32_e32 v11, 16, v11
	v_lshlrev_b32_e32 v12, 16, v12
	v_bfi_b32 v21, 0x7fffffff, v16, v15
	v_mul_lo_u32 v19, s28, v10
	v_mul_lo_u32 v20, s29, v9
	s_waitcnt vmcnt(0)
	v_lshlrev_b32_e32 v15, 16, v2
	v_add_f32_e32 v11, v11, v12
	v_bfe_u32 v23, v14, 16, 1
	v_bfe_u32 v24, v13, 16, 1
	v_cmp_o_f32_e64 s0, v21, v21
	v_sub_f32_e32 v25, v15, v21
	v_add_f32_e32 v11, v11, v18
	v_add3_u32 v15, v14, v23, 0x7fff
	v_add3_u32 v24, v13, v24, 0x7fff
	v_bfe_u32 v23, v21, 16, 1
	v_add_f32_e32 v17, v17, v11
	v_mad_u64_u32 v[11:12], null, s28, v9, v[3:4]
	v_lshlrev_b64 v[9:10], 2, v[9:10]
	v_lshrrev_b32_e32 v24, 16, v24
	v_mul_f32_e32 v18, 0xbfb8aa3b, v17
	v_add3_u32 v23, v21, v23, 0x7fff
	v_add3_u32 v31, v20, v12, v19
	v_fma_f32 v16, 0xbfb8aa3b, v17, -v18
	v_rndne_f32_e32 v22, v18
	v_add_co_u32 v29, vcc_lo, v9, 4
	v_add_co_ci_u32_e64 v30, null, 0, v10, vcc_lo
	v_fmac_f32_e32 v16, 0xb2a5705f, v17
	v_sub_f32_e32 v18, v18, v22
	v_cvt_i32_f32_e32 v12, v22
	v_lshrrev_b32_e32 v22, 16, v15
	v_cmp_nlt_f32_e32 vcc_lo, 0x42ce8ed0, v17
	v_mul_lo_u32 v26, s8, v10
	v_add_f32_e32 v16, v18, v16
	v_or_b32_e32 v18, 1, v9
	v_or_b32_e32 v27, 2, v9
	;; [unrolled: 1-line block ×3, first 2 shown]
	v_mul_lo_u32 v32, v11, s5
	v_exp_f32_e32 v16, v16
	v_mad_u64_u32 v[9:10], null, v11, s4, 0
	v_mul_lo_u32 v33, s9, v18
	v_mul_lo_u32 v34, s9, v27
	;; [unrolled: 1-line block ×4, first 2 shown]
	v_lshrrev_b32_e32 v23, 16, v23
	v_ldexp_f32 v15, v16, v12
	v_mad_u64_u32 v[11:12], null, s8, v18, v[3:4]
	v_add3_u32 v10, v10, v32, v31
	v_cndmask_b32_e32 v18, 0, v15, vcc_lo
	v_cmp_ngt_f32_e32 vcc_lo, 0xc2b17218, v17
	v_mad_u64_u32 v[15:16], null, s8, v27, v[3:4]
	v_mul_lo_u32 v27, s9, v28
	v_add3_u32 v33, v33, v12, v26
	v_cndmask_b32_e32 v19, 0x7f800000, v18, vcc_lo
	v_mad_u64_u32 v[17:18], null, s8, v28, v[3:4]
	v_mul_lo_u32 v28, s8, v30
	v_add3_u32 v34, v34, v16, v26
	v_add_f32_e32 v30, 1.0, v19
	v_mad_u64_u32 v[19:20], null, s8, v29, v[3:4]
	v_add_co_u32 v3, vcc_lo, v3, s33
	v_div_scale_f32 v29, null, v30, v30, 1.0
	v_add_co_ci_u32_e64 v4, null, 0, v4, vcc_lo
	v_cmp_o_f32_e32 vcc_lo, v14, v14
	v_rcp_f32_e32 v36, v29
	v_add3_u32 v20, v35, v20, v28
	v_add3_u32 v26, v27, v18, v26
	v_mul_lo_u32 v37, v11, s5
	v_cndmask_b32_e32 v22, 0x7fc0, v22, vcc_lo
	v_cmp_o_f32_e32 vcc_lo, v13, v13
	v_mad_u64_u32 v[11:12], null, v11, s4, 0
	v_mul_lo_u32 v38, v15, s5
	v_mul_lo_u32 v27, v17, s5
	v_fma_f32 v13, -v29, v36, 1.0
	v_cndmask_b32_e32 v24, 0x7fc0, v24, vcc_lo
	v_div_scale_f32 v39, vcc_lo, 1.0, v30, 1.0
	v_mul_lo_u32 v28, v19, s5
	v_fmac_f32_e32 v36, v13, v36
	v_mad_u64_u32 v[13:14], null, v15, s4, 0
	v_mad_u64_u32 v[15:16], null, v17, s4, 0
	v_mul_f32_e32 v40, v39, v36
	v_mad_u64_u32 v[17:18], null, v19, s4, 0
	v_cndmask_b32_e64 v19, 0x7fc0, v23, s0
	v_mul_lo_u32 v23, v33, s4
	v_fma_f32 v35, -v29, v40, v39
	v_mul_lo_u32 v31, v34, s4
	v_mul_lo_u32 v26, v26, s4
	;; [unrolled: 1-line block ×3, first 2 shown]
	v_lshlrev_b64 v[9:10], 1, v[9:10]
	v_fmac_f32_e32 v40, v35, v36
	v_add3_u32 v12, v12, v37, v23
	v_add3_u32 v14, v14, v38, v31
	v_fma_f32 v29, -v29, v40, v39
	v_add3_u32 v16, v16, v27, v26
	v_lshlrev_b64 v[11:12], 1, v[11:12]
	v_add3_u32 v18, v18, v28, v20
	v_lshlrev_b64 v[13:14], 1, v[13:14]
	v_div_fmas_f32 v29, v29, v36, v40
	v_add_co_u32 v9, vcc_lo, s24, v9
	v_lshlrev_b64 v[15:16], 1, v[15:16]
	v_add_co_ci_u32_e64 v10, null, s25, v10, vcc_lo
	v_div_fixup_f32 v23, v29, v30, 1.0
	v_add_co_u32 v11, vcc_lo, s24, v11
	v_add_co_ci_u32_e64 v12, null, s25, v12, vcc_lo
	v_fma_f32 v20, v23, v25, v21
	v_bfe_u32 v21, v23, 16, 1
	v_add_co_u32 v13, vcc_lo, s24, v13
	v_add_co_ci_u32_e64 v14, null, s25, v14, vcc_lo
	v_bfe_u32 v25, v20, 16, 1
	v_add3_u32 v21, v23, v21, 0x7fff
	v_add_co_u32 v15, vcc_lo, s24, v15
	v_add_co_ci_u32_e64 v16, null, s25, v16, vcc_lo
	v_add3_u32 v25, v20, v25, 0x7fff
	v_lshrrev_b32_e32 v21, 16, v21
	v_cmp_o_f32_e32 vcc_lo, v23, v23
	v_lshlrev_b64 v[17:18], 1, v[17:18]
	v_lshrrev_b32_e32 v25, 16, v25
	v_cndmask_b32_e32 v21, 0x7fc0, v21, vcc_lo
	v_cmp_o_f32_e32 vcc_lo, v20, v20
	v_cndmask_b32_e32 v20, 0x7fc0, v25, vcc_lo
	v_add_co_u32 v17, vcc_lo, s24, v17
	v_add_co_ci_u32_e64 v18, null, s25, v18, vcc_lo
	v_add_co_u32 v5, vcc_lo, v5, s30
	v_add_co_ci_u32_e64 v6, null, s31, v6, vcc_lo
	v_cmp_le_i64_e32 vcc_lo, s[10:11], v[3:4]
	global_store_short v[7:8], v20, off
	global_store_short v[9:10], v22, off
	;; [unrolled: 1-line block ×3, first 2 shown]
	v_add_co_u32 v7, s0, v7, s34
	v_add_co_ci_u32_e64 v8, null, s35, v8, s0
	s_or_b32 s1, vcc_lo, s1
	global_store_short v[13:14], v19, off
	global_store_short v[15:16], v2, off
	;; [unrolled: 1-line block ×3, first 2 shown]
	s_andn2_b32 exec_lo, exec_lo, s1
	s_cbranch_execz .LBB46_14
.LBB46_3:                               ; =>This Inner Loop Header: Depth=1
	v_or_b32_e32 v2, s9, v4
                                        ; implicit-def: $vgpr9_vgpr10
	s_mov_b32 s0, exec_lo
	v_cmpx_ne_u64_e32 0, v[1:2]
	s_xor_b32 s44, exec_lo, s0
	s_cbranch_execz .LBB46_5
; %bb.4:                                ;   in Loop: Header=BB46_3 Depth=1
	s_add_u32 s38, s8, s36
	s_mov_b32 s37, s36
	s_addc_u32 s39, s9, s36
	v_ashrrev_i32_e32 v15, 31, v4
	s_xor_b64 s[38:39], s[38:39], s[36:37]
	v_cvt_f32_u32_e32 v2, s38
	v_cvt_f32_u32_e32 v9, s39
	s_sub_u32 s0, 0, s38
	s_subb_u32 s46, 0, s39
	v_add_co_u32 v10, vcc_lo, v3, v15
	v_fmac_f32_e32 v2, 0x4f800000, v9
	v_xor_b32_e32 v16, v10, v15
	v_rcp_f32_e32 v2, v2
	v_mul_f32_e32 v2, 0x5f7ffffc, v2
	v_mul_f32_e32 v9, 0x2f800000, v2
	v_trunc_f32_e32 v9, v9
	v_fmac_f32_e32 v2, 0xcf800000, v9
	v_cvt_u32_f32_e32 v9, v9
	v_cvt_u32_f32_e32 v2, v2
	v_readfirstlane_b32 s37, v9
	v_readfirstlane_b32 s45, v2
	s_mul_i32 s47, s0, s37
	v_add_co_ci_u32_e64 v2, null, v4, v15, vcc_lo
	s_mul_hi_u32 s49, s0, s45
	s_mul_i32 s48, s46, s45
	s_add_i32 s47, s49, s47
	s_mul_i32 s50, s0, s45
	s_add_i32 s47, s47, s48
	s_mul_hi_u32 s49, s45, s50
	s_mul_i32 s52, s45, s47
	s_mul_hi_u32 s51, s37, s50
	s_mul_i32 s48, s37, s50
	s_mul_hi_u32 s50, s45, s47
	s_add_u32 s49, s49, s52
	s_addc_u32 s50, 0, s50
	s_mul_hi_u32 s53, s37, s47
	s_add_u32 s48, s49, s48
	s_mul_i32 s47, s37, s47
	s_addc_u32 s48, s50, s51
	s_addc_u32 s49, s53, 0
	s_add_u32 s47, s48, s47
	s_addc_u32 s48, 0, s49
	s_add_u32 s45, s45, s47
	s_cselect_b32 s47, -1, 0
	s_mul_hi_u32 s49, s0, s45
	s_cmp_lg_u32 s47, 0
	s_mul_i32 s47, s0, s45
	s_addc_u32 s37, s37, s48
	s_mul_i32 s46, s46, s45
	s_mul_i32 s0, s0, s37
	s_mul_hi_u32 s48, s45, s47
	s_add_i32 s0, s49, s0
	s_mul_hi_u32 s49, s37, s47
	s_add_i32 s0, s0, s46
	s_mul_i32 s46, s37, s47
	s_mul_i32 s51, s45, s0
	s_mul_hi_u32 s50, s45, s0
	s_add_u32 s48, s48, s51
	s_addc_u32 s50, 0, s50
	s_mul_hi_u32 s47, s37, s0
	s_add_u32 s46, s48, s46
	s_mul_i32 s0, s37, s0
	s_addc_u32 s46, s50, s49
	s_addc_u32 s47, s47, 0
	s_add_u32 s0, s46, s0
	s_addc_u32 s46, 0, s47
	s_add_u32 s0, s45, s0
	s_cselect_b32 s45, -1, 0
	v_xor_b32_e32 v2, v2, v15
	s_cmp_lg_u32 s45, 0
	v_mul_hi_u32 v17, v16, s0
	s_addc_u32 s37, s37, s46
	v_mad_u64_u32 v[9:10], null, v16, s37, 0
	v_mad_u64_u32 v[11:12], null, v2, s0, 0
	;; [unrolled: 1-line block ×3, first 2 shown]
	v_add_co_u32 v9, vcc_lo, v17, v9
	v_add_co_ci_u32_e64 v10, null, 0, v10, vcc_lo
	v_add_co_u32 v9, vcc_lo, v9, v11
	v_add_co_ci_u32_e32 v9, vcc_lo, v10, v12, vcc_lo
	v_add_co_ci_u32_e32 v10, vcc_lo, 0, v14, vcc_lo
	v_add_co_u32 v11, vcc_lo, v9, v13
	v_add_co_ci_u32_e64 v12, null, 0, v10, vcc_lo
	v_mul_lo_u32 v13, s39, v11
	v_mad_u64_u32 v[9:10], null, s38, v11, 0
	v_mul_lo_u32 v14, s38, v12
	v_sub_co_u32 v9, vcc_lo, v16, v9
	v_add3_u32 v10, v10, v14, v13
	v_add_co_u32 v14, s0, v11, 2
	v_add_co_ci_u32_e64 v16, null, 0, v12, s0
	v_sub_nc_u32_e32 v13, v2, v10
	v_sub_co_u32 v17, s0, v9, s38
	v_sub_co_ci_u32_e64 v2, null, v2, v10, vcc_lo
	v_subrev_co_ci_u32_e64 v13, null, s39, v13, vcc_lo
	v_cmp_le_u32_e32 vcc_lo, s38, v17
	v_subrev_co_ci_u32_e64 v13, null, 0, v13, s0
	v_cndmask_b32_e64 v10, 0, -1, vcc_lo
	v_cmp_le_u32_e32 vcc_lo, s39, v13
	v_cndmask_b32_e64 v17, 0, -1, vcc_lo
	v_cmp_le_u32_e32 vcc_lo, s38, v9
	;; [unrolled: 2-line block ×3, first 2 shown]
	v_cndmask_b32_e64 v18, 0, -1, vcc_lo
	v_cmp_eq_u32_e32 vcc_lo, s39, v13
	v_cndmask_b32_e32 v10, v17, v10, vcc_lo
	v_add_co_u32 v13, vcc_lo, v11, 1
	v_add_co_ci_u32_e64 v17, null, 0, v12, vcc_lo
	v_cmp_eq_u32_e32 vcc_lo, s39, v2
	v_cndmask_b32_e32 v2, v18, v9, vcc_lo
	v_cmp_ne_u32_e32 vcc_lo, 0, v10
	v_xor_b32_e32 v10, s36, v15
	v_cmp_ne_u32_e64 s0, 0, v2
	v_cndmask_b32_e32 v2, v13, v14, vcc_lo
	v_cndmask_b32_e32 v9, v17, v16, vcc_lo
	v_cndmask_b32_e64 v2, v11, v2, s0
	v_cndmask_b32_e64 v9, v12, v9, s0
	v_xor_b32_e32 v2, v2, v10
	v_xor_b32_e32 v11, v9, v10
	v_sub_co_u32 v9, vcc_lo, v2, v10
	v_sub_co_ci_u32_e64 v10, null, v11, v10, vcc_lo
.LBB46_5:                               ;   in Loop: Header=BB46_3 Depth=1
	s_andn2_saveexec_b32 s0, s44
	s_cbranch_execz .LBB46_7
; %bb.6:                                ;   in Loop: Header=BB46_3 Depth=1
	v_mul_hi_u32 v2, v3, v0
	v_mul_lo_u32 v9, v2, s8
	v_add_nc_u32_e32 v10, 1, v2
	v_sub_nc_u32_e32 v9, v3, v9
	v_subrev_nc_u32_e32 v11, s8, v9
	v_cmp_le_u32_e32 vcc_lo, s8, v9
	v_cndmask_b32_e32 v9, v9, v11, vcc_lo
	v_cndmask_b32_e32 v2, v2, v10, vcc_lo
	v_cmp_le_u32_e32 vcc_lo, s8, v9
	v_add_nc_u32_e32 v10, 1, v2
	v_cndmask_b32_e32 v9, v2, v10, vcc_lo
	v_mov_b32_e32 v10, v1
.LBB46_7:                               ;   in Loop: Header=BB46_3 Depth=1
	s_or_b32 exec_lo, exec_lo, s0
	v_lshlrev_b64 v[13:14], 1, v[9:10]
	v_mad_u64_u32 v[11:12], null, s26, v9, v[3:4]
	v_mul_lo_u32 v2, s26, v10
	v_mul_lo_u32 v15, s27, v9
	v_or_b32_e32 v16, 1, v13
	v_mul_lo_u32 v17, s8, v14
	v_add_co_u32 v20, vcc_lo, v13, 2
	v_mul_lo_u32 v18, v11, s13
	v_mul_lo_u32 v19, s9, v16
	v_add3_u32 v2, v15, v12, v2
	v_mad_u64_u32 v[15:16], null, s8, v16, v[3:4]
	v_mad_u64_u32 v[12:13], null, v11, s12, 0
	v_mul_lo_u32 v21, v2, s12
	v_add_co_ci_u32_e64 v14, null, 0, v14, vcc_lo
	v_mul_lo_u32 v22, s9, v20
	v_add3_u32 v23, v19, v16, v17
	v_mad_u64_u32 v[16:17], null, s8, v20, v[3:4]
	v_mul_lo_u32 v14, s8, v14
	v_add3_u32 v13, v13, v18, v21
	v_mul_lo_u32 v20, v23, s12
	v_mul_lo_u32 v21, v15, s13
	v_mad_u64_u32 v[18:19], null, v15, s12, 0
	v_mul_lo_u32 v25, v16, s13
	v_mul_lo_u32 v26, v11, s17
	v_add3_u32 v24, v22, v17, v14
	v_mul_lo_u32 v2, v2, s16
	v_lshlrev_b64 v[12:13], 1, v[12:13]
	v_add3_u32 v19, v19, v21, v20
	v_mul_lo_u32 v14, v24, s12
	v_mad_u64_u32 v[21:22], null, v11, s16, 0
	v_mul_lo_u32 v11, v23, s16
	v_lshlrev_b64 v[17:18], 1, v[18:19]
	v_mad_u64_u32 v[19:20], null, v16, s12, 0
	v_add_co_u32 v12, vcc_lo, s6, v12
	v_add3_u32 v22, v22, v26, v2
	v_mul_lo_u32 v2, v24, s16
	v_mul_lo_u32 v26, v16, s17
	v_mad_u64_u32 v[23:24], null, v16, s16, 0
	v_add3_u32 v20, v20, v25, v14
	v_mul_lo_u32 v25, v15, s17
	v_mad_u64_u32 v[14:15], null, v15, s16, 0
	v_lshlrev_b64 v[21:22], 1, v[21:22]
	v_lshlrev_b64 v[19:20], 1, v[19:20]
	v_add3_u32 v24, v24, v26, v2
	v_add_co_ci_u32_e64 v13, null, s7, v13, vcc_lo
	v_add_co_u32 v17, vcc_lo, s6, v17
	v_add3_u32 v15, v15, v25, v11
	v_add_co_ci_u32_e64 v18, null, s7, v18, vcc_lo
	v_add_co_u32 v19, vcc_lo, s6, v19
	v_lshlrev_b64 v[14:15], 1, v[14:15]
	v_lshlrev_b64 v[23:24], 1, v[23:24]
	v_add_co_ci_u32_e64 v20, null, s7, v20, vcc_lo
	v_add_co_u32 v21, vcc_lo, s14, v21
	v_add_co_ci_u32_e64 v22, null, s15, v22, vcc_lo
	v_add_co_u32 v25, vcc_lo, s14, v14
	;; [unrolled: 2-line block ×3, first 2 shown]
	v_add_co_ci_u32_e64 v24, null, s15, v24, vcc_lo
	s_clause 0x2
	global_load_ushort v15, v[12:13], off
	global_load_ushort v11, v[17:18], off
	global_load_ushort v13, v[19:20], off
	s_clause 0x2
	global_load_ushort v16, v[21:22], off
	global_load_ushort v12, v[25:26], off
	;; [unrolled: 1-line block ×4, first 2 shown]
	s_andn2_b32 vcc_lo, exec_lo, s40
	s_cbranch_vccnz .LBB46_9
; %bb.8:                                ;   in Loop: Header=BB46_3 Depth=1
	v_mad_u64_u32 v[17:18], null, s41, v9, v[3:4]
	v_mul_lo_u32 v19, s41, v10
	v_mul_lo_u32 v20, s42, v9
	v_sub_co_u32 v21, vcc_lo, 1, v9
	v_sub_co_ci_u32_e64 v22, null, 0, v10, vcc_lo
	v_mul_lo_u32 v23, v17, s19
	v_mul_lo_u32 v24, s9, v21
	;; [unrolled: 1-line block ×3, first 2 shown]
	v_add3_u32 v26, v20, v18, v19
	v_mad_u64_u32 v[18:19], null, v17, s18, 0
	v_mul_lo_u32 v22, s8, v22
	v_mad_u64_u32 v[20:21], null, s8, v21, v[3:4]
	v_mul_lo_u32 v25, v26, s18
	v_mul_lo_u32 v33, v26, s22
	v_add3_u32 v28, v24, v21, v22
	v_mul_lo_u32 v27, v20, s19
	v_add3_u32 v19, v19, v23, v25
	v_sub_co_u32 v23, vcc_lo, 2, v9
	v_sub_co_ci_u32_e64 v24, null, 0, v10, vcc_lo
	v_mul_lo_u32 v25, v28, s18
	v_mul_lo_u32 v30, s9, v23
	v_mad_u64_u32 v[21:22], null, v20, s18, 0
	v_mul_lo_u32 v29, s8, v24
	v_mad_u64_u32 v[23:24], null, s8, v23, v[3:4]
	v_mul_lo_u32 v34, v20, s23
	v_lshlrev_b64 v[18:19], 1, v[18:19]
	v_add3_u32 v22, v22, v27, v25
	v_mad_u64_u32 v[26:27], null, v17, s22, 0
	v_add3_u32 v30, v30, v24, v29
	v_mul_lo_u32 v31, v23, s19
	v_mad_u64_u32 v[24:25], null, v23, s18, 0
	v_mul_lo_u32 v17, v28, s22
	v_mul_lo_u32 v29, v30, s18
	v_add3_u32 v27, v27, v32, v33
	v_mul_lo_u32 v32, v23, s23
	v_lshlrev_b64 v[21:22], 1, v[21:22]
	v_add_co_u32 v18, vcc_lo, s2, v18
	v_lshlrev_b64 v[26:27], 1, v[26:27]
	v_add_co_ci_u32_e64 v19, null, s3, v19, vcc_lo
	v_add3_u32 v25, v25, v31, v29
	v_mad_u64_u32 v[28:29], null, v20, s22, 0
	v_mul_lo_u32 v20, v30, s22
	v_mad_u64_u32 v[30:31], null, v23, s22, 0
	v_lshlrev_b64 v[24:25], 1, v[24:25]
	v_add_co_u32 v21, vcc_lo, s2, v21
	v_add3_u32 v29, v29, v34, v17
	v_add_co_ci_u32_e64 v22, null, s3, v22, vcc_lo
	v_add3_u32 v31, v31, v32, v20
	v_add_co_u32 v23, vcc_lo, s2, v24
	v_lshlrev_b64 v[28:29], 1, v[28:29]
	v_add_co_ci_u32_e64 v24, null, s3, v25, vcc_lo
	v_lshlrev_b64 v[30:31], 1, v[30:31]
	v_add_co_u32 v25, vcc_lo, s20, v26
	v_add_co_ci_u32_e64 v26, null, s21, v27, vcc_lo
	v_add_co_u32 v27, vcc_lo, s20, v28
	v_add_co_ci_u32_e64 v28, null, s21, v29, vcc_lo
	;; [unrolled: 2-line block ×3, first 2 shown]
	global_load_ushort v17, v[18:19], off
	global_load_ushort v18, v[25:26], off
	s_clause 0x1
	global_load_ushort v19, v[21:22], off
	global_load_ushort v20, v[23:24], off
	s_clause 0x1
	global_load_ushort v23, v[29:30], off
	global_load_ushort v24, v[27:28], off
	s_waitcnt vmcnt(5)
	v_lshlrev_b32_e32 v22, 16, v17
	s_waitcnt vmcnt(4)
	v_lshlrev_b32_e32 v21, 16, v18
	;; [unrolled: 2-line block ×6, first 2 shown]
	s_branch .LBB46_10
.LBB46_9:                               ;   in Loop: Header=BB46_3 Depth=1
	v_mov_b32_e32 v19, 0
	v_mov_b32_e32 v17, 0
	;; [unrolled: 1-line block ×6, first 2 shown]
.LBB46_10:                              ;   in Loop: Header=BB46_3 Depth=1
	s_waitcnt vmcnt(6)
	v_lshlrev_b32_e32 v15, 16, v15
	s_waitcnt vmcnt(3)
	v_lshlrev_b32_e32 v16, 16, v16
	v_lshlrev_b32_e32 v13, 16, v13
	v_add_f32_e32 v15, v15, v16
	v_add_f32_e32 v15, v15, v22
	;; [unrolled: 1-line block ×3, first 2 shown]
	v_mul_f32_e32 v16, 0xbfb8aa3b, v15
	v_cmp_nlt_f32_e32 vcc_lo, 0x42ce8ed0, v15
	v_fma_f32 v21, 0xbfb8aa3b, v15, -v16
	v_rndne_f32_e32 v22, v16
	v_fmac_f32_e32 v21, 0xb2a5705f, v15
	v_sub_f32_e32 v16, v16, v22
	v_add_f32_e32 v16, v16, v21
	v_cvt_i32_f32_e32 v21, v22
	v_exp_f32_e32 v16, v16
	v_ldexp_f32 v16, v16, v21
	v_cndmask_b32_e32 v16, 0, v16, vcc_lo
	v_cmp_ngt_f32_e32 vcc_lo, 0xc2b17218, v15
	v_cndmask_b32_e32 v15, 0x7f800000, v16, vcc_lo
	v_add_f32_e32 v16, 1.0, v15
	v_div_scale_f32 v15, null, v16, v16, 1.0
	v_div_scale_f32 v23, vcc_lo, 1.0, v16, 1.0
	v_rcp_f32_e32 v21, v15
	v_fma_f32 v22, -v15, v21, 1.0
	v_fmac_f32_e32 v21, v22, v21
	v_mul_f32_e32 v22, v23, v21
	v_fma_f32 v24, -v15, v22, v23
	v_fmac_f32_e32 v22, v24, v21
	v_fma_f32 v15, -v15, v22, v23
	v_div_fmas_f32 v21, v15, v21, v22
	s_waitcnt vmcnt(1)
	v_lshlrev_b32_e32 v22, 16, v14
	v_add_f32_e32 v15, v20, v13
	v_div_fixup_f32 v14, v21, v16, 1.0
	v_add_f32_e32 v13, v19, v22
                                        ; implicit-def: $vgpr16
	v_fmac_f32_e32 v15, v13, v14
	v_cmp_ngt_f32_e64 s0, 0x3f200000, |v15|
	s_and_saveexec_b32 s37, s0
	s_xor_b32 s0, exec_lo, s37
	s_cbranch_execz .LBB46_12
; %bb.11:                               ;   in Loop: Header=BB46_3 Depth=1
	v_add_f32_e64 v16, |v15|, |v15|
	v_mul_f32_e32 v19, 0x3fb8aa3b, v16
	v_cmp_ngt_f32_e32 vcc_lo, 0xc2ce8ed0, v16
	v_rndne_f32_e32 v20, v19
	v_fma_f32 v21, 0x3fb8aa3b, v16, -v19
	v_sub_f32_e32 v19, v19, v20
	v_fmac_f32_e32 v21, 0x32a5705f, v16
	v_cvt_i32_f32_e32 v20, v20
	v_add_f32_e32 v19, v19, v21
	v_exp_f32_e32 v19, v19
	v_ldexp_f32 v19, v19, v20
	v_cndmask_b32_e32 v19, 0, v19, vcc_lo
	v_cmp_nlt_f32_e32 vcc_lo, 0x42b17218, v16
	v_cndmask_b32_e32 v16, 0x7f800000, v19, vcc_lo
	v_add_f32_e32 v16, 1.0, v16
	v_rcp_f32_e32 v16, v16
	v_fma_f32 v16, v16, -2.0, 1.0
.LBB46_12:                              ;   in Loop: Header=BB46_3 Depth=1
	s_andn2_saveexec_b32 s0, s0
	s_cbranch_execz .LBB46_2
; %bb.13:                               ;   in Loop: Header=BB46_3 Depth=1
	v_mul_f32_e32 v16, v15, v15
	v_fmaak_f32 v19, s43, v16, 0x3ca908c9
	v_fmaak_f32 v19, v16, v19, 0xbd5c1c4e
	;; [unrolled: 1-line block ×4, first 2 shown]
	v_mul_f32_e64 v19, |v15|, v19
	v_fma_f32 v16, v16, v19, |v15|
	s_branch .LBB46_2
.LBB46_14:
	s_endpgm
	.section	.rodata,"a",@progbits
	.p2align	6, 0x0
	.amdhsa_kernel _ZN2at6native12_GLOBAL__N_16kernel16gru_cell_forwardIN3c108BFloat16EflLi1EEEvNS_4cuda6detail10TensorInfoIT_T1_EESB_SB_SB_SB_SB_SB_SA_SA_
		.amdhsa_group_segment_fixed_size 0
		.amdhsa_private_segment_fixed_size 0
		.amdhsa_kernarg_size 3184
		.amdhsa_user_sgpr_count 6
		.amdhsa_user_sgpr_private_segment_buffer 1
		.amdhsa_user_sgpr_dispatch_ptr 0
		.amdhsa_user_sgpr_queue_ptr 0
		.amdhsa_user_sgpr_kernarg_segment_ptr 1
		.amdhsa_user_sgpr_dispatch_id 0
		.amdhsa_user_sgpr_flat_scratch_init 0
		.amdhsa_user_sgpr_private_segment_size 0
		.amdhsa_wavefront_size32 1
		.amdhsa_uses_dynamic_stack 0
		.amdhsa_system_sgpr_private_segment_wavefront_offset 0
		.amdhsa_system_sgpr_workgroup_id_x 1
		.amdhsa_system_sgpr_workgroup_id_y 0
		.amdhsa_system_sgpr_workgroup_id_z 0
		.amdhsa_system_sgpr_workgroup_info 0
		.amdhsa_system_vgpr_workitem_id 0
		.amdhsa_next_free_vgpr 41
		.amdhsa_next_free_sgpr 54
		.amdhsa_reserve_vcc 1
		.amdhsa_reserve_flat_scratch 0
		.amdhsa_float_round_mode_32 0
		.amdhsa_float_round_mode_16_64 0
		.amdhsa_float_denorm_mode_32 3
		.amdhsa_float_denorm_mode_16_64 3
		.amdhsa_dx10_clamp 1
		.amdhsa_ieee_mode 1
		.amdhsa_fp16_overflow 0
		.amdhsa_workgroup_processor_mode 1
		.amdhsa_memory_ordered 1
		.amdhsa_forward_progress 1
		.amdhsa_shared_vgpr_count 0
		.amdhsa_exception_fp_ieee_invalid_op 0
		.amdhsa_exception_fp_denorm_src 0
		.amdhsa_exception_fp_ieee_div_zero 0
		.amdhsa_exception_fp_ieee_overflow 0
		.amdhsa_exception_fp_ieee_underflow 0
		.amdhsa_exception_fp_ieee_inexact 0
		.amdhsa_exception_int_div_zero 0
	.end_amdhsa_kernel
	.section	.text._ZN2at6native12_GLOBAL__N_16kernel16gru_cell_forwardIN3c108BFloat16EflLi1EEEvNS_4cuda6detail10TensorInfoIT_T1_EESB_SB_SB_SB_SB_SB_SA_SA_,"axG",@progbits,_ZN2at6native12_GLOBAL__N_16kernel16gru_cell_forwardIN3c108BFloat16EflLi1EEEvNS_4cuda6detail10TensorInfoIT_T1_EESB_SB_SB_SB_SB_SB_SA_SA_,comdat
.Lfunc_end46:
	.size	_ZN2at6native12_GLOBAL__N_16kernel16gru_cell_forwardIN3c108BFloat16EflLi1EEEvNS_4cuda6detail10TensorInfoIT_T1_EESB_SB_SB_SB_SB_SB_SA_SA_, .Lfunc_end46-_ZN2at6native12_GLOBAL__N_16kernel16gru_cell_forwardIN3c108BFloat16EflLi1EEEvNS_4cuda6detail10TensorInfoIT_T1_EESB_SB_SB_SB_SB_SB_SA_SA_
                                        ; -- End function
	.set _ZN2at6native12_GLOBAL__N_16kernel16gru_cell_forwardIN3c108BFloat16EflLi1EEEvNS_4cuda6detail10TensorInfoIT_T1_EESB_SB_SB_SB_SB_SB_SA_SA_.num_vgpr, 41
	.set _ZN2at6native12_GLOBAL__N_16kernel16gru_cell_forwardIN3c108BFloat16EflLi1EEEvNS_4cuda6detail10TensorInfoIT_T1_EESB_SB_SB_SB_SB_SB_SA_SA_.num_agpr, 0
	.set _ZN2at6native12_GLOBAL__N_16kernel16gru_cell_forwardIN3c108BFloat16EflLi1EEEvNS_4cuda6detail10TensorInfoIT_T1_EESB_SB_SB_SB_SB_SB_SA_SA_.numbered_sgpr, 54
	.set _ZN2at6native12_GLOBAL__N_16kernel16gru_cell_forwardIN3c108BFloat16EflLi1EEEvNS_4cuda6detail10TensorInfoIT_T1_EESB_SB_SB_SB_SB_SB_SA_SA_.num_named_barrier, 0
	.set _ZN2at6native12_GLOBAL__N_16kernel16gru_cell_forwardIN3c108BFloat16EflLi1EEEvNS_4cuda6detail10TensorInfoIT_T1_EESB_SB_SB_SB_SB_SB_SA_SA_.private_seg_size, 0
	.set _ZN2at6native12_GLOBAL__N_16kernel16gru_cell_forwardIN3c108BFloat16EflLi1EEEvNS_4cuda6detail10TensorInfoIT_T1_EESB_SB_SB_SB_SB_SB_SA_SA_.uses_vcc, 1
	.set _ZN2at6native12_GLOBAL__N_16kernel16gru_cell_forwardIN3c108BFloat16EflLi1EEEvNS_4cuda6detail10TensorInfoIT_T1_EESB_SB_SB_SB_SB_SB_SA_SA_.uses_flat_scratch, 0
	.set _ZN2at6native12_GLOBAL__N_16kernel16gru_cell_forwardIN3c108BFloat16EflLi1EEEvNS_4cuda6detail10TensorInfoIT_T1_EESB_SB_SB_SB_SB_SB_SA_SA_.has_dyn_sized_stack, 0
	.set _ZN2at6native12_GLOBAL__N_16kernel16gru_cell_forwardIN3c108BFloat16EflLi1EEEvNS_4cuda6detail10TensorInfoIT_T1_EESB_SB_SB_SB_SB_SB_SA_SA_.has_recursion, 0
	.set _ZN2at6native12_GLOBAL__N_16kernel16gru_cell_forwardIN3c108BFloat16EflLi1EEEvNS_4cuda6detail10TensorInfoIT_T1_EESB_SB_SB_SB_SB_SB_SA_SA_.has_indirect_call, 0
	.section	.AMDGPU.csdata,"",@progbits
; Kernel info:
; codeLenInByte = 3684
; TotalNumSgprs: 56
; NumVgprs: 41
; ScratchSize: 0
; MemoryBound: 0
; FloatMode: 240
; IeeeMode: 1
; LDSByteSize: 0 bytes/workgroup (compile time only)
; SGPRBlocks: 0
; VGPRBlocks: 5
; NumSGPRsForWavesPerEU: 56
; NumVGPRsForWavesPerEU: 41
; Occupancy: 16
; WaveLimiterHint : 1
; COMPUTE_PGM_RSRC2:SCRATCH_EN: 0
; COMPUTE_PGM_RSRC2:USER_SGPR: 6
; COMPUTE_PGM_RSRC2:TRAP_HANDLER: 0
; COMPUTE_PGM_RSRC2:TGID_X_EN: 1
; COMPUTE_PGM_RSRC2:TGID_Y_EN: 0
; COMPUTE_PGM_RSRC2:TGID_Z_EN: 0
; COMPUTE_PGM_RSRC2:TIDIG_COMP_CNT: 0
	.section	.text._ZN2at6native12_GLOBAL__N_16kernel16gru_cell_forwardIN3c108BFloat16EflLi2EEEvNS_4cuda6detail10TensorInfoIT_T1_EESB_SB_SB_SB_SB_SB_SA_SA_,"axG",@progbits,_ZN2at6native12_GLOBAL__N_16kernel16gru_cell_forwardIN3c108BFloat16EflLi2EEEvNS_4cuda6detail10TensorInfoIT_T1_EESB_SB_SB_SB_SB_SB_SA_SA_,comdat
	.globl	_ZN2at6native12_GLOBAL__N_16kernel16gru_cell_forwardIN3c108BFloat16EflLi2EEEvNS_4cuda6detail10TensorInfoIT_T1_EESB_SB_SB_SB_SB_SB_SA_SA_ ; -- Begin function _ZN2at6native12_GLOBAL__N_16kernel16gru_cell_forwardIN3c108BFloat16EflLi2EEEvNS_4cuda6detail10TensorInfoIT_T1_EESB_SB_SB_SB_SB_SB_SA_SA_
	.p2align	8
	.type	_ZN2at6native12_GLOBAL__N_16kernel16gru_cell_forwardIN3c108BFloat16EflLi2EEEvNS_4cuda6detail10TensorInfoIT_T1_EESB_SB_SB_SB_SB_SB_SA_SA_,@function
_ZN2at6native12_GLOBAL__N_16kernel16gru_cell_forwardIN3c108BFloat16EflLi2EEEvNS_4cuda6detail10TensorInfoIT_T1_EESB_SB_SB_SB_SB_SB_SA_SA_: ; @_ZN2at6native12_GLOBAL__N_16kernel16gru_cell_forwardIN3c108BFloat16EflLi2EEEvNS_4cuda6detail10TensorInfoIT_T1_EESB_SB_SB_SB_SB_SB_SA_SA_
; %bb.0:
	s_clause 0x1
	s_load_dword s2, s[4:5], 0xb7c
	s_load_dwordx4 s[8:11], s[4:5], 0xb60
	v_mov_b32_e32 v1, 0
	s_add_u32 s0, s4, 0xb70
	s_addc_u32 s1, s5, 0
	s_waitcnt lgkmcnt(0)
	s_and_b32 s33, s2, 0xffff
	s_mov_b32 s2, exec_lo
	v_mad_u64_u32 v[3:4], null, s6, s33, v[0:1]
	v_mov_b32_e32 v4, v1
	v_cmpx_gt_i64_e64 s[10:11], v[3:4]
	s_cbranch_execz .LBB47_66
; %bb.1:
	v_cvt_f32_u32_e32 v0, s8
	s_clause 0x4
	s_load_dwordx2 s[2:3], s[4:5], 0x0
	s_load_dwordx2 s[28:29], s[4:5], 0x10
	;; [unrolled: 1-line block ×3, first 2 shown]
	s_load_dwordx4 s[12:15], s[4:5], 0xd0
	s_load_dwordx2 s[34:35], s[4:5], 0x1a0
	s_load_dword s0, s[0:1], 0x0
	s_clause 0xd
	s_load_dwordx2 s[36:37], s[4:5], 0x1b0
	s_load_dwordx4 s[16:19], s[4:5], 0x270
	s_load_dwordx2 s[38:39], s[4:5], 0x410
	s_load_dwordx2 s[40:41], s[4:5], 0x4e0
	;; [unrolled: 1-line block ×6, first 2 shown]
	s_load_dwordx4 s[20:23], s[4:5], 0x750
	s_load_dwordx2 s[50:51], s[4:5], 0x820
	s_load_dwordx4 s[24:27], s[4:5], 0x8f0
	s_load_dwordx2 s[52:53], s[4:5], 0x9c0
	s_load_dwordx2 s[54:55], s[4:5], 0x9d0
	s_load_dwordx4 s[4:7], s[4:5], 0xa90
	v_mov_b32_e32 v15, 0x7fc0
	v_rcp_iflag_f32_e32 v0, v0
	s_mov_b32 s66, 0
	s_mov_b32 s73, 0xbbbac73d
	s_waitcnt lgkmcnt(0)
	s_cmp_lg_u64 s[30:31], 0
	s_cselect_b32 s1, -1, 0
	s_lshl_b64 s[56:57], s[8:9], 1
	s_lshl_b64 s[58:59], s[8:9], 2
	v_mul_f32_e32 v0, 0x4f7ffffe, v0
	s_sub_u32 s67, 0, s8
	s_subb_u32 s68, 0, s9
	s_mul_i32 s33, s0, s33
	s_sub_u32 s69, 0, s46
	v_cvt_u32_f32_e32 v0, v0
	s_subb_u32 s70, 0, s47
	s_sub_u32 s71, 0, s48
	s_subb_u32 s72, 0, s49
	s_ashr_i32 s60, s9, 31
	s_branch .LBB47_3
.LBB47_2:                               ;   in Loop: Header=BB47_3 Depth=1
	s_or_b32 exec_lo, exec_lo, s0
	v_mul_lo_u32 v2, v8, s54
	v_mul_lo_u32 v11, v7, s55
	v_mad_u64_u32 v[9:10], null, v7, s54, 0
	v_mul_lo_u32 v14, v8, s4
	v_bfe_u32 v13, v12, 16, 1
	v_add3_u32 v2, v10, v11, v2
	v_sub_co_u32 v5, vcc_lo, v5, v9
	v_mul_lo_u32 v9, v7, s5
	v_add3_u32 v11, v12, v13, 0x7fff
	v_sub_co_ci_u32_e64 v2, null, v6, v2, vcc_lo
	v_add_co_u32 v8, vcc_lo, v3, v5
	v_mad_u64_u32 v[5:6], null, v7, s4, 0
	v_add_co_ci_u32_e64 v2, null, v4, v2, vcc_lo
	v_mul_lo_u32 v10, v8, s7
	v_mad_u64_u32 v[7:8], null, v8, s6, 0
	v_mul_lo_u32 v2, v2, s6
	v_add3_u32 v6, v6, v9, v14
	v_cmp_o_f32_e32 vcc_lo, v12, v12
	v_lshlrev_b64 v[5:6], 1, v[5:6]
	v_cndmask_b32_sdwa v9, v15, v11, vcc_lo dst_sel:DWORD dst_unused:UNUSED_PAD src0_sel:DWORD src1_sel:WORD_1
	v_add3_u32 v8, v8, v10, v2
	v_add_co_u32 v3, vcc_lo, v3, s33
	v_add_co_ci_u32_e64 v4, null, 0, v4, vcc_lo
	v_lshlrev_b64 v[7:8], 1, v[7:8]
	v_add_co_u32 v2, vcc_lo, s52, v5
	v_add_co_ci_u32_e64 v6, null, s53, v6, vcc_lo
	v_cmp_le_i64_e32 vcc_lo, s[10:11], v[3:4]
	v_add_co_u32 v5, s0, v2, v7
	v_add_co_ci_u32_e64 v6, null, v6, v8, s0
	s_or_b32 s66, vcc_lo, s66
	global_store_short v[5:6], v9, off
	s_andn2_b32 exec_lo, exec_lo, s66
	s_cbranch_execz .LBB47_66
.LBB47_3:                               ; =>This Inner Loop Header: Depth=1
	v_or_b32_e32 v2, s9, v4
	v_ashrrev_i32_e32 v16, 31, v4
                                        ; implicit-def: $vgpr5_vgpr6
	s_mov_b32 s0, exec_lo
	v_cmpx_ne_u64_e32 0, v[1:2]
	s_xor_b32 s64, exec_lo, s0
	s_cbranch_execz .LBB47_5
; %bb.4:                                ;   in Loop: Header=BB47_3 Depth=1
	s_add_u32 s62, s8, s60
	s_mov_b32 s61, s60
	s_addc_u32 s63, s9, s60
	v_add_co_u32 v6, vcc_lo, v3, v16
	s_xor_b64 s[62:63], s[62:63], s[60:61]
	v_add_co_ci_u32_e64 v7, null, v4, v16, vcc_lo
	v_cvt_f32_u32_e32 v2, s62
	v_cvt_f32_u32_e32 v5, s63
	s_sub_u32 s65, 0, s62
	s_subb_u32 s74, 0, s63
	v_xor_b32_e32 v11, v7, v16
	v_fmac_f32_e32 v2, 0x4f800000, v5
	v_rcp_f32_e32 v2, v2
	v_mul_f32_e32 v2, 0x5f7ffffc, v2
	v_mul_f32_e32 v5, 0x2f800000, v2
	v_trunc_f32_e32 v5, v5
	v_fmac_f32_e32 v2, 0xcf800000, v5
	v_cvt_u32_f32_e32 v5, v5
	v_cvt_u32_f32_e32 v2, v2
	v_readfirstlane_b32 s0, v5
	v_readfirstlane_b32 s61, v2
	s_mul_i32 s75, s65, s0
	v_xor_b32_e32 v2, v6, v16
	s_mul_hi_u32 s77, s65, s61
	s_mul_i32 s76, s74, s61
	s_add_i32 s75, s77, s75
	s_mul_i32 s78, s65, s61
	s_add_i32 s75, s75, s76
	s_mul_hi_u32 s77, s61, s78
	s_mul_i32 s80, s61, s75
	s_mul_hi_u32 s79, s0, s78
	s_mul_i32 s76, s0, s78
	s_mul_hi_u32 s78, s61, s75
	s_add_u32 s77, s77, s80
	s_addc_u32 s78, 0, s78
	s_mul_hi_u32 s81, s0, s75
	s_add_u32 s76, s77, s76
	s_mul_i32 s75, s0, s75
	s_addc_u32 s76, s78, s79
	s_addc_u32 s77, s81, 0
	s_add_u32 s75, s76, s75
	s_addc_u32 s76, 0, s77
	s_add_u32 s61, s61, s75
	s_cselect_b32 s75, -1, 0
	s_mul_hi_u32 s77, s65, s61
	s_cmp_lg_u32 s75, 0
	s_mul_i32 s75, s65, s61
	s_addc_u32 s0, s0, s76
	s_mul_i32 s74, s74, s61
	s_mul_i32 s65, s65, s0
	s_mul_hi_u32 s76, s61, s75
	s_add_i32 s65, s77, s65
	s_mul_hi_u32 s77, s0, s75
	s_add_i32 s65, s65, s74
	s_mul_i32 s74, s0, s75
	s_mul_i32 s79, s61, s65
	s_mul_hi_u32 s78, s61, s65
	s_add_u32 s76, s76, s79
	s_addc_u32 s78, 0, s78
	s_mul_hi_u32 s75, s0, s65
	s_add_u32 s74, s76, s74
	s_mul_i32 s65, s0, s65
	s_addc_u32 s74, s78, s77
	s_addc_u32 s75, s75, 0
	s_add_u32 s65, s74, s65
	s_addc_u32 s74, 0, s75
	s_add_u32 s61, s61, s65
	s_cselect_b32 s65, -1, 0
	v_mul_hi_u32 v12, v2, s61
	s_cmp_lg_u32 s65, 0
	v_mad_u64_u32 v[7:8], null, v11, s61, 0
	s_addc_u32 s0, s0, s74
	v_mad_u64_u32 v[5:6], null, v2, s0, 0
	v_mad_u64_u32 v[9:10], null, v11, s0, 0
	v_add_co_u32 v5, vcc_lo, v12, v5
	v_add_co_ci_u32_e64 v6, null, 0, v6, vcc_lo
	v_add_co_u32 v5, vcc_lo, v5, v7
	v_add_co_ci_u32_e32 v5, vcc_lo, v6, v8, vcc_lo
	v_add_co_ci_u32_e32 v6, vcc_lo, 0, v10, vcc_lo
	v_add_co_u32 v7, vcc_lo, v5, v9
	v_add_co_ci_u32_e64 v8, null, 0, v6, vcc_lo
	v_mul_lo_u32 v9, s63, v7
	v_mad_u64_u32 v[5:6], null, s62, v7, 0
	v_mul_lo_u32 v10, s62, v8
	v_sub_co_u32 v2, vcc_lo, v2, v5
	v_add3_u32 v6, v6, v10, v9
	v_sub_nc_u32_e32 v9, v11, v6
	v_sub_co_ci_u32_e64 v6, null, v11, v6, vcc_lo
	v_subrev_co_ci_u32_e64 v5, null, s63, v9, vcc_lo
	v_add_co_u32 v9, s0, v7, 2
	v_add_co_ci_u32_e64 v10, null, 0, v8, s0
	v_sub_co_u32 v12, s0, v2, s62
	v_subrev_co_ci_u32_e64 v5, null, 0, v5, s0
	v_cmp_le_u32_e32 vcc_lo, s62, v12
	v_cndmask_b32_e64 v11, 0, -1, vcc_lo
	v_cmp_le_u32_e32 vcc_lo, s63, v5
	v_cndmask_b32_e64 v12, 0, -1, vcc_lo
	;; [unrolled: 2-line block ×4, first 2 shown]
	v_cmp_eq_u32_e32 vcc_lo, s63, v5
	v_cndmask_b32_e32 v5, v12, v11, vcc_lo
	v_add_co_u32 v11, vcc_lo, v7, 1
	v_add_co_ci_u32_e64 v12, null, 0, v8, vcc_lo
	v_cmp_eq_u32_e32 vcc_lo, s63, v6
	v_xor_b32_e32 v6, s60, v16
	v_cndmask_b32_e32 v2, v13, v2, vcc_lo
	v_cmp_ne_u32_e32 vcc_lo, 0, v5
	v_cmp_ne_u32_e64 s0, 0, v2
	v_cndmask_b32_e32 v2, v11, v9, vcc_lo
	v_cndmask_b32_e32 v5, v12, v10, vcc_lo
	v_cndmask_b32_e64 v2, v7, v2, s0
	v_cndmask_b32_e64 v5, v8, v5, s0
	v_xor_b32_e32 v2, v2, v6
	v_xor_b32_e32 v7, v5, v6
	v_sub_co_u32 v5, vcc_lo, v2, v6
	v_sub_co_ci_u32_e64 v6, null, v7, v6, vcc_lo
.LBB47_5:                               ;   in Loop: Header=BB47_3 Depth=1
	s_andn2_saveexec_b32 s0, s64
	s_cbranch_execz .LBB47_7
; %bb.6:                                ;   in Loop: Header=BB47_3 Depth=1
	s_sub_i32 s61, 0, s8
	v_mul_lo_u32 v2, s61, v0
	v_mul_hi_u32 v2, v0, v2
	v_add_nc_u32_e32 v2, v0, v2
	v_mul_hi_u32 v2, v3, v2
	v_mul_lo_u32 v5, v2, s8
	v_add_nc_u32_e32 v6, 1, v2
	v_sub_nc_u32_e32 v5, v3, v5
	v_subrev_nc_u32_e32 v7, s8, v5
	v_cmp_le_u32_e32 vcc_lo, s8, v5
	v_cndmask_b32_e32 v5, v5, v7, vcc_lo
	v_cndmask_b32_e32 v2, v2, v6, vcc_lo
	v_cmp_le_u32_e32 vcc_lo, s8, v5
	v_add_nc_u32_e32 v6, 1, v2
	v_cndmask_b32_e32 v5, v2, v6, vcc_lo
	v_mov_b32_e32 v6, v1
.LBB47_7:                               ;   in Loop: Header=BB47_3 Depth=1
	s_or_b32 exec_lo, exec_lo, s0
	v_mul_lo_u32 v2, s57, v5
	v_mul_lo_u32 v9, s56, v6
	v_mad_u64_u32 v[7:8], null, s56, v5, 0
	s_mov_b32 s0, exec_lo
	v_add3_u32 v8, v8, v9, v2
	v_add_co_u32 v23, vcc_lo, v3, v7
                                        ; implicit-def: $vgpr9_vgpr10
	v_add_co_ci_u32_e64 v26, null, v4, v8, vcc_lo
	v_or_b32_e32 v2, s29, v26
	v_ashrrev_i32_e32 v20, 31, v26
	v_cmpx_ne_u64_e32 0, v[1:2]
	s_xor_b32 s61, exec_lo, s0
	s_cbranch_execz .LBB47_9
; %bb.8:                                ;   in Loop: Header=BB47_3 Depth=1
	s_ashr_i32 s62, s29, 31
	v_add_co_u32 v10, vcc_lo, v23, v20
	s_add_u32 s64, s28, s62
	s_mov_b32 s63, s62
	s_addc_u32 s65, s29, s62
	v_add_co_ci_u32_e64 v11, null, v26, v20, vcc_lo
	s_xor_b64 s[64:65], s[64:65], s[62:63]
	v_cvt_f32_u32_e32 v2, s64
	v_cvt_f32_u32_e32 v9, s65
	s_sub_u32 s74, 0, s64
	s_subb_u32 s75, 0, s65
	v_xor_b32_e32 v17, v11, v20
	v_fmac_f32_e32 v2, 0x4f800000, v9
	v_rcp_f32_e32 v2, v2
	v_mul_f32_e32 v2, 0x5f7ffffc, v2
	v_mul_f32_e32 v9, 0x2f800000, v2
	v_trunc_f32_e32 v9, v9
	v_fmac_f32_e32 v2, 0xcf800000, v9
	v_cvt_u32_f32_e32 v9, v9
	v_cvt_u32_f32_e32 v2, v2
	v_readfirstlane_b32 s0, v9
	v_readfirstlane_b32 s63, v2
	s_mul_i32 s76, s74, s0
	v_xor_b32_e32 v2, v10, v20
	s_mul_hi_u32 s78, s74, s63
	s_mul_i32 s77, s75, s63
	s_add_i32 s76, s78, s76
	s_mul_i32 s79, s74, s63
	s_add_i32 s76, s76, s77
	s_mul_hi_u32 s78, s63, s79
	s_mul_i32 s81, s63, s76
	s_mul_hi_u32 s80, s0, s79
	s_mul_i32 s77, s0, s79
	s_mul_hi_u32 s79, s63, s76
	s_add_u32 s78, s78, s81
	s_addc_u32 s79, 0, s79
	s_mul_hi_u32 s82, s0, s76
	s_add_u32 s77, s78, s77
	s_mul_i32 s76, s0, s76
	s_addc_u32 s77, s79, s80
	s_addc_u32 s78, s82, 0
	s_add_u32 s76, s77, s76
	s_addc_u32 s77, 0, s78
	s_add_u32 s63, s63, s76
	s_cselect_b32 s76, -1, 0
	s_mul_hi_u32 s78, s74, s63
	s_cmp_lg_u32 s76, 0
	s_mul_i32 s76, s74, s63
	s_addc_u32 s0, s0, s77
	s_mul_i32 s75, s75, s63
	s_mul_i32 s74, s74, s0
	s_mul_hi_u32 s77, s63, s76
	s_add_i32 s74, s78, s74
	s_mul_hi_u32 s78, s0, s76
	s_add_i32 s74, s74, s75
	s_mul_i32 s75, s0, s76
	s_mul_i32 s80, s63, s74
	s_mul_hi_u32 s79, s63, s74
	s_add_u32 s77, s77, s80
	s_addc_u32 s79, 0, s79
	s_mul_hi_u32 s76, s0, s74
	s_add_u32 s75, s77, s75
	s_mul_i32 s74, s0, s74
	s_addc_u32 s75, s79, s78
	s_addc_u32 s76, s76, 0
	s_add_u32 s74, s75, s74
	s_addc_u32 s75, 0, s76
	s_add_u32 s63, s63, s74
	s_cselect_b32 s74, -1, 0
	v_mul_hi_u32 v18, v2, s63
	s_cmp_lg_u32 s74, 0
	v_mad_u64_u32 v[11:12], null, v17, s63, 0
	s_addc_u32 s0, s0, s75
	v_mad_u64_u32 v[9:10], null, v2, s0, 0
	v_mad_u64_u32 v[13:14], null, v17, s0, 0
	v_add_co_u32 v9, vcc_lo, v18, v9
	v_add_co_ci_u32_e64 v10, null, 0, v10, vcc_lo
	v_add_co_u32 v9, vcc_lo, v9, v11
	v_add_co_ci_u32_e32 v9, vcc_lo, v10, v12, vcc_lo
	v_add_co_ci_u32_e32 v10, vcc_lo, 0, v14, vcc_lo
	v_add_co_u32 v11, vcc_lo, v9, v13
	v_add_co_ci_u32_e64 v12, null, 0, v10, vcc_lo
	v_mul_lo_u32 v13, s65, v11
	v_mad_u64_u32 v[9:10], null, s64, v11, 0
	v_mul_lo_u32 v14, s64, v12
	v_sub_co_u32 v2, vcc_lo, v2, v9
	v_add3_u32 v10, v10, v14, v13
	v_sub_nc_u32_e32 v13, v17, v10
	v_sub_co_ci_u32_e64 v10, null, v17, v10, vcc_lo
	v_subrev_co_ci_u32_e64 v9, null, s65, v13, vcc_lo
	v_add_co_u32 v13, s0, v11, 2
	v_add_co_ci_u32_e64 v14, null, 0, v12, s0
	v_sub_co_u32 v18, s0, v2, s64
	v_subrev_co_ci_u32_e64 v9, null, 0, v9, s0
	v_cmp_le_u32_e32 vcc_lo, s64, v18
	v_cndmask_b32_e64 v17, 0, -1, vcc_lo
	v_cmp_le_u32_e32 vcc_lo, s65, v9
	v_cndmask_b32_e64 v18, 0, -1, vcc_lo
	;; [unrolled: 2-line block ×4, first 2 shown]
	v_cmp_eq_u32_e32 vcc_lo, s65, v9
	v_cndmask_b32_e32 v9, v18, v17, vcc_lo
	v_add_co_u32 v17, vcc_lo, v11, 1
	v_add_co_ci_u32_e64 v18, null, 0, v12, vcc_lo
	v_cmp_eq_u32_e32 vcc_lo, s65, v10
	v_xor_b32_e32 v10, s62, v20
	v_cndmask_b32_e32 v2, v19, v2, vcc_lo
	v_cmp_ne_u32_e32 vcc_lo, 0, v9
	v_cmp_ne_u32_e64 s0, 0, v2
	v_cndmask_b32_e32 v2, v17, v13, vcc_lo
	v_cndmask_b32_e32 v9, v18, v14, vcc_lo
	v_cndmask_b32_e64 v2, v11, v2, s0
	v_cndmask_b32_e64 v9, v12, v9, s0
	v_xor_b32_e32 v2, v2, v10
	v_xor_b32_e32 v11, v9, v10
	v_sub_co_u32 v9, vcc_lo, v2, v10
	v_sub_co_ci_u32_e64 v10, null, v11, v10, vcc_lo
.LBB47_9:                               ;   in Loop: Header=BB47_3 Depth=1
	s_or_saveexec_b32 s0, s61
	v_cvt_f32_u32_e32 v19, s28
	s_xor_b32 exec_lo, exec_lo, s0
	s_cbranch_execz .LBB47_11
; %bb.10:                               ;   in Loop: Header=BB47_3 Depth=1
	v_rcp_iflag_f32_e32 v2, v19
	s_sub_i32 s61, 0, s28
	v_mul_f32_e32 v2, 0x4f7ffffe, v2
	v_cvt_u32_f32_e32 v2, v2
	v_mul_lo_u32 v9, s61, v2
	v_mul_hi_u32 v9, v2, v9
	v_add_nc_u32_e32 v2, v2, v9
	v_mul_hi_u32 v2, v23, v2
	v_mul_lo_u32 v9, v2, s28
	v_add_nc_u32_e32 v10, 1, v2
	v_sub_nc_u32_e32 v9, v23, v9
	v_subrev_nc_u32_e32 v11, s28, v9
	v_cmp_le_u32_e32 vcc_lo, s28, v9
	v_cndmask_b32_e32 v9, v9, v11, vcc_lo
	v_cndmask_b32_e32 v2, v2, v10, vcc_lo
	v_cmp_le_u32_e32 vcc_lo, s28, v9
	v_add_nc_u32_e32 v10, 1, v2
	v_cndmask_b32_e32 v9, v2, v10, vcc_lo
	v_mov_b32_e32 v10, v1
.LBB47_11:                              ;   in Loop: Header=BB47_3 Depth=1
	s_or_b32 exec_lo, exec_lo, s0
	v_mul_lo_u32 v2, v10, s28
	v_mul_lo_u32 v13, v9, s29
	v_mad_u64_u32 v[11:12], null, v9, s28, 0
	v_mul_lo_u32 v14, v9, s13
	s_mov_b32 s0, exec_lo
	v_add3_u32 v2, v12, v13, v2
	v_mul_lo_u32 v13, v10, s12
	v_sub_co_u32 v10, vcc_lo, v7, v11
	v_sub_co_ci_u32_e64 v2, null, v8, v2, vcc_lo
	v_add_co_u32 v11, vcc_lo, v3, v10
	v_mad_u64_u32 v[9:10], null, v9, s12, 0
	v_add_co_ci_u32_e64 v2, null, v4, v2, vcc_lo
	v_mul_lo_u32 v17, v11, s15
	v_mad_u64_u32 v[11:12], null, v11, s14, 0
	v_mul_lo_u32 v2, v2, s14
	v_add3_u32 v10, v10, v14, v13
	v_lshlrev_b64 v[9:10], 1, v[9:10]
	v_add3_u32 v12, v12, v17, v2
	v_add_co_u32 v2, vcc_lo, s2, v9
	v_lshlrev_b64 v[11:12], 1, v[11:12]
	v_add_co_ci_u32_e64 v10, null, s3, v10, vcc_lo
	v_add_co_u32 v9, vcc_lo, v2, v11
	v_add_co_ci_u32_e64 v10, null, v10, v12, vcc_lo
	v_lshlrev_b64 v[11:12], 1, v[5:6]
	v_alignbit_b32 v2, v6, v5, 31
	global_load_ushort v17, v[9:10], off
	v_mul_lo_u32 v2, s8, v2
	v_mul_lo_u32 v13, s9, v11
	v_mad_u64_u32 v[9:10], null, s8, v11, s[8:9]
	v_add3_u32 v10, v13, v10, v2
	v_add_co_u32 v24, vcc_lo, v3, v9
                                        ; implicit-def: $vgpr13_vgpr14
	v_add_co_ci_u32_e64 v27, null, v4, v10, vcc_lo
	v_or_b32_e32 v2, s29, v27
	v_ashrrev_i32_e32 v21, 31, v27
	v_cmpx_ne_u64_e32 0, v[1:2]
	s_xor_b32 s61, exec_lo, s0
	s_cbranch_execz .LBB47_13
; %bb.12:                               ;   in Loop: Header=BB47_3 Depth=1
	s_ashr_i32 s62, s29, 31
	v_add_co_u32 v14, vcc_lo, v24, v21
	s_add_u32 s64, s28, s62
	s_mov_b32 s63, s62
	s_addc_u32 s65, s29, s62
	v_add_co_ci_u32_e64 v18, null, v27, v21, vcc_lo
	s_xor_b64 s[64:65], s[64:65], s[62:63]
	v_cvt_f32_u32_e32 v2, s64
	v_cvt_f32_u32_e32 v13, s65
	s_sub_u32 s74, 0, s64
	s_subb_u32 s75, 0, s65
	v_xor_b32_e32 v18, v18, v21
	v_fmac_f32_e32 v2, 0x4f800000, v13
	v_rcp_f32_e32 v2, v2
	v_mul_f32_e32 v2, 0x5f7ffffc, v2
	v_mul_f32_e32 v13, 0x2f800000, v2
	v_trunc_f32_e32 v13, v13
	v_fmac_f32_e32 v2, 0xcf800000, v13
	v_cvt_u32_f32_e32 v13, v13
	v_cvt_u32_f32_e32 v2, v2
	v_readfirstlane_b32 s0, v13
	v_readfirstlane_b32 s63, v2
	s_mul_i32 s76, s74, s0
	v_xor_b32_e32 v2, v14, v21
	s_mul_hi_u32 s78, s74, s63
	s_mul_i32 s77, s75, s63
	s_add_i32 s76, s78, s76
	s_mul_i32 s79, s74, s63
	s_add_i32 s76, s76, s77
	s_mul_hi_u32 s78, s63, s79
	s_mul_i32 s81, s63, s76
	s_mul_hi_u32 s80, s0, s79
	s_mul_i32 s77, s0, s79
	s_mul_hi_u32 s79, s63, s76
	s_add_u32 s78, s78, s81
	s_addc_u32 s79, 0, s79
	s_mul_hi_u32 s82, s0, s76
	s_add_u32 s77, s78, s77
	s_mul_i32 s76, s0, s76
	s_addc_u32 s77, s79, s80
	s_addc_u32 s78, s82, 0
	s_add_u32 s76, s77, s76
	s_addc_u32 s77, 0, s78
	s_add_u32 s63, s63, s76
	s_cselect_b32 s76, -1, 0
	s_mul_hi_u32 s78, s74, s63
	s_cmp_lg_u32 s76, 0
	s_mul_i32 s76, s74, s63
	s_addc_u32 s0, s0, s77
	s_mul_i32 s75, s75, s63
	s_mul_i32 s74, s74, s0
	s_mul_hi_u32 s77, s63, s76
	s_add_i32 s74, s78, s74
	s_mul_hi_u32 s78, s0, s76
	s_add_i32 s74, s74, s75
	s_mul_i32 s75, s0, s76
	s_mul_i32 s80, s63, s74
	s_mul_hi_u32 s79, s63, s74
	s_add_u32 s77, s77, s80
	s_addc_u32 s79, 0, s79
	s_mul_hi_u32 s76, s0, s74
	s_add_u32 s75, s77, s75
	s_mul_i32 s74, s0, s74
	s_addc_u32 s75, s79, s78
	s_addc_u32 s76, s76, 0
	s_add_u32 s74, s75, s74
	s_addc_u32 s75, 0, s76
	s_add_u32 s63, s63, s74
	s_cselect_b32 s74, -1, 0
	v_mul_hi_u32 v22, v2, s63
	s_cmp_lg_u32 s74, 0
	v_mad_u64_u32 v[28:29], null, v18, s63, 0
	s_addc_u32 s0, s0, s75
	v_mad_u64_u32 v[13:14], null, v2, s0, 0
	v_mad_u64_u32 v[30:31], null, v18, s0, 0
	v_add_co_u32 v13, vcc_lo, v22, v13
	v_add_co_ci_u32_e64 v14, null, 0, v14, vcc_lo
	v_add_co_u32 v13, vcc_lo, v13, v28
	v_add_co_ci_u32_e32 v13, vcc_lo, v14, v29, vcc_lo
	v_add_co_ci_u32_e32 v14, vcc_lo, 0, v31, vcc_lo
	v_add_co_u32 v22, vcc_lo, v13, v30
	v_add_co_ci_u32_e64 v25, null, 0, v14, vcc_lo
	v_mul_lo_u32 v28, s65, v22
	v_mad_u64_u32 v[13:14], null, s64, v22, 0
	v_mul_lo_u32 v29, s64, v25
	v_sub_co_u32 v2, vcc_lo, v2, v13
	v_add3_u32 v14, v14, v29, v28
	v_sub_nc_u32_e32 v28, v18, v14
	v_sub_co_ci_u32_e64 v14, null, v18, v14, vcc_lo
	v_subrev_co_ci_u32_e64 v13, null, s65, v28, vcc_lo
	v_add_co_u32 v28, s0, v22, 2
	v_add_co_ci_u32_e64 v29, null, 0, v25, s0
	v_sub_co_u32 v30, s0, v2, s64
	v_subrev_co_ci_u32_e64 v13, null, 0, v13, s0
	v_cmp_le_u32_e32 vcc_lo, s64, v30
	v_cndmask_b32_e64 v18, 0, -1, vcc_lo
	v_cmp_le_u32_e32 vcc_lo, s65, v13
	v_cndmask_b32_e64 v30, 0, -1, vcc_lo
	;; [unrolled: 2-line block ×4, first 2 shown]
	v_cmp_eq_u32_e32 vcc_lo, s65, v13
	v_cndmask_b32_e32 v13, v30, v18, vcc_lo
	v_add_co_u32 v18, vcc_lo, v22, 1
	v_add_co_ci_u32_e64 v30, null, 0, v25, vcc_lo
	v_cmp_eq_u32_e32 vcc_lo, s65, v14
	v_xor_b32_e32 v14, s62, v21
	v_cndmask_b32_e32 v2, v31, v2, vcc_lo
	v_cmp_ne_u32_e32 vcc_lo, 0, v13
	v_cmp_ne_u32_e64 s0, 0, v2
	v_cndmask_b32_e32 v2, v18, v28, vcc_lo
	v_cndmask_b32_e32 v13, v30, v29, vcc_lo
	v_cndmask_b32_e64 v2, v22, v2, s0
	v_cndmask_b32_e64 v13, v25, v13, s0
	v_xor_b32_e32 v2, v2, v14
	v_xor_b32_e32 v18, v13, v14
	v_sub_co_u32 v13, vcc_lo, v2, v14
	v_sub_co_ci_u32_e64 v14, null, v18, v14, vcc_lo
.LBB47_13:                              ;   in Loop: Header=BB47_3 Depth=1
	s_andn2_saveexec_b32 s0, s61
	s_cbranch_execz .LBB47_15
; %bb.14:                               ;   in Loop: Header=BB47_3 Depth=1
	v_rcp_iflag_f32_e32 v2, v19
	s_sub_i32 s61, 0, s28
	v_mul_f32_e32 v2, 0x4f7ffffe, v2
	v_cvt_u32_f32_e32 v2, v2
	v_mul_lo_u32 v13, s61, v2
	v_mul_hi_u32 v13, v2, v13
	v_add_nc_u32_e32 v2, v2, v13
	v_mul_hi_u32 v2, v24, v2
	v_mul_lo_u32 v13, v2, s28
	v_add_nc_u32_e32 v14, 1, v2
	v_sub_nc_u32_e32 v13, v24, v13
	v_subrev_nc_u32_e32 v18, s28, v13
	v_cmp_le_u32_e32 vcc_lo, s28, v13
	v_cndmask_b32_e32 v13, v13, v18, vcc_lo
	v_cndmask_b32_e32 v2, v2, v14, vcc_lo
	v_cmp_le_u32_e32 vcc_lo, s28, v13
	v_add_nc_u32_e32 v14, 1, v2
	v_cndmask_b32_e32 v13, v2, v14, vcc_lo
	v_mov_b32_e32 v14, v1
.LBB47_15:                              ;   in Loop: Header=BB47_3 Depth=1
	s_or_b32 exec_lo, exec_lo, s0
	v_mul_lo_u32 v2, v14, s28
	v_mul_lo_u32 v18, v13, s29
	v_mad_u64_u32 v[28:29], null, v13, s28, 0
	v_mul_lo_u32 v22, v13, s13
	s_mov_b32 s0, exec_lo
	v_add3_u32 v2, v29, v18, v2
	v_mul_lo_u32 v18, v14, s12
	v_sub_co_u32 v14, vcc_lo, v9, v28
	v_sub_co_ci_u32_e64 v2, null, v10, v2, vcc_lo
	v_add_co_u32 v25, vcc_lo, v3, v14
	v_mad_u64_u32 v[13:14], null, v13, s12, 0
	v_add_co_ci_u32_e64 v2, null, v4, v2, vcc_lo
	v_mul_lo_u32 v30, v25, s15
	v_mad_u64_u32 v[28:29], null, v25, s14, 0
	v_mul_lo_u32 v2, v2, s14
	v_add3_u32 v14, v14, v22, v18
	v_lshlrev_b64 v[13:14], 1, v[13:14]
	v_add3_u32 v29, v29, v30, v2
	v_add_co_u32 v2, vcc_lo, s2, v13
	v_lshlrev_b64 v[28:29], 1, v[28:29]
	v_add_co_ci_u32_e64 v14, null, s3, v14, vcc_lo
	v_add_co_u32 v13, vcc_lo, v2, v28
	v_add_co_ci_u32_e64 v14, null, v14, v29, vcc_lo
	v_add_co_u32 v2, vcc_lo, v11, 2
	v_add_co_ci_u32_e64 v11, null, 0, v12, vcc_lo
	global_load_ushort v18, v[13:14], off
	v_mul_lo_u32 v13, s9, v2
	v_mul_lo_u32 v14, s8, v11
	v_mad_u64_u32 v[11:12], null, s8, v2, 0
	v_add3_u32 v12, v12, v14, v13
	v_add_co_u32 v25, vcc_lo, v3, v11
                                        ; implicit-def: $vgpr13_vgpr14
	v_add_co_ci_u32_e64 v28, null, v4, v12, vcc_lo
	v_or_b32_e32 v2, s29, v28
	v_ashrrev_i32_e32 v22, 31, v28
	v_cmpx_ne_u64_e32 0, v[1:2]
	s_xor_b32 s61, exec_lo, s0
	s_cbranch_execz .LBB47_17
; %bb.16:                               ;   in Loop: Header=BB47_3 Depth=1
	s_ashr_i32 s62, s29, 31
	v_add_co_u32 v14, vcc_lo, v25, v22
	s_add_u32 s64, s28, s62
	s_mov_b32 s63, s62
	s_addc_u32 s65, s29, s62
	v_add_co_ci_u32_e64 v19, null, v28, v22, vcc_lo
	s_xor_b64 s[64:65], s[64:65], s[62:63]
	v_cvt_f32_u32_e32 v2, s64
	v_cvt_f32_u32_e32 v13, s65
	s_sub_u32 s74, 0, s64
	s_subb_u32 s75, 0, s65
	v_xor_b32_e32 v19, v19, v22
	v_fmac_f32_e32 v2, 0x4f800000, v13
	v_rcp_f32_e32 v2, v2
	v_mul_f32_e32 v2, 0x5f7ffffc, v2
	v_mul_f32_e32 v13, 0x2f800000, v2
	v_trunc_f32_e32 v13, v13
	v_fmac_f32_e32 v2, 0xcf800000, v13
	v_cvt_u32_f32_e32 v13, v13
	v_cvt_u32_f32_e32 v2, v2
	v_readfirstlane_b32 s0, v13
	v_readfirstlane_b32 s63, v2
	s_mul_i32 s76, s74, s0
	v_xor_b32_e32 v2, v14, v22
	s_mul_hi_u32 s78, s74, s63
	s_mul_i32 s77, s75, s63
	s_add_i32 s76, s78, s76
	s_mul_i32 s79, s74, s63
	s_add_i32 s76, s76, s77
	s_mul_hi_u32 s78, s63, s79
	s_mul_i32 s81, s63, s76
	s_mul_hi_u32 s80, s0, s79
	s_mul_i32 s77, s0, s79
	s_mul_hi_u32 s79, s63, s76
	s_add_u32 s78, s78, s81
	s_addc_u32 s79, 0, s79
	s_mul_hi_u32 s82, s0, s76
	s_add_u32 s77, s78, s77
	s_mul_i32 s76, s0, s76
	s_addc_u32 s77, s79, s80
	s_addc_u32 s78, s82, 0
	s_add_u32 s76, s77, s76
	s_addc_u32 s77, 0, s78
	s_add_u32 s63, s63, s76
	s_cselect_b32 s76, -1, 0
	s_mul_hi_u32 s78, s74, s63
	s_cmp_lg_u32 s76, 0
	s_mul_i32 s76, s74, s63
	s_addc_u32 s0, s0, s77
	s_mul_i32 s75, s75, s63
	s_mul_i32 s74, s74, s0
	s_mul_hi_u32 s77, s63, s76
	s_add_i32 s74, s78, s74
	s_mul_hi_u32 s78, s0, s76
	s_add_i32 s74, s74, s75
	s_mul_i32 s75, s0, s76
	s_mul_i32 s80, s63, s74
	s_mul_hi_u32 s79, s63, s74
	s_add_u32 s77, s77, s80
	s_addc_u32 s79, 0, s79
	s_mul_hi_u32 s76, s0, s74
	s_add_u32 s75, s77, s75
	s_mul_i32 s74, s0, s74
	s_addc_u32 s75, s79, s78
	s_addc_u32 s76, s76, 0
	s_add_u32 s74, s75, s74
	s_addc_u32 s75, 0, s76
	s_add_u32 s63, s63, s74
	s_cselect_b32 s74, -1, 0
	v_mul_hi_u32 v33, v2, s63
	s_cmp_lg_u32 s74, 0
	v_mad_u64_u32 v[29:30], null, v19, s63, 0
	s_addc_u32 s0, s0, s75
	v_mad_u64_u32 v[13:14], null, v2, s0, 0
	v_mad_u64_u32 v[31:32], null, v19, s0, 0
	v_add_co_u32 v13, vcc_lo, v33, v13
	v_add_co_ci_u32_e64 v14, null, 0, v14, vcc_lo
	v_add_co_u32 v13, vcc_lo, v13, v29
	v_add_co_ci_u32_e32 v13, vcc_lo, v14, v30, vcc_lo
	v_add_co_ci_u32_e32 v14, vcc_lo, 0, v32, vcc_lo
	v_add_co_u32 v29, vcc_lo, v13, v31
	v_add_co_ci_u32_e64 v30, null, 0, v14, vcc_lo
	v_mul_lo_u32 v31, s65, v29
	v_mad_u64_u32 v[13:14], null, s64, v29, 0
	v_mul_lo_u32 v32, s64, v30
	v_sub_co_u32 v2, vcc_lo, v2, v13
	v_add3_u32 v14, v14, v32, v31
	v_sub_nc_u32_e32 v31, v19, v14
	v_sub_co_ci_u32_e64 v14, null, v19, v14, vcc_lo
	v_subrev_co_ci_u32_e64 v13, null, s65, v31, vcc_lo
	v_add_co_u32 v31, s0, v29, 2
	v_add_co_ci_u32_e64 v32, null, 0, v30, s0
	v_sub_co_u32 v33, s0, v2, s64
	v_subrev_co_ci_u32_e64 v13, null, 0, v13, s0
	v_cmp_le_u32_e32 vcc_lo, s64, v33
	v_cndmask_b32_e64 v19, 0, -1, vcc_lo
	v_cmp_le_u32_e32 vcc_lo, s65, v13
	v_cndmask_b32_e64 v33, 0, -1, vcc_lo
	;; [unrolled: 2-line block ×4, first 2 shown]
	v_cmp_eq_u32_e32 vcc_lo, s65, v13
	v_cndmask_b32_e32 v13, v33, v19, vcc_lo
	v_add_co_u32 v19, vcc_lo, v29, 1
	v_add_co_ci_u32_e64 v33, null, 0, v30, vcc_lo
	v_cmp_eq_u32_e32 vcc_lo, s65, v14
	v_xor_b32_e32 v14, s62, v22
	v_cndmask_b32_e32 v2, v34, v2, vcc_lo
	v_cmp_ne_u32_e32 vcc_lo, 0, v13
	v_cmp_ne_u32_e64 s0, 0, v2
	v_cndmask_b32_e32 v2, v19, v31, vcc_lo
	v_cndmask_b32_e32 v13, v33, v32, vcc_lo
	v_cndmask_b32_e64 v2, v29, v2, s0
	v_cndmask_b32_e64 v13, v30, v13, s0
	v_xor_b32_e32 v2, v2, v14
	v_xor_b32_e32 v19, v13, v14
	v_sub_co_u32 v13, vcc_lo, v2, v14
	v_sub_co_ci_u32_e64 v14, null, v19, v14, vcc_lo
                                        ; implicit-def: $vgpr19
.LBB47_17:                              ;   in Loop: Header=BB47_3 Depth=1
	s_andn2_saveexec_b32 s0, s61
	s_cbranch_execz .LBB47_19
; %bb.18:                               ;   in Loop: Header=BB47_3 Depth=1
	v_rcp_iflag_f32_e32 v2, v19
	s_sub_i32 s61, 0, s28
	v_mul_f32_e32 v2, 0x4f7ffffe, v2
	v_cvt_u32_f32_e32 v2, v2
	v_mul_lo_u32 v13, s61, v2
	v_mul_hi_u32 v13, v2, v13
	v_add_nc_u32_e32 v2, v2, v13
	v_mul_hi_u32 v2, v25, v2
	v_mul_lo_u32 v13, v2, s28
	v_add_nc_u32_e32 v14, 1, v2
	v_sub_nc_u32_e32 v13, v25, v13
	v_subrev_nc_u32_e32 v19, s28, v13
	v_cmp_le_u32_e32 vcc_lo, s28, v13
	v_cndmask_b32_e32 v13, v13, v19, vcc_lo
	v_cndmask_b32_e32 v2, v2, v14, vcc_lo
	v_cmp_le_u32_e32 vcc_lo, s28, v13
	v_add_nc_u32_e32 v14, 1, v2
	v_cndmask_b32_e32 v13, v2, v14, vcc_lo
	v_mov_b32_e32 v14, v1
.LBB47_19:                              ;   in Loop: Header=BB47_3 Depth=1
	s_or_b32 exec_lo, exec_lo, s0
	v_mul_lo_u32 v2, v14, s28
	v_mul_lo_u32 v19, v13, s29
	v_mad_u64_u32 v[29:30], null, v13, s28, 0
	v_mul_lo_u32 v31, v13, s13
	s_mov_b32 s0, exec_lo
	v_add3_u32 v2, v30, v19, v2
	v_mul_lo_u32 v19, v14, s12
	v_sub_co_u32 v14, vcc_lo, v11, v29
	v_sub_co_ci_u32_e64 v2, null, v12, v2, vcc_lo
	v_add_co_u32 v29, vcc_lo, v3, v14
	v_mad_u64_u32 v[13:14], null, v13, s12, 0
	v_add_co_ci_u32_e64 v2, null, v4, v2, vcc_lo
	v_mul_lo_u32 v32, v29, s15
	v_mad_u64_u32 v[29:30], null, v29, s14, 0
	v_mul_lo_u32 v2, v2, s14
	v_add3_u32 v14, v14, v31, v19
	v_lshlrev_b64 v[13:14], 1, v[13:14]
	v_add3_u32 v30, v30, v32, v2
	v_add_co_u32 v2, vcc_lo, s2, v13
	v_lshlrev_b64 v[29:30], 1, v[29:30]
	v_add_co_ci_u32_e64 v14, null, s3, v14, vcc_lo
	v_add_co_u32 v13, vcc_lo, v2, v29
	v_add_co_ci_u32_e64 v14, null, v14, v30, vcc_lo
	v_or_b32_e32 v2, s37, v26
	global_load_ushort v19, v[13:14], off
                                        ; implicit-def: $vgpr13_vgpr14
	v_cmpx_ne_u64_e32 0, v[1:2]
	s_xor_b32 s61, exec_lo, s0
	s_cbranch_execz .LBB47_21
; %bb.20:                               ;   in Loop: Header=BB47_3 Depth=1
	s_ashr_i32 s62, s37, 31
	v_add_co_u32 v14, vcc_lo, v23, v20
	s_add_u32 s64, s36, s62
	s_mov_b32 s63, s62
	s_addc_u32 s65, s37, s62
	v_add_co_ci_u32_e64 v23, null, v26, v20, vcc_lo
	s_xor_b64 s[64:65], s[64:65], s[62:63]
	v_cvt_f32_u32_e32 v2, s64
	v_cvt_f32_u32_e32 v13, s65
	s_sub_u32 s74, 0, s64
	s_subb_u32 s75, 0, s65
	v_xor_b32_e32 v23, v23, v20
	v_fmac_f32_e32 v2, 0x4f800000, v13
	v_rcp_f32_e32 v2, v2
	v_mul_f32_e32 v2, 0x5f7ffffc, v2
	v_mul_f32_e32 v13, 0x2f800000, v2
	v_trunc_f32_e32 v13, v13
	v_fmac_f32_e32 v2, 0xcf800000, v13
	v_cvt_u32_f32_e32 v13, v13
	v_cvt_u32_f32_e32 v2, v2
	v_readfirstlane_b32 s0, v13
	v_readfirstlane_b32 s63, v2
	s_mul_i32 s76, s74, s0
	v_xor_b32_e32 v2, v14, v20
	s_mul_hi_u32 s78, s74, s63
	s_mul_i32 s77, s75, s63
	s_add_i32 s76, s78, s76
	s_mul_i32 s79, s74, s63
	s_add_i32 s76, s76, s77
	s_mul_hi_u32 s78, s63, s79
	s_mul_i32 s81, s63, s76
	s_mul_hi_u32 s80, s0, s79
	s_mul_i32 s77, s0, s79
	s_mul_hi_u32 s79, s63, s76
	s_add_u32 s78, s78, s81
	s_addc_u32 s79, 0, s79
	s_mul_hi_u32 s82, s0, s76
	s_add_u32 s77, s78, s77
	s_mul_i32 s76, s0, s76
	s_addc_u32 s77, s79, s80
	s_addc_u32 s78, s82, 0
	s_add_u32 s76, s77, s76
	s_addc_u32 s77, 0, s78
	s_add_u32 s63, s63, s76
	s_cselect_b32 s76, -1, 0
	s_mul_hi_u32 s78, s74, s63
	s_cmp_lg_u32 s76, 0
	s_mul_i32 s76, s74, s63
	s_addc_u32 s0, s0, s77
	s_mul_i32 s75, s75, s63
	s_mul_i32 s74, s74, s0
	s_mul_hi_u32 s77, s63, s76
	s_add_i32 s74, s78, s74
	s_mul_hi_u32 s78, s0, s76
	s_add_i32 s74, s74, s75
	s_mul_i32 s75, s0, s76
	s_mul_i32 s80, s63, s74
	s_mul_hi_u32 s79, s63, s74
	s_add_u32 s77, s77, s80
	s_addc_u32 s79, 0, s79
	s_mul_hi_u32 s76, s0, s74
	s_add_u32 s75, s77, s75
	s_mul_i32 s74, s0, s74
	s_addc_u32 s75, s79, s78
	s_addc_u32 s76, s76, 0
	s_add_u32 s74, s75, s74
	s_addc_u32 s75, 0, s76
	s_add_u32 s63, s63, s74
	s_cselect_b32 s74, -1, 0
	v_mul_hi_u32 v26, v2, s63
	s_cmp_lg_u32 s74, 0
	v_mad_u64_u32 v[29:30], null, v23, s63, 0
	s_addc_u32 s0, s0, s75
	v_mad_u64_u32 v[13:14], null, v2, s0, 0
	v_mad_u64_u32 v[31:32], null, v23, s0, 0
	v_add_co_u32 v13, vcc_lo, v26, v13
	v_add_co_ci_u32_e64 v14, null, 0, v14, vcc_lo
	v_add_co_u32 v13, vcc_lo, v13, v29
	v_add_co_ci_u32_e32 v13, vcc_lo, v14, v30, vcc_lo
	v_add_co_ci_u32_e32 v14, vcc_lo, 0, v32, vcc_lo
	v_add_co_u32 v26, vcc_lo, v13, v31
	v_add_co_ci_u32_e64 v29, null, 0, v14, vcc_lo
	v_mul_lo_u32 v30, s65, v26
	v_mad_u64_u32 v[13:14], null, s64, v26, 0
	v_mul_lo_u32 v31, s64, v29
	v_sub_co_u32 v2, vcc_lo, v2, v13
	v_add3_u32 v14, v14, v31, v30
	v_sub_nc_u32_e32 v30, v23, v14
	v_sub_co_ci_u32_e64 v14, null, v23, v14, vcc_lo
	v_subrev_co_ci_u32_e64 v13, null, s65, v30, vcc_lo
	v_add_co_u32 v30, s0, v26, 2
	v_add_co_ci_u32_e64 v31, null, 0, v29, s0
	v_sub_co_u32 v32, s0, v2, s64
	v_subrev_co_ci_u32_e64 v13, null, 0, v13, s0
	v_cmp_le_u32_e32 vcc_lo, s64, v32
	v_cndmask_b32_e64 v23, 0, -1, vcc_lo
	v_cmp_le_u32_e32 vcc_lo, s65, v13
	v_cndmask_b32_e64 v32, 0, -1, vcc_lo
	;; [unrolled: 2-line block ×4, first 2 shown]
	v_cmp_eq_u32_e32 vcc_lo, s65, v13
	v_cndmask_b32_e32 v13, v32, v23, vcc_lo
	v_add_co_u32 v23, vcc_lo, v26, 1
	v_add_co_ci_u32_e64 v32, null, 0, v29, vcc_lo
	v_cmp_eq_u32_e32 vcc_lo, s65, v14
	v_xor_b32_e32 v14, s62, v20
	v_cndmask_b32_e32 v2, v33, v2, vcc_lo
	v_cmp_ne_u32_e32 vcc_lo, 0, v13
	v_cmp_ne_u32_e64 s0, 0, v2
	v_cndmask_b32_e32 v2, v23, v30, vcc_lo
	v_cndmask_b32_e32 v13, v32, v31, vcc_lo
                                        ; implicit-def: $vgpr23
	v_cndmask_b32_e64 v2, v26, v2, s0
	v_cndmask_b32_e64 v13, v29, v13, s0
	v_xor_b32_e32 v2, v2, v14
	v_xor_b32_e32 v20, v13, v14
	v_sub_co_u32 v13, vcc_lo, v2, v14
	v_sub_co_ci_u32_e64 v14, null, v20, v14, vcc_lo
.LBB47_21:                              ;   in Loop: Header=BB47_3 Depth=1
	s_or_saveexec_b32 s0, s61
	v_cvt_f32_u32_e32 v20, s36
	s_xor_b32 exec_lo, exec_lo, s0
	s_cbranch_execz .LBB47_23
; %bb.22:                               ;   in Loop: Header=BB47_3 Depth=1
	v_rcp_iflag_f32_e32 v2, v20
	s_sub_i32 s61, 0, s36
	v_mul_f32_e32 v2, 0x4f7ffffe, v2
	v_cvt_u32_f32_e32 v2, v2
	v_mul_lo_u32 v13, s61, v2
	v_mul_hi_u32 v13, v2, v13
	v_add_nc_u32_e32 v2, v2, v13
	v_mul_hi_u32 v2, v23, v2
	v_mul_lo_u32 v13, v2, s36
	v_add_nc_u32_e32 v14, 1, v2
	v_sub_nc_u32_e32 v13, v23, v13
	v_subrev_nc_u32_e32 v23, s36, v13
	v_cmp_le_u32_e32 vcc_lo, s36, v13
	v_cndmask_b32_e32 v13, v13, v23, vcc_lo
	v_cndmask_b32_e32 v2, v2, v14, vcc_lo
	v_cmp_le_u32_e32 vcc_lo, s36, v13
	v_add_nc_u32_e32 v14, 1, v2
	v_cndmask_b32_e32 v13, v2, v14, vcc_lo
	v_mov_b32_e32 v14, v1
.LBB47_23:                              ;   in Loop: Header=BB47_3 Depth=1
	s_or_b32 exec_lo, exec_lo, s0
	v_mul_lo_u32 v2, v14, s36
	v_mul_lo_u32 v23, v13, s37
	v_mad_u64_u32 v[29:30], null, v13, s36, 0
	v_mul_lo_u32 v26, v13, s17
	s_mov_b32 s0, exec_lo
	v_add3_u32 v2, v30, v23, v2
	v_sub_co_u32 v7, vcc_lo, v7, v29
	v_mul_lo_u32 v23, v14, s16
	v_sub_co_ci_u32_e64 v2, null, v8, v2, vcc_lo
	v_add_co_u32 v14, vcc_lo, v3, v7
	v_mad_u64_u32 v[7:8], null, v13, s16, 0
	v_add_co_ci_u32_e64 v2, null, v4, v2, vcc_lo
	v_mul_lo_u32 v29, v14, s19
	v_mad_u64_u32 v[13:14], null, v14, s18, 0
	v_mul_lo_u32 v2, v2, s18
	v_add3_u32 v8, v8, v26, v23
	v_lshlrev_b64 v[7:8], 1, v[7:8]
	v_add3_u32 v14, v14, v29, v2
	v_add_co_u32 v2, vcc_lo, s34, v7
	v_lshlrev_b64 v[13:14], 1, v[13:14]
	v_add_co_ci_u32_e64 v8, null, s35, v8, vcc_lo
	v_add_co_u32 v7, vcc_lo, v2, v13
	v_add_co_ci_u32_e64 v8, null, v8, v14, vcc_lo
	v_or_b32_e32 v2, s37, v27
	global_load_ushort v13, v[7:8], off
                                        ; implicit-def: $vgpr7_vgpr8
	v_cmpx_ne_u64_e32 0, v[1:2]
	s_xor_b32 s61, exec_lo, s0
	s_cbranch_execz .LBB47_25
; %bb.24:                               ;   in Loop: Header=BB47_3 Depth=1
	s_ashr_i32 s62, s37, 31
	v_add_co_u32 v8, vcc_lo, v24, v21
	s_add_u32 s64, s36, s62
	s_mov_b32 s63, s62
	s_addc_u32 s65, s37, s62
	v_add_co_ci_u32_e64 v14, null, v27, v21, vcc_lo
	s_xor_b64 s[64:65], s[64:65], s[62:63]
	v_cvt_f32_u32_e32 v2, s64
	v_cvt_f32_u32_e32 v7, s65
	s_sub_u32 s74, 0, s64
	s_subb_u32 s75, 0, s65
	v_xor_b32_e32 v14, v14, v21
	v_fmac_f32_e32 v2, 0x4f800000, v7
	v_rcp_f32_e32 v2, v2
	v_mul_f32_e32 v2, 0x5f7ffffc, v2
	v_mul_f32_e32 v7, 0x2f800000, v2
	v_trunc_f32_e32 v7, v7
	v_fmac_f32_e32 v2, 0xcf800000, v7
	v_cvt_u32_f32_e32 v7, v7
	v_cvt_u32_f32_e32 v2, v2
	v_readfirstlane_b32 s0, v7
	v_readfirstlane_b32 s63, v2
	s_mul_i32 s76, s74, s0
	v_xor_b32_e32 v2, v8, v21
	s_mul_hi_u32 s78, s74, s63
	s_mul_i32 s77, s75, s63
	s_add_i32 s76, s78, s76
	s_mul_i32 s79, s74, s63
	s_add_i32 s76, s76, s77
	s_mul_hi_u32 s78, s63, s79
	s_mul_i32 s81, s63, s76
	s_mul_hi_u32 s80, s0, s79
	s_mul_i32 s77, s0, s79
	s_mul_hi_u32 s79, s63, s76
	s_add_u32 s78, s78, s81
	s_addc_u32 s79, 0, s79
	s_mul_hi_u32 s82, s0, s76
	s_add_u32 s77, s78, s77
	s_mul_i32 s76, s0, s76
	s_addc_u32 s77, s79, s80
	s_addc_u32 s78, s82, 0
	s_add_u32 s76, s77, s76
	s_addc_u32 s77, 0, s78
	s_add_u32 s63, s63, s76
	s_cselect_b32 s76, -1, 0
	s_mul_hi_u32 s78, s74, s63
	s_cmp_lg_u32 s76, 0
	s_mul_i32 s76, s74, s63
	s_addc_u32 s0, s0, s77
	s_mul_i32 s75, s75, s63
	s_mul_i32 s74, s74, s0
	s_mul_hi_u32 s77, s63, s76
	s_add_i32 s74, s78, s74
	s_mul_hi_u32 s78, s0, s76
	s_add_i32 s74, s74, s75
	s_mul_i32 s75, s0, s76
	s_mul_i32 s80, s63, s74
	s_mul_hi_u32 s79, s63, s74
	s_add_u32 s77, s77, s80
	s_addc_u32 s79, 0, s79
	s_mul_hi_u32 s76, s0, s74
	s_add_u32 s75, s77, s75
	s_mul_i32 s74, s0, s74
	s_addc_u32 s75, s79, s78
	s_addc_u32 s76, s76, 0
	s_add_u32 s74, s75, s74
	s_addc_u32 s75, 0, s76
	s_add_u32 s63, s63, s74
	s_cselect_b32 s74, -1, 0
	v_mul_hi_u32 v29, v2, s63
	s_cmp_lg_u32 s74, 0
	v_mad_u64_u32 v[23:24], null, v14, s63, 0
	s_addc_u32 s0, s0, s75
	v_mad_u64_u32 v[7:8], null, v2, s0, 0
	v_mad_u64_u32 v[26:27], null, v14, s0, 0
	v_add_co_u32 v7, vcc_lo, v29, v7
	v_add_co_ci_u32_e64 v8, null, 0, v8, vcc_lo
	v_add_co_u32 v7, vcc_lo, v7, v23
	v_add_co_ci_u32_e32 v7, vcc_lo, v8, v24, vcc_lo
	v_add_co_ci_u32_e32 v8, vcc_lo, 0, v27, vcc_lo
	v_add_co_u32 v23, vcc_lo, v7, v26
	v_add_co_ci_u32_e64 v24, null, 0, v8, vcc_lo
	v_mul_lo_u32 v26, s65, v23
	v_mad_u64_u32 v[7:8], null, s64, v23, 0
	v_mul_lo_u32 v27, s64, v24
	v_sub_co_u32 v2, vcc_lo, v2, v7
	v_add3_u32 v8, v8, v27, v26
	v_sub_nc_u32_e32 v26, v14, v8
	v_sub_co_ci_u32_e64 v8, null, v14, v8, vcc_lo
	v_subrev_co_ci_u32_e64 v7, null, s65, v26, vcc_lo
	v_add_co_u32 v26, s0, v23, 2
	v_add_co_ci_u32_e64 v27, null, 0, v24, s0
	v_sub_co_u32 v29, s0, v2, s64
	v_subrev_co_ci_u32_e64 v7, null, 0, v7, s0
	v_cmp_le_u32_e32 vcc_lo, s64, v29
	v_cndmask_b32_e64 v14, 0, -1, vcc_lo
	v_cmp_le_u32_e32 vcc_lo, s65, v7
	v_cndmask_b32_e64 v29, 0, -1, vcc_lo
	;; [unrolled: 2-line block ×4, first 2 shown]
	v_cmp_eq_u32_e32 vcc_lo, s65, v7
	v_cndmask_b32_e32 v7, v29, v14, vcc_lo
	v_add_co_u32 v14, vcc_lo, v23, 1
	v_add_co_ci_u32_e64 v29, null, 0, v24, vcc_lo
	v_cmp_eq_u32_e32 vcc_lo, s65, v8
	v_xor_b32_e32 v8, s62, v21
	v_cndmask_b32_e32 v2, v30, v2, vcc_lo
	v_cmp_ne_u32_e32 vcc_lo, 0, v7
	v_cmp_ne_u32_e64 s0, 0, v2
	v_cndmask_b32_e32 v2, v14, v26, vcc_lo
	v_cndmask_b32_e32 v7, v29, v27, vcc_lo
	v_cndmask_b32_e64 v2, v23, v2, s0
	v_cndmask_b32_e64 v7, v24, v7, s0
                                        ; implicit-def: $vgpr24
	v_xor_b32_e32 v2, v2, v8
	v_xor_b32_e32 v14, v7, v8
	v_sub_co_u32 v7, vcc_lo, v2, v8
	v_sub_co_ci_u32_e64 v8, null, v14, v8, vcc_lo
.LBB47_25:                              ;   in Loop: Header=BB47_3 Depth=1
	s_andn2_saveexec_b32 s0, s61
	s_cbranch_execz .LBB47_27
; %bb.26:                               ;   in Loop: Header=BB47_3 Depth=1
	v_rcp_iflag_f32_e32 v2, v20
	s_sub_i32 s61, 0, s36
	v_mul_f32_e32 v2, 0x4f7ffffe, v2
	v_cvt_u32_f32_e32 v2, v2
	v_mul_lo_u32 v7, s61, v2
	v_mul_hi_u32 v7, v2, v7
	v_add_nc_u32_e32 v2, v2, v7
	v_mul_hi_u32 v2, v24, v2
	v_mul_lo_u32 v7, v2, s36
	v_add_nc_u32_e32 v8, 1, v2
	v_sub_nc_u32_e32 v7, v24, v7
	v_subrev_nc_u32_e32 v14, s36, v7
	v_cmp_le_u32_e32 vcc_lo, s36, v7
	v_cndmask_b32_e32 v7, v7, v14, vcc_lo
	v_cndmask_b32_e32 v2, v2, v8, vcc_lo
	v_cmp_le_u32_e32 vcc_lo, s36, v7
	v_add_nc_u32_e32 v8, 1, v2
	v_cndmask_b32_e32 v7, v2, v8, vcc_lo
	v_mov_b32_e32 v8, v1
.LBB47_27:                              ;   in Loop: Header=BB47_3 Depth=1
	s_or_b32 exec_lo, exec_lo, s0
	v_mul_lo_u32 v2, v8, s36
	v_mul_lo_u32 v14, v7, s37
	v_mad_u64_u32 v[23:24], null, v7, s36, 0
	v_mul_lo_u32 v21, v7, s17
	s_mov_b32 s0, exec_lo
	v_add3_u32 v2, v24, v14, v2
	v_mul_lo_u32 v14, v8, s16
	v_sub_co_u32 v8, vcc_lo, v9, v23
	v_sub_co_ci_u32_e64 v2, null, v10, v2, vcc_lo
	v_add_co_u32 v9, vcc_lo, v3, v8
	v_mad_u64_u32 v[7:8], null, v7, s16, 0
	v_add_co_ci_u32_e64 v2, null, v4, v2, vcc_lo
	v_mul_lo_u32 v23, v9, s19
	v_mad_u64_u32 v[9:10], null, v9, s18, 0
	v_mul_lo_u32 v2, v2, s18
	v_add3_u32 v8, v8, v21, v14
	v_lshlrev_b64 v[7:8], 1, v[7:8]
	v_add3_u32 v10, v10, v23, v2
	v_add_co_u32 v2, vcc_lo, s34, v7
	v_lshlrev_b64 v[9:10], 1, v[9:10]
	v_add_co_ci_u32_e64 v8, null, s35, v8, vcc_lo
	v_add_co_u32 v7, vcc_lo, v2, v9
	v_add_co_ci_u32_e64 v8, null, v8, v10, vcc_lo
	v_or_b32_e32 v2, s37, v28
	global_load_ushort v14, v[7:8], off
                                        ; implicit-def: $vgpr7_vgpr8
	v_cmpx_ne_u64_e32 0, v[1:2]
	s_xor_b32 s61, exec_lo, s0
	s_cbranch_execz .LBB47_29
; %bb.28:                               ;   in Loop: Header=BB47_3 Depth=1
	s_ashr_i32 s62, s37, 31
	v_add_co_u32 v8, vcc_lo, v25, v22
	s_add_u32 s64, s36, s62
	s_mov_b32 s63, s62
	s_addc_u32 s65, s37, s62
	v_add_co_ci_u32_e64 v9, null, v28, v22, vcc_lo
	s_xor_b64 s[64:65], s[64:65], s[62:63]
	v_cvt_f32_u32_e32 v2, s64
	v_cvt_f32_u32_e32 v7, s65
	s_sub_u32 s74, 0, s64
	s_subb_u32 s75, 0, s65
	v_xor_b32_e32 v23, v9, v22
	v_fmac_f32_e32 v2, 0x4f800000, v7
	v_rcp_f32_e32 v2, v2
	v_mul_f32_e32 v2, 0x5f7ffffc, v2
	v_mul_f32_e32 v7, 0x2f800000, v2
	v_trunc_f32_e32 v7, v7
	v_fmac_f32_e32 v2, 0xcf800000, v7
	v_cvt_u32_f32_e32 v7, v7
	v_cvt_u32_f32_e32 v2, v2
	v_readfirstlane_b32 s0, v7
	v_readfirstlane_b32 s63, v2
	s_mul_i32 s76, s74, s0
	v_xor_b32_e32 v2, v8, v22
	s_mul_hi_u32 s78, s74, s63
	s_mul_i32 s77, s75, s63
	s_add_i32 s76, s78, s76
	s_mul_i32 s79, s74, s63
	s_add_i32 s76, s76, s77
	s_mul_hi_u32 s78, s63, s79
	s_mul_i32 s81, s63, s76
	s_mul_hi_u32 s80, s0, s79
	s_mul_i32 s77, s0, s79
	s_mul_hi_u32 s79, s63, s76
	s_add_u32 s78, s78, s81
	s_addc_u32 s79, 0, s79
	s_mul_hi_u32 s82, s0, s76
	s_add_u32 s77, s78, s77
	s_mul_i32 s76, s0, s76
	s_addc_u32 s77, s79, s80
	s_addc_u32 s78, s82, 0
	s_add_u32 s76, s77, s76
	s_addc_u32 s77, 0, s78
	s_add_u32 s63, s63, s76
	s_cselect_b32 s76, -1, 0
	s_mul_hi_u32 s78, s74, s63
	s_cmp_lg_u32 s76, 0
	s_mul_i32 s76, s74, s63
	s_addc_u32 s0, s0, s77
	s_mul_i32 s75, s75, s63
	s_mul_i32 s74, s74, s0
	s_mul_hi_u32 s77, s63, s76
	s_add_i32 s74, s78, s74
	s_mul_hi_u32 s78, s0, s76
	s_add_i32 s74, s74, s75
	s_mul_i32 s75, s0, s76
	s_mul_i32 s80, s63, s74
	s_mul_hi_u32 s79, s63, s74
	s_add_u32 s77, s77, s80
	s_addc_u32 s79, 0, s79
	s_mul_hi_u32 s76, s0, s74
	s_add_u32 s75, s77, s75
	s_mul_i32 s74, s0, s74
	s_addc_u32 s75, s79, s78
	s_addc_u32 s76, s76, 0
	s_add_u32 s74, s75, s74
	s_addc_u32 s75, 0, s76
	s_add_u32 s63, s63, s74
	s_cselect_b32 s74, -1, 0
	v_mul_hi_u32 v24, v2, s63
	s_cmp_lg_u32 s74, 0
	v_mad_u64_u32 v[9:10], null, v23, s63, 0
	s_addc_u32 s0, s0, s75
	v_mad_u64_u32 v[7:8], null, v2, s0, 0
	v_mad_u64_u32 v[20:21], null, v23, s0, 0
	v_add_co_u32 v7, vcc_lo, v24, v7
	v_add_co_ci_u32_e64 v8, null, 0, v8, vcc_lo
	v_add_co_u32 v7, vcc_lo, v7, v9
	v_add_co_ci_u32_e32 v7, vcc_lo, v8, v10, vcc_lo
	v_add_co_ci_u32_e32 v8, vcc_lo, 0, v21, vcc_lo
	v_add_co_u32 v9, vcc_lo, v7, v20
	v_add_co_ci_u32_e64 v10, null, 0, v8, vcc_lo
	v_mul_lo_u32 v20, s65, v9
	v_mad_u64_u32 v[7:8], null, s64, v9, 0
	v_mul_lo_u32 v21, s64, v10
	v_sub_co_u32 v2, vcc_lo, v2, v7
	v_add3_u32 v8, v8, v21, v20
	v_sub_nc_u32_e32 v20, v23, v8
	v_sub_co_ci_u32_e64 v8, null, v23, v8, vcc_lo
	v_subrev_co_ci_u32_e64 v7, null, s65, v20, vcc_lo
	v_add_co_u32 v20, s0, v9, 2
	v_add_co_ci_u32_e64 v21, null, 0, v10, s0
	v_sub_co_u32 v24, s0, v2, s64
	v_subrev_co_ci_u32_e64 v7, null, 0, v7, s0
	v_cmp_le_u32_e32 vcc_lo, s64, v24
	v_cndmask_b32_e64 v23, 0, -1, vcc_lo
	v_cmp_le_u32_e32 vcc_lo, s65, v7
	v_cndmask_b32_e64 v24, 0, -1, vcc_lo
	;; [unrolled: 2-line block ×4, first 2 shown]
	v_cmp_eq_u32_e32 vcc_lo, s65, v7
	v_cndmask_b32_e32 v7, v24, v23, vcc_lo
	v_add_co_u32 v23, vcc_lo, v9, 1
	v_add_co_ci_u32_e64 v24, null, 0, v10, vcc_lo
	v_cmp_eq_u32_e32 vcc_lo, s65, v8
	v_xor_b32_e32 v8, s62, v22
	v_cndmask_b32_e32 v2, v25, v2, vcc_lo
	v_cmp_ne_u32_e32 vcc_lo, 0, v7
                                        ; implicit-def: $vgpr25
	v_cmp_ne_u32_e64 s0, 0, v2
	v_cndmask_b32_e32 v2, v23, v20, vcc_lo
	v_cndmask_b32_e32 v7, v24, v21, vcc_lo
                                        ; implicit-def: $vgpr20
	v_cndmask_b32_e64 v2, v9, v2, s0
	v_cndmask_b32_e64 v7, v10, v7, s0
	v_xor_b32_e32 v2, v2, v8
	v_xor_b32_e32 v9, v7, v8
	v_sub_co_u32 v7, vcc_lo, v2, v8
	v_sub_co_ci_u32_e64 v8, null, v9, v8, vcc_lo
.LBB47_29:                              ;   in Loop: Header=BB47_3 Depth=1
	s_andn2_saveexec_b32 s0, s61
	s_cbranch_execz .LBB47_31
; %bb.30:                               ;   in Loop: Header=BB47_3 Depth=1
	v_rcp_iflag_f32_e32 v2, v20
	s_sub_i32 s61, 0, s36
	v_mul_f32_e32 v2, 0x4f7ffffe, v2
	v_cvt_u32_f32_e32 v2, v2
	v_mul_lo_u32 v7, s61, v2
	v_mul_hi_u32 v7, v2, v7
	v_add_nc_u32_e32 v2, v2, v7
	v_mul_hi_u32 v2, v25, v2
	v_mul_lo_u32 v7, v2, s36
	v_add_nc_u32_e32 v8, 1, v2
	v_sub_nc_u32_e32 v7, v25, v7
	v_subrev_nc_u32_e32 v9, s36, v7
	v_cmp_le_u32_e32 vcc_lo, s36, v7
	v_cndmask_b32_e32 v7, v7, v9, vcc_lo
	v_cndmask_b32_e32 v2, v2, v8, vcc_lo
	v_cmp_le_u32_e32 vcc_lo, s36, v7
	v_add_nc_u32_e32 v8, 1, v2
	v_cndmask_b32_e32 v7, v2, v8, vcc_lo
	v_mov_b32_e32 v8, v1
.LBB47_31:                              ;   in Loop: Header=BB47_3 Depth=1
	s_or_b32 exec_lo, exec_lo, s0
	v_mul_lo_u32 v2, v8, s36
	v_mul_lo_u32 v20, v7, s37
	v_mad_u64_u32 v[9:10], null, v7, s36, 0
	s_mov_b32 s0, exec_lo
	v_add3_u32 v2, v10, v20, v2
	v_mul_lo_u32 v20, v8, s16
	v_sub_co_u32 v8, vcc_lo, v11, v9
	v_mul_lo_u32 v11, v7, s17
	v_sub_co_ci_u32_e64 v2, null, v12, v2, vcc_lo
	v_add_co_u32 v9, vcc_lo, v3, v8
	v_mad_u64_u32 v[7:8], null, v7, s16, 0
	v_add_co_ci_u32_e64 v2, null, v4, v2, vcc_lo
	v_mul_lo_u32 v12, v9, s19
	v_mad_u64_u32 v[9:10], null, v9, s18, 0
	v_mul_lo_u32 v2, v2, s18
	v_add3_u32 v8, v8, v11, v20
	v_lshlrev_b64 v[7:8], 1, v[7:8]
	v_add3_u32 v10, v10, v12, v2
	v_add_co_u32 v2, vcc_lo, s34, v7
	v_lshlrev_b64 v[9:10], 1, v[9:10]
	v_add_co_ci_u32_e64 v8, null, s35, v8, vcc_lo
	v_add_co_u32 v7, vcc_lo, v2, v9
	v_add_co_ci_u32_e64 v8, null, v8, v10, vcc_lo
	v_or_b32_e32 v2, s47, v4
	global_load_ushort v12, v[7:8], off
                                        ; implicit-def: $vgpr7_vgpr8
	v_cmpx_ne_u64_e32 0, v[1:2]
	s_xor_b32 s61, exec_lo, s0
	s_cbranch_execz .LBB47_33
; %bb.32:                               ;   in Loop: Header=BB47_3 Depth=1
	s_ashr_i32 s62, s47, 31
	v_add_co_u32 v8, vcc_lo, v3, v16
	s_add_u32 s64, s46, s62
	s_mov_b32 s63, s62
	s_addc_u32 s65, s47, s62
	v_add_co_ci_u32_e64 v9, null, v4, v16, vcc_lo
	s_xor_b64 s[64:65], s[64:65], s[62:63]
	v_cvt_f32_u32_e32 v2, s64
	v_cvt_f32_u32_e32 v7, s65
	s_sub_u32 s74, 0, s64
	s_subb_u32 s75, 0, s65
	v_xor_b32_e32 v11, v9, v16
	v_fmac_f32_e32 v2, 0x4f800000, v7
	v_rcp_f32_e32 v2, v2
	v_mul_f32_e32 v2, 0x5f7ffffc, v2
	v_mul_f32_e32 v7, 0x2f800000, v2
	v_trunc_f32_e32 v7, v7
	v_fmac_f32_e32 v2, 0xcf800000, v7
	v_cvt_u32_f32_e32 v7, v7
	v_cvt_u32_f32_e32 v2, v2
	v_readfirstlane_b32 s0, v7
	v_readfirstlane_b32 s63, v2
	s_mul_i32 s76, s74, s0
	v_xor_b32_e32 v2, v8, v16
	s_mul_hi_u32 s78, s74, s63
	s_mul_i32 s77, s75, s63
	s_add_i32 s76, s78, s76
	s_mul_i32 s79, s74, s63
	s_add_i32 s76, s76, s77
	s_mul_hi_u32 s78, s63, s79
	s_mul_i32 s81, s63, s76
	s_mul_hi_u32 s80, s0, s79
	s_mul_i32 s77, s0, s79
	s_mul_hi_u32 s79, s63, s76
	s_add_u32 s78, s78, s81
	s_addc_u32 s79, 0, s79
	s_mul_hi_u32 s82, s0, s76
	s_add_u32 s77, s78, s77
	s_mul_i32 s76, s0, s76
	s_addc_u32 s77, s79, s80
	s_addc_u32 s78, s82, 0
	s_add_u32 s76, s77, s76
	s_addc_u32 s77, 0, s78
	s_add_u32 s63, s63, s76
	s_cselect_b32 s76, -1, 0
	s_mul_hi_u32 s78, s74, s63
	s_cmp_lg_u32 s76, 0
	s_mul_i32 s76, s74, s63
	s_addc_u32 s0, s0, s77
	s_mul_i32 s75, s75, s63
	s_mul_i32 s74, s74, s0
	s_mul_hi_u32 s77, s63, s76
	s_add_i32 s74, s78, s74
	s_mul_hi_u32 s78, s0, s76
	s_add_i32 s74, s74, s75
	s_mul_i32 s75, s0, s76
	s_mul_i32 s80, s63, s74
	s_mul_hi_u32 s79, s63, s74
	s_add_u32 s77, s77, s80
	s_addc_u32 s79, 0, s79
	s_mul_hi_u32 s76, s0, s74
	s_add_u32 s75, s77, s75
	s_mul_i32 s74, s0, s74
	s_addc_u32 s75, s79, s78
	s_addc_u32 s76, s76, 0
	s_add_u32 s74, s75, s74
	s_addc_u32 s75, 0, s76
	s_add_u32 s63, s63, s74
	s_cselect_b32 s74, -1, 0
	v_mul_hi_u32 v22, v2, s63
	s_cmp_lg_u32 s74, 0
	v_mad_u64_u32 v[9:10], null, v11, s63, 0
	s_addc_u32 s0, s0, s75
	v_mad_u64_u32 v[7:8], null, v2, s0, 0
	v_mad_u64_u32 v[20:21], null, v11, s0, 0
	v_add_co_u32 v7, vcc_lo, v22, v7
	v_add_co_ci_u32_e64 v8, null, 0, v8, vcc_lo
	v_add_co_u32 v7, vcc_lo, v7, v9
	v_add_co_ci_u32_e32 v7, vcc_lo, v8, v10, vcc_lo
	v_add_co_ci_u32_e32 v8, vcc_lo, 0, v21, vcc_lo
	v_add_co_u32 v9, vcc_lo, v7, v20
	v_add_co_ci_u32_e64 v10, null, 0, v8, vcc_lo
	v_mul_lo_u32 v20, s65, v9
	v_mad_u64_u32 v[7:8], null, s64, v9, 0
	v_mul_lo_u32 v21, s64, v10
	v_sub_co_u32 v2, vcc_lo, v2, v7
	v_add3_u32 v8, v8, v21, v20
	v_sub_nc_u32_e32 v20, v11, v8
	v_sub_co_ci_u32_e64 v8, null, v11, v8, vcc_lo
	v_subrev_co_ci_u32_e64 v7, null, s65, v20, vcc_lo
	v_add_co_u32 v20, s0, v9, 2
	v_add_co_ci_u32_e64 v21, null, 0, v10, s0
	v_sub_co_u32 v22, s0, v2, s64
	v_subrev_co_ci_u32_e64 v7, null, 0, v7, s0
	v_cmp_le_u32_e32 vcc_lo, s64, v22
	v_cndmask_b32_e64 v11, 0, -1, vcc_lo
	v_cmp_le_u32_e32 vcc_lo, s65, v7
	v_cndmask_b32_e64 v22, 0, -1, vcc_lo
	;; [unrolled: 2-line block ×4, first 2 shown]
	v_cmp_eq_u32_e32 vcc_lo, s65, v7
	v_cndmask_b32_e32 v7, v22, v11, vcc_lo
	v_add_co_u32 v11, vcc_lo, v9, 1
	v_add_co_ci_u32_e64 v22, null, 0, v10, vcc_lo
	v_cmp_eq_u32_e32 vcc_lo, s65, v8
	v_xor_b32_e32 v8, s62, v16
	v_cndmask_b32_e32 v2, v23, v2, vcc_lo
	v_cmp_ne_u32_e32 vcc_lo, 0, v7
	v_cmp_ne_u32_e64 s0, 0, v2
	v_cndmask_b32_e32 v2, v11, v20, vcc_lo
	v_cndmask_b32_e32 v7, v22, v21, vcc_lo
	v_cndmask_b32_e64 v2, v9, v2, s0
	v_cndmask_b32_e64 v7, v10, v7, s0
	v_xor_b32_e32 v2, v2, v8
	v_xor_b32_e32 v9, v7, v8
	v_sub_co_u32 v7, vcc_lo, v2, v8
	v_sub_co_ci_u32_e64 v8, null, v9, v8, vcc_lo
.LBB47_33:                              ;   in Loop: Header=BB47_3 Depth=1
	s_andn2_saveexec_b32 s0, s61
	s_cbranch_execz .LBB47_35
; %bb.34:                               ;   in Loop: Header=BB47_3 Depth=1
	v_cvt_f32_u32_e32 v2, s46
	s_sub_i32 s61, 0, s46
	v_rcp_iflag_f32_e32 v2, v2
	v_mul_f32_e32 v2, 0x4f7ffffe, v2
	v_cvt_u32_f32_e32 v2, v2
	v_mul_lo_u32 v7, s61, v2
	v_mul_hi_u32 v7, v2, v7
	v_add_nc_u32_e32 v2, v2, v7
	v_mul_hi_u32 v2, v3, v2
	v_mul_lo_u32 v7, v2, s46
	v_add_nc_u32_e32 v8, 1, v2
	v_sub_nc_u32_e32 v7, v3, v7
	v_subrev_nc_u32_e32 v9, s46, v7
	v_cmp_le_u32_e32 vcc_lo, s46, v7
	v_cndmask_b32_e32 v7, v7, v9, vcc_lo
	v_cndmask_b32_e32 v2, v2, v8, vcc_lo
	v_cmp_le_u32_e32 vcc_lo, s46, v7
	v_add_nc_u32_e32 v8, 1, v2
	v_cndmask_b32_e32 v7, v2, v8, vcc_lo
	v_mov_b32_e32 v8, v1
.LBB47_35:                              ;   in Loop: Header=BB47_3 Depth=1
	s_or_b32 exec_lo, exec_lo, s0
	v_mad_u64_u32 v[9:10], null, s69, v7, v[3:4]
	v_mul_lo_u32 v2, s69, v8
	v_mul_lo_u32 v11, s70, v7
	;; [unrolled: 1-line block ×4, first 2 shown]
	v_mad_u64_u32 v[7:8], null, v7, s20, 0
	s_mov_b32 s0, exec_lo
	v_add3_u32 v2, v11, v10, v2
	v_mul_lo_u32 v11, v9, s23
	v_mad_u64_u32 v[9:10], null, v9, s22, 0
	v_add3_u32 v8, v8, v21, v20
	v_mul_lo_u32 v2, v2, s22
	v_lshlrev_b64 v[7:8], 1, v[7:8]
	v_add3_u32 v10, v10, v11, v2
	v_add_co_u32 v2, vcc_lo, s44, v7
	v_add_co_ci_u32_e64 v8, null, s45, v8, vcc_lo
	v_lshlrev_b64 v[9:10], 1, v[9:10]
	v_add_co_u32 v7, vcc_lo, v2, v9
	v_add_co_ci_u32_e64 v8, null, v8, v10, vcc_lo
	v_or_b32_e32 v2, s49, v4
                                        ; implicit-def: $vgpr9_vgpr10
	global_load_ushort v11, v[7:8], off
	v_cmpx_ne_u64_e32 0, v[1:2]
	s_xor_b32 s61, exec_lo, s0
	s_cbranch_execnz .LBB47_39
; %bb.36:                               ;   in Loop: Header=BB47_3 Depth=1
	s_andn2_saveexec_b32 s0, s61
	s_cbranch_execnz .LBB47_40
.LBB47_37:                              ;   in Loop: Header=BB47_3 Depth=1
	s_or_b32 exec_lo, exec_lo, s0
	s_andn2_b32 vcc_lo, exec_lo, s1
	s_cbranch_vccnz .LBB47_41
.LBB47_38:                              ;   in Loop: Header=BB47_3 Depth=1
	v_mad_u64_u32 v[7:8], null, s67, v5, v[3:4]
	v_mul_lo_u32 v2, s67, v6
	v_mul_lo_u32 v16, s68, v5
	v_sub_co_u32 v22, vcc_lo, 1, v5
	v_sub_co_ci_u32_e64 v23, null, 0, v6, vcc_lo
	v_mad_u64_u32 v[20:21], null, v7, s38, 0
	v_mul_lo_u32 v24, s9, v22
	v_add3_u32 v2, v16, v8, v2
	v_mul_lo_u32 v8, v7, s39
	v_mul_lo_u32 v16, s8, v23
	v_mad_u64_u32 v[22:23], null, s8, v22, v[3:4]
	v_mul_lo_u32 v25, v2, s38
	v_mul_lo_u32 v31, v7, s43
	;; [unrolled: 1-line block ×3, first 2 shown]
	v_add3_u32 v16, v24, v23, v16
	v_mul_lo_u32 v28, v22, s39
	v_add3_u32 v21, v21, v8, v25
	v_sub_co_u32 v8, vcc_lo, 2, v5
	v_sub_co_ci_u32_e64 v25, null, 0, v6, vcc_lo
	v_mul_lo_u32 v27, v16, s38
	v_mul_lo_u32 v30, s9, v8
	v_mad_u64_u32 v[23:24], null, v22, s38, 0
	v_mul_lo_u32 v29, s8, v25
	v_mad_u64_u32 v[25:26], null, s8, v8, v[3:4]
	v_mad_u64_u32 v[7:8], null, v7, s42, 0
	v_mul_lo_u32 v16, v16, s42
	v_add3_u32 v24, v24, v28, v27
	v_mul_lo_u32 v32, v22, s43
	v_lshlrev_b64 v[20:21], 1, v[20:21]
	v_add3_u32 v30, v30, v26, v29
	v_mul_lo_u32 v29, v25, s39
	v_mad_u64_u32 v[26:27], null, v25, s38, 0
	v_add3_u32 v8, v8, v31, v2
	v_mul_lo_u32 v28, v30, s38
	v_mul_lo_u32 v2, v30, s42
	v_mad_u64_u32 v[30:31], null, v25, s42, 0
	v_lshlrev_b64 v[23:24], 1, v[23:24]
	v_add_co_u32 v20, vcc_lo, s30, v20
	v_add_co_ci_u32_e64 v21, null, s31, v21, vcc_lo
	v_add3_u32 v27, v27, v29, v28
	v_mad_u64_u32 v[28:29], null, v22, s42, 0
	v_mul_lo_u32 v22, v25, s43
	v_add_co_u32 v23, vcc_lo, s30, v23
	v_lshlrev_b64 v[26:27], 1, v[26:27]
	v_add_co_ci_u32_e64 v24, null, s31, v24, vcc_lo
	v_add3_u32 v29, v29, v32, v16
	v_lshlrev_b64 v[7:8], 1, v[7:8]
	v_add3_u32 v31, v31, v22, v2
	v_add_co_u32 v25, vcc_lo, s30, v26
	v_add_co_ci_u32_e64 v26, null, s31, v27, vcc_lo
	v_lshlrev_b64 v[27:28], 1, v[28:29]
	v_lshlrev_b64 v[29:30], 1, v[30:31]
	v_add_co_u32 v7, vcc_lo, s40, v7
	v_add_co_ci_u32_e64 v8, null, s41, v8, vcc_lo
	v_add_co_u32 v27, vcc_lo, s40, v27
	v_add_co_ci_u32_e64 v28, null, s41, v28, vcc_lo
	;; [unrolled: 2-line block ×3, first 2 shown]
	global_load_ushort v2, v[20:21], off
	global_load_ushort v7, v[7:8], off
	s_clause 0x1
	global_load_ushort v8, v[23:24], off
	global_load_ushort v16, v[25:26], off
	s_clause 0x1
	global_load_ushort v22, v[29:30], off
	global_load_ushort v23, v[27:28], off
	s_waitcnt vmcnt(5)
	v_lshlrev_b32_e32 v21, 16, v2
	s_waitcnt vmcnt(4)
	v_lshlrev_b32_e32 v20, 16, v7
	;; [unrolled: 2-line block ×6, first 2 shown]
	s_branch .LBB47_42
.LBB47_39:                              ;   in Loop: Header=BB47_3 Depth=1
	s_ashr_i32 s62, s49, 31
	v_add_co_u32 v8, vcc_lo, v3, v16
	s_add_u32 s64, s48, s62
	s_mov_b32 s63, s62
	s_addc_u32 s65, s49, s62
	v_add_co_ci_u32_e64 v9, null, v4, v16, vcc_lo
	s_xor_b64 s[64:65], s[64:65], s[62:63]
	v_cvt_f32_u32_e32 v2, s64
	v_cvt_f32_u32_e32 v7, s65
	s_sub_u32 s74, 0, s64
	s_subb_u32 s75, 0, s65
	v_xor_b32_e32 v22, v9, v16
	v_fmac_f32_e32 v2, 0x4f800000, v7
	v_rcp_f32_e32 v2, v2
	v_mul_f32_e32 v2, 0x5f7ffffc, v2
	v_mul_f32_e32 v7, 0x2f800000, v2
	v_trunc_f32_e32 v7, v7
	v_fmac_f32_e32 v2, 0xcf800000, v7
	v_cvt_u32_f32_e32 v7, v7
	v_cvt_u32_f32_e32 v2, v2
	v_readfirstlane_b32 s0, v7
	v_readfirstlane_b32 s63, v2
	s_mul_i32 s76, s74, s0
	v_xor_b32_e32 v2, v8, v16
	s_mul_hi_u32 s78, s74, s63
	s_mul_i32 s77, s75, s63
	s_add_i32 s76, s78, s76
	s_mul_i32 s79, s74, s63
	s_add_i32 s76, s76, s77
	s_mul_hi_u32 s78, s63, s79
	s_mul_i32 s81, s63, s76
	s_mul_hi_u32 s80, s0, s79
	s_mul_i32 s77, s0, s79
	s_mul_hi_u32 s79, s63, s76
	s_add_u32 s78, s78, s81
	s_addc_u32 s79, 0, s79
	s_mul_hi_u32 s82, s0, s76
	s_add_u32 s77, s78, s77
	s_mul_i32 s76, s0, s76
	s_addc_u32 s77, s79, s80
	s_addc_u32 s78, s82, 0
	s_add_u32 s76, s77, s76
	s_addc_u32 s77, 0, s78
	s_add_u32 s63, s63, s76
	s_cselect_b32 s76, -1, 0
	s_mul_hi_u32 s78, s74, s63
	s_cmp_lg_u32 s76, 0
	s_mul_i32 s76, s74, s63
	s_addc_u32 s0, s0, s77
	s_mul_i32 s75, s75, s63
	s_mul_i32 s74, s74, s0
	s_mul_hi_u32 s77, s63, s76
	s_add_i32 s74, s78, s74
	s_mul_hi_u32 s78, s0, s76
	s_add_i32 s74, s74, s75
	s_mul_i32 s75, s0, s76
	s_mul_i32 s80, s63, s74
	s_mul_hi_u32 s79, s63, s74
	s_add_u32 s77, s77, s80
	s_addc_u32 s79, 0, s79
	s_mul_hi_u32 s76, s0, s74
	s_add_u32 s75, s77, s75
	s_mul_i32 s74, s0, s74
	s_addc_u32 s75, s79, s78
	s_addc_u32 s76, s76, 0
	s_add_u32 s74, s75, s74
	s_addc_u32 s75, 0, s76
	s_add_u32 s63, s63, s74
	s_cselect_b32 s74, -1, 0
	v_mul_hi_u32 v23, v2, s63
	s_cmp_lg_u32 s74, 0
	v_mad_u64_u32 v[9:10], null, v22, s63, 0
	s_addc_u32 s0, s0, s75
	v_mad_u64_u32 v[7:8], null, v2, s0, 0
	v_mad_u64_u32 v[20:21], null, v22, s0, 0
	v_add_co_u32 v7, vcc_lo, v23, v7
	v_add_co_ci_u32_e64 v8, null, 0, v8, vcc_lo
	v_add_co_u32 v7, vcc_lo, v7, v9
	v_add_co_ci_u32_e32 v7, vcc_lo, v8, v10, vcc_lo
	v_add_co_ci_u32_e32 v8, vcc_lo, 0, v21, vcc_lo
	v_add_co_u32 v9, vcc_lo, v7, v20
	v_add_co_ci_u32_e64 v10, null, 0, v8, vcc_lo
	v_mul_lo_u32 v20, s65, v9
	v_mad_u64_u32 v[7:8], null, s64, v9, 0
	v_mul_lo_u32 v21, s64, v10
	v_sub_co_u32 v2, vcc_lo, v2, v7
	v_add3_u32 v8, v8, v21, v20
	v_sub_nc_u32_e32 v20, v22, v8
	v_sub_co_ci_u32_e64 v8, null, v22, v8, vcc_lo
	v_subrev_co_ci_u32_e64 v7, null, s65, v20, vcc_lo
	v_add_co_u32 v20, s0, v9, 2
	v_add_co_ci_u32_e64 v21, null, 0, v10, s0
	v_sub_co_u32 v23, s0, v2, s64
	v_subrev_co_ci_u32_e64 v7, null, 0, v7, s0
	v_cmp_le_u32_e32 vcc_lo, s64, v23
	v_cndmask_b32_e64 v22, 0, -1, vcc_lo
	v_cmp_le_u32_e32 vcc_lo, s65, v7
	v_cndmask_b32_e64 v23, 0, -1, vcc_lo
	;; [unrolled: 2-line block ×4, first 2 shown]
	v_cmp_eq_u32_e32 vcc_lo, s65, v7
	v_cndmask_b32_e32 v7, v23, v22, vcc_lo
	v_add_co_u32 v22, vcc_lo, v9, 1
	v_add_co_ci_u32_e64 v23, null, 0, v10, vcc_lo
	v_cmp_eq_u32_e32 vcc_lo, s65, v8
	v_xor_b32_e32 v8, s62, v16
	v_cndmask_b32_e32 v2, v24, v2, vcc_lo
	v_cmp_ne_u32_e32 vcc_lo, 0, v7
	v_cmp_ne_u32_e64 s0, 0, v2
	v_cndmask_b32_e32 v2, v22, v20, vcc_lo
	v_cndmask_b32_e32 v7, v23, v21, vcc_lo
	v_cndmask_b32_e64 v2, v9, v2, s0
	v_cndmask_b32_e64 v7, v10, v7, s0
	v_xor_b32_e32 v2, v2, v8
	v_xor_b32_e32 v7, v7, v8
	v_sub_co_u32 v9, vcc_lo, v2, v8
	v_sub_co_ci_u32_e64 v10, null, v7, v8, vcc_lo
	s_andn2_saveexec_b32 s0, s61
	s_cbranch_execz .LBB47_37
.LBB47_40:                              ;   in Loop: Header=BB47_3 Depth=1
	v_cvt_f32_u32_e32 v2, s48
	s_sub_i32 s61, 0, s48
	v_mov_b32_e32 v10, v1
	v_rcp_iflag_f32_e32 v2, v2
	v_mul_f32_e32 v2, 0x4f7ffffe, v2
	v_cvt_u32_f32_e32 v2, v2
	v_mul_lo_u32 v7, s61, v2
	v_mul_hi_u32 v7, v2, v7
	v_add_nc_u32_e32 v2, v2, v7
	v_mul_hi_u32 v2, v3, v2
	v_mul_lo_u32 v7, v2, s48
	v_add_nc_u32_e32 v8, 1, v2
	v_sub_nc_u32_e32 v7, v3, v7
	v_subrev_nc_u32_e32 v9, s48, v7
	v_cmp_le_u32_e32 vcc_lo, s48, v7
	v_cndmask_b32_e32 v7, v7, v9, vcc_lo
	v_cndmask_b32_e32 v2, v2, v8, vcc_lo
	v_cmp_le_u32_e32 vcc_lo, s48, v7
	v_add_nc_u32_e32 v8, 1, v2
	v_cndmask_b32_e32 v9, v2, v8, vcc_lo
	s_or_b32 exec_lo, exec_lo, s0
	s_andn2_b32 vcc_lo, exec_lo, s1
	s_cbranch_vccz .LBB47_38
.LBB47_41:                              ;   in Loop: Header=BB47_3 Depth=1
	v_mov_b32_e32 v8, 0
	v_mov_b32_e32 v2, 0
	;; [unrolled: 1-line block ×6, first 2 shown]
.LBB47_42:                              ;   in Loop: Header=BB47_3 Depth=1
	s_waitcnt vmcnt(6)
	v_lshlrev_b32_e32 v17, 16, v17
	s_waitcnt vmcnt(3)
	v_lshlrev_b32_e32 v13, 16, v13
	v_lshlrev_b32_e32 v19, 16, v19
	s_waitcnt vmcnt(1)
	v_lshlrev_b32_e32 v12, 16, v12
	v_add_f32_e32 v13, v17, v13
	v_add_f32_e32 v12, v8, v12
	;; [unrolled: 1-line block ×4, first 2 shown]
	v_mul_f32_e32 v17, 0xbfb8aa3b, v13
	v_cmp_nlt_f32_e32 vcc_lo, 0x42ce8ed0, v13
	v_fma_f32 v20, 0xbfb8aa3b, v13, -v17
	v_rndne_f32_e32 v21, v17
	v_fmac_f32_e32 v20, 0xb2a5705f, v13
	v_sub_f32_e32 v17, v17, v21
	v_add_f32_e32 v17, v17, v20
	v_cvt_i32_f32_e32 v20, v21
	v_exp_f32_e32 v17, v17
	v_ldexp_f32 v17, v17, v20
	v_cndmask_b32_e32 v17, 0, v17, vcc_lo
	v_cmp_ngt_f32_e32 vcc_lo, 0xc2b17218, v13
	v_cndmask_b32_e32 v13, 0x7f800000, v17, vcc_lo
	v_add_f32_e32 v17, 1.0, v13
	v_div_scale_f32 v13, null, v17, v17, 1.0
	v_div_scale_f32 v22, vcc_lo, 1.0, v17, 1.0
	v_rcp_f32_e32 v20, v13
	v_fma_f32 v21, -v13, v20, 1.0
	v_fmac_f32_e32 v20, v21, v20
	v_mul_f32_e32 v21, v22, v20
	v_fma_f32 v23, -v13, v21, v22
	v_fmac_f32_e32 v21, v23, v20
	v_fma_f32 v13, -v13, v21, v22
	v_div_fmas_f32 v20, v13, v20, v21
	v_add_f32_e32 v13, v16, v19
                                        ; implicit-def: $vgpr16
	v_div_fixup_f32 v17, v20, v17, 1.0
	v_fmac_f32_e32 v13, v12, v17
	v_cmp_ngt_f32_e64 s0, 0x3f200000, |v13|
	s_and_saveexec_b32 s61, s0
	s_xor_b32 s0, exec_lo, s61
	s_cbranch_execz .LBB47_44
; %bb.43:                               ;   in Loop: Header=BB47_3 Depth=1
	v_add_f32_e64 v8, |v13|, |v13|
	v_mul_f32_e32 v16, 0x3fb8aa3b, v8
	v_cmp_ngt_f32_e32 vcc_lo, 0xc2ce8ed0, v8
	v_rndne_f32_e32 v19, v16
	v_fma_f32 v20, 0x3fb8aa3b, v8, -v16
	v_sub_f32_e32 v16, v16, v19
	v_fmac_f32_e32 v20, 0x32a5705f, v8
	v_cvt_i32_f32_e32 v19, v19
	v_add_f32_e32 v16, v16, v20
	v_exp_f32_e32 v16, v16
	v_ldexp_f32 v16, v16, v19
	v_cndmask_b32_e32 v16, 0, v16, vcc_lo
	v_cmp_nlt_f32_e32 vcc_lo, 0x42b17218, v8
	v_cndmask_b32_e32 v8, 0x7f800000, v16, vcc_lo
	v_add_f32_e32 v8, 1.0, v8
	v_rcp_f32_e32 v8, v8
	v_fma_f32 v16, v8, -2.0, 1.0
.LBB47_44:                              ;   in Loop: Header=BB47_3 Depth=1
	s_andn2_saveexec_b32 s0, s0
	s_cbranch_execz .LBB47_46
; %bb.45:                               ;   in Loop: Header=BB47_3 Depth=1
	v_mul_f32_e32 v8, v13, v13
	v_fmaak_f32 v16, s73, v8, 0x3ca908c9
	v_fmaak_f32 v16, v8, v16, 0xbd5c1c4e
	;; [unrolled: 1-line block ×4, first 2 shown]
	v_mul_f32_e64 v16, |v13|, v16
	v_fma_f32 v16, v8, v16, |v13|
.LBB47_46:                              ;   in Loop: Header=BB47_3 Depth=1
	s_or_b32 exec_lo, exec_lo, s0
	v_lshlrev_b32_e32 v8, 16, v18
	v_lshlrev_b32_e32 v14, 16, v14
	v_mad_u64_u32 v[18:19], null, s71, v9, v[3:4]
	v_mul_lo_u32 v26, s71, v10
	v_mul_lo_u32 v28, s72, v9
	v_add_f32_e32 v8, v8, v14
	v_mul_lo_u32 v29, v10, s24
	v_mul_lo_u32 v23, s59, v5
	;; [unrolled: 1-line block ×3, first 2 shown]
	v_add_f32_e32 v7, v8, v7
	v_add_f32_e32 v2, v2, v7
	v_mul_f32_e32 v7, 0xbfb8aa3b, v2
	v_cmp_nlt_f32_e32 vcc_lo, 0x42ce8ed0, v2
	v_fma_f32 v8, 0xbfb8aa3b, v2, -v7
	v_rndne_f32_e32 v14, v7
	v_fmac_f32_e32 v8, 0xb2a5705f, v2
	v_sub_f32_e32 v7, v7, v14
	v_add_f32_e32 v7, v7, v8
	v_cvt_i32_f32_e32 v8, v14
	v_bfi_b32 v14, 0x7fffffff, v16, v13
	s_waitcnt vmcnt(0)
	v_lshlrev_b32_e32 v13, 16, v11
	v_mul_lo_u32 v16, v9, s25
	v_exp_f32_e32 v7, v7
	v_mad_u64_u32 v[9:10], null, v9, s24, 0
	v_add3_u32 v10, v10, v16, v29
	v_ldexp_f32 v7, v7, v8
	v_lshlrev_b64 v[9:10], 1, v[9:10]
	v_cndmask_b32_e32 v7, 0, v7, vcc_lo
	v_cmp_ngt_f32_e32 vcc_lo, 0xc2b17218, v2
	v_cndmask_b32_e32 v2, 0x7f800000, v7, vcc_lo
	v_add_f32_e32 v2, 1.0, v2
	v_div_scale_f32 v20, null, v2, v2, 1.0
	v_div_scale_f32 v22, vcc_lo, 1.0, v2, 1.0
	v_rcp_f32_e32 v21, v20
	v_fma_f32 v7, -v20, v21, 1.0
	v_fmac_f32_e32 v21, v7, v21
	v_mad_u64_u32 v[7:8], null, s58, v5, 0
	v_mul_f32_e32 v25, v22, v21
	v_add3_u32 v8, v8, v24, v23
	v_fma_f32 v27, -v20, v25, v22
	v_fmac_f32_e32 v25, v27, v21
	v_sub_f32_e32 v27, v13, v14
	v_fma_f32 v13, -v20, v25, v22
	v_add3_u32 v22, v28, v19, v26
	v_mul_lo_u32 v26, v18, s27
	v_mad_u64_u32 v[19:20], null, v18, s26, 0
	v_div_fmas_f32 v13, v13, v21, v25
	v_mul_lo_u32 v21, v22, s26
	v_add_co_u32 v18, vcc_lo, v3, v7
	v_div_fixup_f32 v16, v13, v2, 1.0
	v_add_co_ci_u32_e64 v13, null, v4, v8, vcc_lo
	v_add_co_u32 v9, vcc_lo, s50, v9
	v_add3_u32 v20, v20, v26, v21
	v_fma_f32 v21, v16, v27, v14
	v_add_co_ci_u32_e64 v10, null, s51, v10, vcc_lo
	v_or_b32_e32 v2, s55, v13
	v_lshlrev_b64 v[19:20], 1, v[19:20]
	v_bfe_u32 v22, v21, 16, 1
	v_cmp_o_f32_e32 vcc_lo, v21, v21
	v_add3_u32 v21, v21, v22, 0x7fff
	v_add_co_u32 v9, s0, v9, v19
	v_add_co_ci_u32_e64 v10, null, v10, v20, s0
	v_cndmask_b32_sdwa v19, v15, v21, vcc_lo dst_sel:DWORD dst_unused:UNUSED_PAD src0_sel:DWORD src1_sel:WORD_1
	s_mov_b32 s0, exec_lo
	global_store_short v[9:10], v19, off
                                        ; implicit-def: $vgpr9_vgpr10
	v_cmpx_ne_u64_e32 0, v[1:2]
	s_xor_b32 s61, exec_lo, s0
	s_cbranch_execz .LBB47_48
; %bb.47:                               ;   in Loop: Header=BB47_3 Depth=1
	s_ashr_i32 s62, s55, 31
	v_ashrrev_i32_e32 v22, 31, v13
	s_add_u32 s64, s54, s62
	s_mov_b32 s63, s62
	s_addc_u32 s65, s55, s62
	s_xor_b64 s[64:65], s[64:65], s[62:63]
	v_add_co_u32 v10, vcc_lo, v18, v22
	v_cvt_f32_u32_e32 v2, s64
	v_cvt_f32_u32_e32 v9, s65
	s_sub_u32 s74, 0, s64
	s_subb_u32 s75, 0, s65
	v_add_co_ci_u32_e64 v13, null, v13, v22, vcc_lo
	v_fmac_f32_e32 v2, 0x4f800000, v9
	v_xor_b32_e32 v13, v13, v22
	v_rcp_f32_e32 v2, v2
	v_mul_f32_e32 v2, 0x5f7ffffc, v2
	v_mul_f32_e32 v9, 0x2f800000, v2
	v_trunc_f32_e32 v9, v9
	v_fmac_f32_e32 v2, 0xcf800000, v9
	v_cvt_u32_f32_e32 v9, v9
	v_cvt_u32_f32_e32 v2, v2
	v_readfirstlane_b32 s0, v9
	v_readfirstlane_b32 s63, v2
	s_mul_i32 s76, s74, s0
	v_xor_b32_e32 v2, v10, v22
	s_mul_hi_u32 s78, s74, s63
	s_mul_i32 s77, s75, s63
	s_add_i32 s76, s78, s76
	s_mul_i32 s79, s74, s63
	s_add_i32 s76, s76, s77
	s_mul_hi_u32 s78, s63, s79
	s_mul_i32 s81, s63, s76
	s_mul_hi_u32 s80, s0, s79
	s_mul_i32 s77, s0, s79
	s_mul_hi_u32 s79, s63, s76
	s_add_u32 s78, s78, s81
	s_addc_u32 s79, 0, s79
	s_mul_hi_u32 s82, s0, s76
	s_add_u32 s77, s78, s77
	s_mul_i32 s76, s0, s76
	s_addc_u32 s77, s79, s80
	s_addc_u32 s78, s82, 0
	s_add_u32 s76, s77, s76
	s_addc_u32 s77, 0, s78
	s_add_u32 s63, s63, s76
	s_cselect_b32 s76, -1, 0
	s_mul_hi_u32 s78, s74, s63
	s_cmp_lg_u32 s76, 0
	s_mul_i32 s76, s74, s63
	s_addc_u32 s0, s0, s77
	s_mul_i32 s75, s75, s63
	s_mul_i32 s74, s74, s0
	s_mul_hi_u32 s77, s63, s76
	s_add_i32 s74, s78, s74
	s_mul_hi_u32 s78, s0, s76
	s_add_i32 s74, s74, s75
	s_mul_i32 s75, s0, s76
	s_mul_i32 s80, s63, s74
	s_mul_hi_u32 s79, s63, s74
	s_add_u32 s77, s77, s80
	s_addc_u32 s79, 0, s79
	s_mul_hi_u32 s76, s0, s74
	s_add_u32 s75, s77, s75
	s_mul_i32 s74, s0, s74
	s_addc_u32 s75, s79, s78
	s_addc_u32 s76, s76, 0
	s_add_u32 s74, s75, s74
	s_addc_u32 s75, 0, s76
	s_add_u32 s63, s63, s74
	s_cselect_b32 s74, -1, 0
	v_mul_hi_u32 v23, v2, s63
	s_cmp_lg_u32 s74, 0
	v_mad_u64_u32 v[18:19], null, v13, s63, 0
	s_addc_u32 s0, s0, s75
	v_mad_u64_u32 v[9:10], null, v2, s0, 0
	v_mad_u64_u32 v[20:21], null, v13, s0, 0
	v_add_co_u32 v9, vcc_lo, v23, v9
	v_add_co_ci_u32_e64 v10, null, 0, v10, vcc_lo
	v_add_co_u32 v9, vcc_lo, v9, v18
	v_add_co_ci_u32_e32 v9, vcc_lo, v10, v19, vcc_lo
	v_add_co_ci_u32_e32 v10, vcc_lo, 0, v21, vcc_lo
	v_add_co_u32 v18, vcc_lo, v9, v20
	v_add_co_ci_u32_e64 v19, null, 0, v10, vcc_lo
	v_mul_lo_u32 v20, s65, v18
	v_mad_u64_u32 v[9:10], null, s64, v18, 0
	v_mul_lo_u32 v21, s64, v19
	v_sub_co_u32 v2, vcc_lo, v2, v9
	v_add3_u32 v10, v10, v21, v20
	v_sub_nc_u32_e32 v20, v13, v10
	v_sub_co_ci_u32_e64 v10, null, v13, v10, vcc_lo
	v_subrev_co_ci_u32_e64 v9, null, s65, v20, vcc_lo
	v_add_co_u32 v20, s0, v18, 2
	v_add_co_ci_u32_e64 v21, null, 0, v19, s0
	v_sub_co_u32 v23, s0, v2, s64
	v_subrev_co_ci_u32_e64 v9, null, 0, v9, s0
	v_cmp_le_u32_e32 vcc_lo, s64, v23
	v_cndmask_b32_e64 v13, 0, -1, vcc_lo
	v_cmp_le_u32_e32 vcc_lo, s65, v9
	v_cndmask_b32_e64 v23, 0, -1, vcc_lo
	;; [unrolled: 2-line block ×4, first 2 shown]
	v_cmp_eq_u32_e32 vcc_lo, s65, v9
	v_cndmask_b32_e32 v9, v23, v13, vcc_lo
	v_add_co_u32 v13, vcc_lo, v18, 1
	v_add_co_ci_u32_e64 v23, null, 0, v19, vcc_lo
	v_cmp_eq_u32_e32 vcc_lo, s65, v10
	v_xor_b32_e32 v10, s62, v22
	v_cndmask_b32_e32 v2, v24, v2, vcc_lo
	v_cmp_ne_u32_e32 vcc_lo, 0, v9
	v_cmp_ne_u32_e64 s0, 0, v2
	v_cndmask_b32_e32 v2, v13, v20, vcc_lo
	v_cndmask_b32_e32 v9, v23, v21, vcc_lo
	v_cndmask_b32_e64 v2, v18, v2, s0
	v_cndmask_b32_e64 v9, v19, v9, s0
                                        ; implicit-def: $vgpr18
	v_xor_b32_e32 v2, v2, v10
	v_xor_b32_e32 v13, v9, v10
	v_sub_co_u32 v9, vcc_lo, v2, v10
	v_sub_co_ci_u32_e64 v10, null, v13, v10, vcc_lo
.LBB47_48:                              ;   in Loop: Header=BB47_3 Depth=1
	s_or_saveexec_b32 s0, s61
	v_cvt_f32_u32_e32 v13, s54
	s_xor_b32 exec_lo, exec_lo, s0
	s_cbranch_execz .LBB47_50
; %bb.49:                               ;   in Loop: Header=BB47_3 Depth=1
	v_rcp_iflag_f32_e32 v2, v13
	s_sub_i32 s61, 0, s54
	v_mul_f32_e32 v2, 0x4f7ffffe, v2
	v_cvt_u32_f32_e32 v2, v2
	v_mul_lo_u32 v9, s61, v2
	v_mul_hi_u32 v9, v2, v9
	v_add_nc_u32_e32 v2, v2, v9
	v_mul_hi_u32 v2, v18, v2
	v_mul_lo_u32 v9, v2, s54
	v_add_nc_u32_e32 v10, 1, v2
	v_sub_nc_u32_e32 v9, v18, v9
	v_subrev_nc_u32_e32 v18, s54, v9
	v_cmp_le_u32_e32 vcc_lo, s54, v9
	v_cndmask_b32_e32 v9, v9, v18, vcc_lo
	v_cndmask_b32_e32 v2, v2, v10, vcc_lo
	v_cmp_le_u32_e32 vcc_lo, s54, v9
	v_add_nc_u32_e32 v10, 1, v2
	v_cndmask_b32_e32 v9, v2, v10, vcc_lo
	v_mov_b32_e32 v10, v1
.LBB47_50:                              ;   in Loop: Header=BB47_3 Depth=1
	s_or_b32 exec_lo, exec_lo, s0
	v_mul_lo_u32 v2, v10, s54
	v_mul_lo_u32 v20, v9, s55
	v_mad_u64_u32 v[18:19], null, v9, s54, 0
	v_mul_lo_u32 v22, v10, s4
	v_mul_lo_u32 v23, v9, s5
	v_mad_u64_u32 v[9:10], null, v9, s4, 0
	v_bfe_u32 v21, v17, 16, 1
	s_mov_b32 s0, exec_lo
	v_add3_u32 v2, v19, v20, v2
	v_sub_co_u32 v7, vcc_lo, v7, v18
	v_add3_u32 v10, v10, v23, v22
	v_sub_co_ci_u32_e64 v2, null, v8, v2, vcc_lo
	v_add_co_u32 v18, vcc_lo, v3, v7
	v_lshlrev_b64 v[7:8], 2, v[5:6]
	v_add_co_ci_u32_e64 v2, null, v4, v2, vcc_lo
	v_alignbit_b32 v5, v6, v5, 30
	v_mul_lo_u32 v20, v18, s7
	v_mad_u64_u32 v[18:19], null, v18, s6, 0
	v_mul_lo_u32 v2, v2, s6
	v_mul_lo_u32 v24, s8, v5
	;; [unrolled: 1-line block ×3, first 2 shown]
	v_mad_u64_u32 v[5:6], null, s8, v7, s[8:9]
	v_cmp_o_f32_e32 vcc_lo, v17, v17
	v_add3_u32 v17, v17, v21, 0x7fff
	v_lshlrev_b64 v[9:10], 1, v[9:10]
	v_add3_u32 v19, v19, v20, v2
	v_add3_u32 v6, v25, v6, v24
	v_cndmask_b32_sdwa v21, v15, v17, vcc_lo dst_sel:DWORD dst_unused:UNUSED_PAD src0_sel:DWORD src1_sel:WORD_1
	v_add_co_u32 v17, vcc_lo, v3, v5
	v_lshlrev_b64 v[19:20], 1, v[18:19]
	v_add_co_ci_u32_e64 v18, null, v4, v6, vcc_lo
	v_add_co_u32 v9, vcc_lo, s52, v9
	v_add_co_ci_u32_e64 v10, null, s53, v10, vcc_lo
	v_or_b32_e32 v2, s55, v18
	v_add_co_u32 v9, vcc_lo, v9, v19
	v_add_co_ci_u32_e64 v10, null, v10, v20, vcc_lo
	global_store_short v[9:10], v21, off
                                        ; implicit-def: $vgpr9_vgpr10
	v_cmpx_ne_u64_e32 0, v[1:2]
	s_xor_b32 s61, exec_lo, s0
	s_cbranch_execz .LBB47_52
; %bb.51:                               ;   in Loop: Header=BB47_3 Depth=1
	s_ashr_i32 s62, s55, 31
	v_ashrrev_i32_e32 v21, 31, v18
	s_add_u32 s64, s54, s62
	s_mov_b32 s63, s62
	s_addc_u32 s65, s55, s62
	s_xor_b64 s[64:65], s[64:65], s[62:63]
	v_add_co_u32 v10, vcc_lo, v17, v21
	v_cvt_f32_u32_e32 v2, s64
	v_cvt_f32_u32_e32 v9, s65
	s_sub_u32 s74, 0, s64
	s_subb_u32 s75, 0, s65
	v_add_co_ci_u32_e64 v17, null, v18, v21, vcc_lo
	v_fmac_f32_e32 v2, 0x4f800000, v9
	v_xor_b32_e32 v22, v17, v21
	v_rcp_f32_e32 v2, v2
	v_mul_f32_e32 v2, 0x5f7ffffc, v2
	v_mul_f32_e32 v9, 0x2f800000, v2
	v_trunc_f32_e32 v9, v9
	v_fmac_f32_e32 v2, 0xcf800000, v9
	v_cvt_u32_f32_e32 v9, v9
	v_cvt_u32_f32_e32 v2, v2
	v_readfirstlane_b32 s0, v9
	v_readfirstlane_b32 s63, v2
	s_mul_i32 s76, s74, s0
	v_xor_b32_e32 v2, v10, v21
	s_mul_hi_u32 s78, s74, s63
	s_mul_i32 s77, s75, s63
	s_add_i32 s76, s78, s76
	s_mul_i32 s79, s74, s63
	s_add_i32 s76, s76, s77
	s_mul_hi_u32 s78, s63, s79
	s_mul_i32 s81, s63, s76
	s_mul_hi_u32 s80, s0, s79
	s_mul_i32 s77, s0, s79
	s_mul_hi_u32 s79, s63, s76
	s_add_u32 s78, s78, s81
	s_addc_u32 s79, 0, s79
	s_mul_hi_u32 s82, s0, s76
	s_add_u32 s77, s78, s77
	s_mul_i32 s76, s0, s76
	s_addc_u32 s77, s79, s80
	s_addc_u32 s78, s82, 0
	s_add_u32 s76, s77, s76
	s_addc_u32 s77, 0, s78
	s_add_u32 s63, s63, s76
	s_cselect_b32 s76, -1, 0
	s_mul_hi_u32 s78, s74, s63
	s_cmp_lg_u32 s76, 0
	s_mul_i32 s76, s74, s63
	s_addc_u32 s0, s0, s77
	s_mul_i32 s75, s75, s63
	s_mul_i32 s74, s74, s0
	s_mul_hi_u32 s77, s63, s76
	s_add_i32 s74, s78, s74
	s_mul_hi_u32 s78, s0, s76
	s_add_i32 s74, s74, s75
	s_mul_i32 s75, s0, s76
	s_mul_i32 s80, s63, s74
	s_mul_hi_u32 s79, s63, s74
	s_add_u32 s77, s77, s80
	s_addc_u32 s79, 0, s79
	s_mul_hi_u32 s76, s0, s74
	s_add_u32 s75, s77, s75
	s_mul_i32 s74, s0, s74
	s_addc_u32 s75, s79, s78
	s_addc_u32 s76, s76, 0
	s_add_u32 s74, s75, s74
	s_addc_u32 s75, 0, s76
	s_add_u32 s63, s63, s74
	s_cselect_b32 s74, -1, 0
	v_mul_hi_u32 v23, v2, s63
	s_cmp_lg_u32 s74, 0
	v_mad_u64_u32 v[17:18], null, v22, s63, 0
	s_addc_u32 s0, s0, s75
	v_mad_u64_u32 v[9:10], null, v2, s0, 0
	v_mad_u64_u32 v[19:20], null, v22, s0, 0
	v_add_co_u32 v9, vcc_lo, v23, v9
	v_add_co_ci_u32_e64 v10, null, 0, v10, vcc_lo
	v_add_co_u32 v9, vcc_lo, v9, v17
	v_add_co_ci_u32_e32 v9, vcc_lo, v10, v18, vcc_lo
	v_add_co_ci_u32_e32 v10, vcc_lo, 0, v20, vcc_lo
	v_add_co_u32 v17, vcc_lo, v9, v19
	v_add_co_ci_u32_e64 v18, null, 0, v10, vcc_lo
	v_mul_lo_u32 v19, s65, v17
	v_mad_u64_u32 v[9:10], null, s64, v17, 0
	v_mul_lo_u32 v20, s64, v18
	v_sub_co_u32 v2, vcc_lo, v2, v9
	v_add3_u32 v10, v10, v20, v19
	v_sub_nc_u32_e32 v19, v22, v10
	v_sub_co_ci_u32_e64 v10, null, v22, v10, vcc_lo
	v_subrev_co_ci_u32_e64 v9, null, s65, v19, vcc_lo
	v_add_co_u32 v19, s0, v17, 2
	v_add_co_ci_u32_e64 v20, null, 0, v18, s0
	v_sub_co_u32 v23, s0, v2, s64
	v_subrev_co_ci_u32_e64 v9, null, 0, v9, s0
	v_cmp_le_u32_e32 vcc_lo, s64, v23
	v_cndmask_b32_e64 v22, 0, -1, vcc_lo
	v_cmp_le_u32_e32 vcc_lo, s65, v9
	v_cndmask_b32_e64 v23, 0, -1, vcc_lo
	;; [unrolled: 2-line block ×4, first 2 shown]
	v_cmp_eq_u32_e32 vcc_lo, s65, v9
	v_cndmask_b32_e32 v9, v23, v22, vcc_lo
	v_add_co_u32 v22, vcc_lo, v17, 1
	v_add_co_ci_u32_e64 v23, null, 0, v18, vcc_lo
	v_cmp_eq_u32_e32 vcc_lo, s65, v10
	v_xor_b32_e32 v10, s62, v21
	v_cndmask_b32_e32 v2, v24, v2, vcc_lo
	v_cmp_ne_u32_e32 vcc_lo, 0, v9
	v_cmp_ne_u32_e64 s0, 0, v2
	v_cndmask_b32_e32 v2, v22, v19, vcc_lo
	v_cndmask_b32_e32 v9, v23, v20, vcc_lo
	v_cndmask_b32_e64 v2, v17, v2, s0
	v_cndmask_b32_e64 v9, v18, v9, s0
	v_xor_b32_e32 v2, v2, v10
	v_xor_b32_e32 v17, v9, v10
	v_sub_co_u32 v9, vcc_lo, v2, v10
	v_sub_co_ci_u32_e64 v10, null, v17, v10, vcc_lo
                                        ; implicit-def: $vgpr17
.LBB47_52:                              ;   in Loop: Header=BB47_3 Depth=1
	s_andn2_saveexec_b32 s0, s61
	s_cbranch_execz .LBB47_54
; %bb.53:                               ;   in Loop: Header=BB47_3 Depth=1
	v_rcp_iflag_f32_e32 v2, v13
	s_sub_i32 s61, 0, s54
	v_mul_f32_e32 v2, 0x4f7ffffe, v2
	v_cvt_u32_f32_e32 v2, v2
	v_mul_lo_u32 v9, s61, v2
	v_mul_hi_u32 v9, v2, v9
	v_add_nc_u32_e32 v2, v2, v9
	v_mul_hi_u32 v2, v17, v2
	v_mul_lo_u32 v9, v2, s54
	v_add_nc_u32_e32 v10, 1, v2
	v_sub_nc_u32_e32 v9, v17, v9
	v_subrev_nc_u32_e32 v17, s54, v9
	v_cmp_le_u32_e32 vcc_lo, s54, v9
	v_cndmask_b32_e32 v9, v9, v17, vcc_lo
	v_cndmask_b32_e32 v2, v2, v10, vcc_lo
	v_cmp_le_u32_e32 vcc_lo, s54, v9
	v_add_nc_u32_e32 v10, 1, v2
	v_cndmask_b32_e32 v9, v2, v10, vcc_lo
	v_mov_b32_e32 v10, v1
.LBB47_54:                              ;   in Loop: Header=BB47_3 Depth=1
	s_or_b32 exec_lo, exec_lo, s0
	v_mul_lo_u32 v2, v10, s54
	v_mul_lo_u32 v19, v9, s55
	v_mad_u64_u32 v[17:18], null, v9, s54, 0
	v_mul_lo_u32 v21, v10, s4
	v_bfe_u32 v20, v16, 16, 1
	s_mov_b32 s0, exec_lo
	v_add3_u32 v2, v18, v19, v2
	v_sub_co_u32 v5, vcc_lo, v5, v17
	v_mul_lo_u32 v19, v9, s5
	v_mad_u64_u32 v[9:10], null, v9, s4, 0
	v_sub_co_ci_u32_e64 v2, null, v6, v2, vcc_lo
	v_add_co_u32 v5, vcc_lo, v3, v5
	v_add_co_ci_u32_e64 v2, null, v4, v2, vcc_lo
	v_add_co_u32 v6, vcc_lo, v7, 2
	v_add_co_ci_u32_e64 v22, null, 0, v8, vcc_lo
	v_mul_lo_u32 v23, v5, s7
	v_mul_lo_u32 v2, v2, s6
	v_mad_u64_u32 v[17:18], null, v5, s6, 0
	v_mul_lo_u32 v24, s9, v6
	v_mul_lo_u32 v22, s8, v22
	v_mad_u64_u32 v[5:6], null, s8, v6, 0
	v_add3_u32 v10, v10, v19, v21
	v_cmp_o_f32_e32 vcc_lo, v16, v16
	v_add3_u32 v16, v16, v20, 0x7fff
	v_add3_u32 v18, v18, v23, v2
	v_lshlrev_b64 v[9:10], 1, v[9:10]
	v_add3_u32 v6, v6, v22, v24
	v_cndmask_b32_sdwa v20, v15, v16, vcc_lo dst_sel:DWORD dst_unused:UNUSED_PAD src0_sel:DWORD src1_sel:WORD_1
	v_add_co_u32 v16, vcc_lo, v3, v5
	v_lshlrev_b64 v[18:19], 1, v[17:18]
	v_add_co_ci_u32_e64 v17, null, v4, v6, vcc_lo
	v_add_co_u32 v9, vcc_lo, s52, v9
	v_add_co_ci_u32_e64 v10, null, s53, v10, vcc_lo
	v_or_b32_e32 v2, s55, v17
	v_add_co_u32 v9, vcc_lo, v9, v18
	v_add_co_ci_u32_e64 v10, null, v10, v19, vcc_lo
	global_store_short v[9:10], v20, off
                                        ; implicit-def: $vgpr9_vgpr10
	v_cmpx_ne_u64_e32 0, v[1:2]
	s_xor_b32 s61, exec_lo, s0
	s_cbranch_execz .LBB47_56
; %bb.55:                               ;   in Loop: Header=BB47_3 Depth=1
	s_ashr_i32 s62, s55, 31
	v_ashrrev_i32_e32 v20, 31, v17
	s_add_u32 s64, s54, s62
	s_mov_b32 s63, s62
	s_addc_u32 s65, s55, s62
	s_xor_b64 s[64:65], s[64:65], s[62:63]
	v_add_co_u32 v10, vcc_lo, v16, v20
	v_cvt_f32_u32_e32 v2, s64
	v_cvt_f32_u32_e32 v9, s65
	s_sub_u32 s74, 0, s64
	s_subb_u32 s75, 0, s65
	v_add_co_ci_u32_e64 v16, null, v17, v20, vcc_lo
	v_fmac_f32_e32 v2, 0x4f800000, v9
	v_xor_b32_e32 v21, v16, v20
	v_rcp_f32_e32 v2, v2
	v_mul_f32_e32 v2, 0x5f7ffffc, v2
	v_mul_f32_e32 v9, 0x2f800000, v2
	v_trunc_f32_e32 v9, v9
	v_fmac_f32_e32 v2, 0xcf800000, v9
	v_cvt_u32_f32_e32 v9, v9
	v_cvt_u32_f32_e32 v2, v2
	v_readfirstlane_b32 s0, v9
	v_readfirstlane_b32 s63, v2
	s_mul_i32 s76, s74, s0
	v_xor_b32_e32 v2, v10, v20
	s_mul_hi_u32 s78, s74, s63
	s_mul_i32 s77, s75, s63
	s_add_i32 s76, s78, s76
	s_mul_i32 s79, s74, s63
	s_add_i32 s76, s76, s77
	s_mul_hi_u32 s78, s63, s79
	s_mul_i32 s81, s63, s76
	s_mul_hi_u32 s80, s0, s79
	s_mul_i32 s77, s0, s79
	s_mul_hi_u32 s79, s63, s76
	s_add_u32 s78, s78, s81
	s_addc_u32 s79, 0, s79
	s_mul_hi_u32 s82, s0, s76
	s_add_u32 s77, s78, s77
	s_mul_i32 s76, s0, s76
	s_addc_u32 s77, s79, s80
	s_addc_u32 s78, s82, 0
	s_add_u32 s76, s77, s76
	s_addc_u32 s77, 0, s78
	s_add_u32 s63, s63, s76
	s_cselect_b32 s76, -1, 0
	s_mul_hi_u32 s78, s74, s63
	s_cmp_lg_u32 s76, 0
	s_mul_i32 s76, s74, s63
	s_addc_u32 s0, s0, s77
	s_mul_i32 s75, s75, s63
	s_mul_i32 s74, s74, s0
	s_mul_hi_u32 s77, s63, s76
	s_add_i32 s74, s78, s74
	s_mul_hi_u32 s78, s0, s76
	s_add_i32 s74, s74, s75
	s_mul_i32 s75, s0, s76
	s_mul_i32 s80, s63, s74
	s_mul_hi_u32 s79, s63, s74
	s_add_u32 s77, s77, s80
	s_addc_u32 s79, 0, s79
	s_mul_hi_u32 s76, s0, s74
	s_add_u32 s75, s77, s75
	s_mul_i32 s74, s0, s74
	s_addc_u32 s75, s79, s78
	s_addc_u32 s76, s76, 0
	s_add_u32 s74, s75, s74
	s_addc_u32 s75, 0, s76
	s_add_u32 s63, s63, s74
	s_cselect_b32 s74, -1, 0
	v_mul_hi_u32 v22, v2, s63
	s_cmp_lg_u32 s74, 0
	v_mad_u64_u32 v[16:17], null, v21, s63, 0
	s_addc_u32 s0, s0, s75
	v_mad_u64_u32 v[9:10], null, v2, s0, 0
	v_mad_u64_u32 v[18:19], null, v21, s0, 0
	v_add_co_u32 v9, vcc_lo, v22, v9
	v_add_co_ci_u32_e64 v10, null, 0, v10, vcc_lo
	v_add_co_u32 v9, vcc_lo, v9, v16
	v_add_co_ci_u32_e32 v9, vcc_lo, v10, v17, vcc_lo
	v_add_co_ci_u32_e32 v10, vcc_lo, 0, v19, vcc_lo
	v_add_co_u32 v16, vcc_lo, v9, v18
	v_add_co_ci_u32_e64 v17, null, 0, v10, vcc_lo
	v_mul_lo_u32 v18, s65, v16
	v_mad_u64_u32 v[9:10], null, s64, v16, 0
	v_mul_lo_u32 v19, s64, v17
	v_sub_co_u32 v2, vcc_lo, v2, v9
	v_add3_u32 v10, v10, v19, v18
	v_sub_nc_u32_e32 v18, v21, v10
	v_sub_co_ci_u32_e64 v10, null, v21, v10, vcc_lo
	v_subrev_co_ci_u32_e64 v9, null, s65, v18, vcc_lo
	v_add_co_u32 v18, s0, v16, 2
	v_add_co_ci_u32_e64 v19, null, 0, v17, s0
	v_sub_co_u32 v22, s0, v2, s64
	v_subrev_co_ci_u32_e64 v9, null, 0, v9, s0
	v_cmp_le_u32_e32 vcc_lo, s64, v22
	v_cndmask_b32_e64 v21, 0, -1, vcc_lo
	v_cmp_le_u32_e32 vcc_lo, s65, v9
	v_cndmask_b32_e64 v22, 0, -1, vcc_lo
	;; [unrolled: 2-line block ×4, first 2 shown]
	v_cmp_eq_u32_e32 vcc_lo, s65, v9
	v_cndmask_b32_e32 v9, v22, v21, vcc_lo
	v_add_co_u32 v21, vcc_lo, v16, 1
	v_add_co_ci_u32_e64 v22, null, 0, v17, vcc_lo
	v_cmp_eq_u32_e32 vcc_lo, s65, v10
	v_xor_b32_e32 v10, s62, v20
	v_cndmask_b32_e32 v2, v23, v2, vcc_lo
	v_cmp_ne_u32_e32 vcc_lo, 0, v9
	v_cmp_ne_u32_e64 s0, 0, v2
	v_cndmask_b32_e32 v2, v21, v18, vcc_lo
	v_cndmask_b32_e32 v9, v22, v19, vcc_lo
	v_cndmask_b32_e64 v2, v16, v2, s0
	v_cndmask_b32_e64 v9, v17, v9, s0
	v_xor_b32_e32 v2, v2, v10
	v_xor_b32_e32 v16, v9, v10
	v_sub_co_u32 v9, vcc_lo, v2, v10
	v_sub_co_ci_u32_e64 v10, null, v16, v10, vcc_lo
                                        ; implicit-def: $vgpr16
.LBB47_56:                              ;   in Loop: Header=BB47_3 Depth=1
	s_andn2_saveexec_b32 s0, s61
	s_cbranch_execz .LBB47_58
; %bb.57:                               ;   in Loop: Header=BB47_3 Depth=1
	v_rcp_iflag_f32_e32 v2, v13
	s_sub_i32 s61, 0, s54
	v_mul_f32_e32 v2, 0x4f7ffffe, v2
	v_cvt_u32_f32_e32 v2, v2
	v_mul_lo_u32 v9, s61, v2
	v_mul_hi_u32 v9, v2, v9
	v_add_nc_u32_e32 v2, v2, v9
	v_mul_hi_u32 v2, v16, v2
	v_mul_lo_u32 v9, v2, s54
	v_add_nc_u32_e32 v10, 1, v2
	v_sub_nc_u32_e32 v9, v16, v9
	v_subrev_nc_u32_e32 v16, s54, v9
	v_cmp_le_u32_e32 vcc_lo, s54, v9
	v_cndmask_b32_e32 v9, v9, v16, vcc_lo
	v_cndmask_b32_e32 v2, v2, v10, vcc_lo
	v_cmp_le_u32_e32 vcc_lo, s54, v9
	v_add_nc_u32_e32 v10, 1, v2
	v_cndmask_b32_e32 v9, v2, v10, vcc_lo
	v_mov_b32_e32 v10, v1
.LBB47_58:                              ;   in Loop: Header=BB47_3 Depth=1
	s_or_b32 exec_lo, exec_lo, s0
	v_mul_lo_u32 v2, v10, s54
	v_mul_lo_u32 v18, v9, s55
	v_mad_u64_u32 v[16:17], null, v9, s54, 0
	v_mul_lo_u32 v20, v10, s4
	v_bfe_u32 v19, v14, 16, 1
	s_mov_b32 s0, exec_lo
	v_add3_u32 v2, v17, v18, v2
	v_sub_co_u32 v5, vcc_lo, v5, v16
	v_mul_lo_u32 v18, v9, s5
	v_mad_u64_u32 v[9:10], null, v9, s4, 0
	v_sub_co_ci_u32_e64 v2, null, v6, v2, vcc_lo
	v_add_co_u32 v5, vcc_lo, v3, v5
	v_add_co_ci_u32_e64 v2, null, v4, v2, vcc_lo
	v_add_co_u32 v6, vcc_lo, v7, 3
	v_add_co_ci_u32_e64 v21, null, 0, v8, vcc_lo
	v_mul_lo_u32 v22, v5, s7
	v_mul_lo_u32 v2, v2, s6
	v_mad_u64_u32 v[16:17], null, v5, s6, 0
	v_mul_lo_u32 v23, s9, v6
	v_mul_lo_u32 v21, s8, v21
	v_mad_u64_u32 v[5:6], null, s8, v6, 0
	v_add3_u32 v10, v10, v18, v20
	v_cmp_o_f32_e32 vcc_lo, v14, v14
	v_add3_u32 v14, v14, v19, 0x7fff
	v_add3_u32 v17, v17, v22, v2
	v_lshlrev_b64 v[9:10], 1, v[9:10]
	v_add3_u32 v6, v6, v21, v23
	v_cndmask_b32_sdwa v19, v15, v14, vcc_lo dst_sel:DWORD dst_unused:UNUSED_PAD src0_sel:DWORD src1_sel:WORD_1
	v_add_co_u32 v14, vcc_lo, v3, v5
	v_lshlrev_b64 v[17:18], 1, v[16:17]
	v_add_co_ci_u32_e64 v16, null, v4, v6, vcc_lo
	v_add_co_u32 v9, vcc_lo, s52, v9
	v_add_co_ci_u32_e64 v10, null, s53, v10, vcc_lo
	v_or_b32_e32 v2, s55, v16
	v_add_co_u32 v9, vcc_lo, v9, v17
	v_add_co_ci_u32_e64 v10, null, v10, v18, vcc_lo
	global_store_short v[9:10], v19, off
                                        ; implicit-def: $vgpr9_vgpr10
	v_cmpx_ne_u64_e32 0, v[1:2]
	s_xor_b32 s61, exec_lo, s0
	s_cbranch_execz .LBB47_60
; %bb.59:                               ;   in Loop: Header=BB47_3 Depth=1
	s_ashr_i32 s62, s55, 31
	v_ashrrev_i32_e32 v20, 31, v16
	s_add_u32 s64, s54, s62
	s_mov_b32 s63, s62
	s_addc_u32 s65, s55, s62
	s_xor_b64 s[64:65], s[64:65], s[62:63]
	v_add_co_u32 v10, vcc_lo, v14, v20
	v_cvt_f32_u32_e32 v2, s64
	v_cvt_f32_u32_e32 v9, s65
	s_sub_u32 s74, 0, s64
	s_subb_u32 s75, 0, s65
	v_add_co_ci_u32_e64 v14, null, v16, v20, vcc_lo
	v_fmac_f32_e32 v2, 0x4f800000, v9
	v_xor_b32_e32 v14, v14, v20
	v_rcp_f32_e32 v2, v2
	v_mul_f32_e32 v2, 0x5f7ffffc, v2
	v_mul_f32_e32 v9, 0x2f800000, v2
	v_trunc_f32_e32 v9, v9
	v_fmac_f32_e32 v2, 0xcf800000, v9
	v_cvt_u32_f32_e32 v9, v9
	v_cvt_u32_f32_e32 v2, v2
	v_readfirstlane_b32 s0, v9
	v_readfirstlane_b32 s63, v2
	s_mul_i32 s76, s74, s0
	v_xor_b32_e32 v2, v10, v20
	s_mul_hi_u32 s78, s74, s63
	s_mul_i32 s77, s75, s63
	s_add_i32 s76, s78, s76
	s_mul_i32 s79, s74, s63
	s_add_i32 s76, s76, s77
	s_mul_hi_u32 s78, s63, s79
	s_mul_i32 s81, s63, s76
	s_mul_hi_u32 s80, s0, s79
	s_mul_i32 s77, s0, s79
	s_mul_hi_u32 s79, s63, s76
	s_add_u32 s78, s78, s81
	s_addc_u32 s79, 0, s79
	s_mul_hi_u32 s82, s0, s76
	s_add_u32 s77, s78, s77
	s_mul_i32 s76, s0, s76
	s_addc_u32 s77, s79, s80
	s_addc_u32 s78, s82, 0
	s_add_u32 s76, s77, s76
	s_addc_u32 s77, 0, s78
	s_add_u32 s63, s63, s76
	s_cselect_b32 s76, -1, 0
	s_mul_hi_u32 s78, s74, s63
	s_cmp_lg_u32 s76, 0
	s_mul_i32 s76, s74, s63
	s_addc_u32 s0, s0, s77
	s_mul_i32 s75, s75, s63
	s_mul_i32 s74, s74, s0
	s_mul_hi_u32 s77, s63, s76
	s_add_i32 s74, s78, s74
	s_mul_hi_u32 s78, s0, s76
	s_add_i32 s74, s74, s75
	s_mul_i32 s75, s0, s76
	s_mul_i32 s80, s63, s74
	s_mul_hi_u32 s79, s63, s74
	s_add_u32 s77, s77, s80
	s_addc_u32 s79, 0, s79
	s_mul_hi_u32 s76, s0, s74
	s_add_u32 s75, s77, s75
	s_mul_i32 s74, s0, s74
	s_addc_u32 s75, s79, s78
	s_addc_u32 s76, s76, 0
	s_add_u32 s74, s75, s74
	s_addc_u32 s75, 0, s76
	s_add_u32 s63, s63, s74
	s_cselect_b32 s74, -1, 0
	v_mul_hi_u32 v21, v2, s63
	s_cmp_lg_u32 s74, 0
	v_mad_u64_u32 v[16:17], null, v14, s63, 0
	s_addc_u32 s0, s0, s75
	v_mad_u64_u32 v[9:10], null, v2, s0, 0
	v_mad_u64_u32 v[18:19], null, v14, s0, 0
	v_add_co_u32 v9, vcc_lo, v21, v9
	v_add_co_ci_u32_e64 v10, null, 0, v10, vcc_lo
	v_add_co_u32 v9, vcc_lo, v9, v16
	v_add_co_ci_u32_e32 v9, vcc_lo, v10, v17, vcc_lo
	v_add_co_ci_u32_e32 v10, vcc_lo, 0, v19, vcc_lo
	v_add_co_u32 v16, vcc_lo, v9, v18
	v_add_co_ci_u32_e64 v17, null, 0, v10, vcc_lo
	v_mul_lo_u32 v18, s65, v16
	v_mad_u64_u32 v[9:10], null, s64, v16, 0
	v_mul_lo_u32 v19, s64, v17
	v_sub_co_u32 v2, vcc_lo, v2, v9
	v_add3_u32 v10, v10, v19, v18
	v_sub_nc_u32_e32 v18, v14, v10
	v_sub_co_ci_u32_e64 v10, null, v14, v10, vcc_lo
	v_subrev_co_ci_u32_e64 v9, null, s65, v18, vcc_lo
	v_add_co_u32 v18, s0, v16, 2
	v_add_co_ci_u32_e64 v19, null, 0, v17, s0
	v_sub_co_u32 v21, s0, v2, s64
	v_subrev_co_ci_u32_e64 v9, null, 0, v9, s0
	v_cmp_le_u32_e32 vcc_lo, s64, v21
	v_cndmask_b32_e64 v14, 0, -1, vcc_lo
	v_cmp_le_u32_e32 vcc_lo, s65, v9
	v_cndmask_b32_e64 v21, 0, -1, vcc_lo
	;; [unrolled: 2-line block ×4, first 2 shown]
	v_cmp_eq_u32_e32 vcc_lo, s65, v9
	v_cndmask_b32_e32 v9, v21, v14, vcc_lo
	v_add_co_u32 v14, vcc_lo, v16, 1
	v_add_co_ci_u32_e64 v21, null, 0, v17, vcc_lo
	v_cmp_eq_u32_e32 vcc_lo, s65, v10
	v_xor_b32_e32 v10, s62, v20
	v_cndmask_b32_e32 v2, v22, v2, vcc_lo
	v_cmp_ne_u32_e32 vcc_lo, 0, v9
	v_cmp_ne_u32_e64 s0, 0, v2
	v_cndmask_b32_e32 v2, v14, v18, vcc_lo
	v_cndmask_b32_e32 v9, v21, v19, vcc_lo
	v_cndmask_b32_e64 v2, v16, v2, s0
	v_cndmask_b32_e64 v9, v17, v9, s0
	v_xor_b32_e32 v2, v2, v10
	v_xor_b32_e32 v14, v9, v10
	v_sub_co_u32 v9, vcc_lo, v2, v10
	v_sub_co_ci_u32_e64 v10, null, v14, v10, vcc_lo
                                        ; implicit-def: $vgpr14
.LBB47_60:                              ;   in Loop: Header=BB47_3 Depth=1
	s_andn2_saveexec_b32 s0, s61
	s_cbranch_execz .LBB47_62
; %bb.61:                               ;   in Loop: Header=BB47_3 Depth=1
	v_rcp_iflag_f32_e32 v2, v13
	s_sub_i32 s61, 0, s54
	v_mul_f32_e32 v2, 0x4f7ffffe, v2
	v_cvt_u32_f32_e32 v2, v2
	v_mul_lo_u32 v9, s61, v2
	v_mul_hi_u32 v9, v2, v9
	v_add_nc_u32_e32 v2, v2, v9
	v_mul_hi_u32 v2, v14, v2
	v_mul_lo_u32 v9, v2, s54
	v_add_nc_u32_e32 v10, 1, v2
	v_sub_nc_u32_e32 v9, v14, v9
	v_subrev_nc_u32_e32 v14, s54, v9
	v_cmp_le_u32_e32 vcc_lo, s54, v9
	v_cndmask_b32_e32 v9, v9, v14, vcc_lo
	v_cndmask_b32_e32 v2, v2, v10, vcc_lo
	v_cmp_le_u32_e32 vcc_lo, s54, v9
	v_add_nc_u32_e32 v10, 1, v2
	v_cndmask_b32_e32 v9, v2, v10, vcc_lo
	v_mov_b32_e32 v10, v1
.LBB47_62:                              ;   in Loop: Header=BB47_3 Depth=1
	s_or_b32 exec_lo, exec_lo, s0
	v_mul_lo_u32 v2, v10, s54
	v_mul_lo_u32 v14, v9, s55
	v_mad_u64_u32 v[16:17], null, v9, s54, 0
	v_mul_lo_u32 v18, v10, s4
	s_mov_b32 s0, exec_lo
	v_add3_u32 v2, v17, v14, v2
	v_sub_co_u32 v5, vcc_lo, v5, v16
	v_mul_lo_u32 v14, v9, s5
	v_mad_u64_u32 v[9:10], null, v9, s4, 0
	v_sub_co_ci_u32_e64 v2, null, v6, v2, vcc_lo
	v_add_co_u32 v5, vcc_lo, v3, v5
	v_add_co_ci_u32_e64 v2, null, v4, v2, vcc_lo
	v_add_co_u32 v6, vcc_lo, v7, 4
	v_add_co_ci_u32_e64 v16, null, 0, v8, vcc_lo
	v_mul_lo_u32 v17, v5, s7
	v_mul_lo_u32 v2, v2, s6
	v_mad_u64_u32 v[7:8], null, v5, s6, 0
	v_mul_lo_u32 v19, s9, v6
	v_mul_lo_u32 v20, s8, v16
	v_mad_u64_u32 v[5:6], null, s8, v6, 0
	v_add3_u32 v10, v10, v14, v18
	v_add3_u32 v8, v8, v17, v2
	v_lshlrev_b64 v[16:17], 1, v[9:10]
	v_add3_u32 v6, v6, v20, v19
	v_add_co_u32 v9, vcc_lo, v3, v5
	v_lshlrev_b64 v[7:8], 1, v[7:8]
	v_add_co_ci_u32_e64 v10, null, v4, v6, vcc_lo
	v_add_co_u32 v14, vcc_lo, s52, v16
	v_add_co_ci_u32_e64 v16, null, s53, v17, vcc_lo
	v_or_b32_e32 v2, s55, v10
	v_add_co_u32 v7, vcc_lo, v14, v7
	v_add_co_ci_u32_e64 v8, null, v16, v8, vcc_lo
	global_store_short v[7:8], v11, off
                                        ; implicit-def: $vgpr7_vgpr8
	v_cmpx_ne_u64_e32 0, v[1:2]
	s_xor_b32 s61, exec_lo, s0
	s_cbranch_execz .LBB47_64
; %bb.63:                               ;   in Loop: Header=BB47_3 Depth=1
	s_ashr_i32 s62, s55, 31
	v_ashrrev_i32_e32 v11, 31, v10
	s_add_u32 s64, s54, s62
	s_mov_b32 s63, s62
	s_addc_u32 s65, s55, s62
	s_xor_b64 s[64:65], s[64:65], s[62:63]
	v_add_co_u32 v8, vcc_lo, v9, v11
	v_cvt_f32_u32_e32 v2, s64
	v_cvt_f32_u32_e32 v7, s65
	s_sub_u32 s74, 0, s64
	s_subb_u32 s75, 0, s65
	v_add_co_ci_u32_e64 v9, null, v10, v11, vcc_lo
	v_fmac_f32_e32 v2, 0x4f800000, v7
	v_xor_b32_e32 v16, v9, v11
	v_rcp_f32_e32 v2, v2
	v_mul_f32_e32 v2, 0x5f7ffffc, v2
	v_mul_f32_e32 v7, 0x2f800000, v2
	v_trunc_f32_e32 v7, v7
	v_fmac_f32_e32 v2, 0xcf800000, v7
	v_cvt_u32_f32_e32 v7, v7
	v_cvt_u32_f32_e32 v2, v2
	v_readfirstlane_b32 s0, v7
	v_readfirstlane_b32 s63, v2
	s_mul_i32 s76, s74, s0
	v_xor_b32_e32 v2, v8, v11
	s_mul_hi_u32 s78, s74, s63
	s_mul_i32 s77, s75, s63
	s_add_i32 s76, s78, s76
	s_mul_i32 s79, s74, s63
	s_add_i32 s76, s76, s77
	s_mul_hi_u32 s78, s63, s79
	s_mul_i32 s81, s63, s76
	s_mul_hi_u32 s80, s0, s79
	s_mul_i32 s77, s0, s79
	s_mul_hi_u32 s79, s63, s76
	s_add_u32 s78, s78, s81
	s_addc_u32 s79, 0, s79
	s_mul_hi_u32 s82, s0, s76
	s_add_u32 s77, s78, s77
	s_mul_i32 s76, s0, s76
	s_addc_u32 s77, s79, s80
	s_addc_u32 s78, s82, 0
	s_add_u32 s76, s77, s76
	s_addc_u32 s77, 0, s78
	s_add_u32 s63, s63, s76
	s_cselect_b32 s76, -1, 0
	s_mul_hi_u32 s78, s74, s63
	s_cmp_lg_u32 s76, 0
	s_mul_i32 s76, s74, s63
	s_addc_u32 s0, s0, s77
	s_mul_i32 s75, s75, s63
	s_mul_i32 s74, s74, s0
	s_mul_hi_u32 s77, s63, s76
	s_add_i32 s74, s78, s74
	s_mul_hi_u32 s78, s0, s76
	s_add_i32 s74, s74, s75
	s_mul_i32 s75, s0, s76
	s_mul_i32 s80, s63, s74
	s_mul_hi_u32 s79, s63, s74
	s_add_u32 s77, s77, s80
	s_addc_u32 s79, 0, s79
	s_mul_hi_u32 s76, s0, s74
	s_add_u32 s75, s77, s75
	s_mul_i32 s74, s0, s74
	s_addc_u32 s75, s79, s78
	s_addc_u32 s76, s76, 0
	s_add_u32 s74, s75, s74
	s_addc_u32 s75, 0, s76
	s_add_u32 s63, s63, s74
	s_cselect_b32 s74, -1, 0
	v_mul_hi_u32 v17, v2, s63
	s_cmp_lg_u32 s74, 0
	v_mad_u64_u32 v[9:10], null, v16, s63, 0
	s_addc_u32 s0, s0, s75
	v_mad_u64_u32 v[7:8], null, v2, s0, 0
	v_mad_u64_u32 v[13:14], null, v16, s0, 0
	v_add_co_u32 v7, vcc_lo, v17, v7
	v_add_co_ci_u32_e64 v8, null, 0, v8, vcc_lo
	v_add_co_u32 v7, vcc_lo, v7, v9
	v_add_co_ci_u32_e32 v7, vcc_lo, v8, v10, vcc_lo
	v_add_co_ci_u32_e32 v8, vcc_lo, 0, v14, vcc_lo
	v_add_co_u32 v9, vcc_lo, v7, v13
	v_add_co_ci_u32_e64 v10, null, 0, v8, vcc_lo
	v_mul_lo_u32 v13, s65, v9
	v_mad_u64_u32 v[7:8], null, s64, v9, 0
	v_mul_lo_u32 v14, s64, v10
	v_sub_co_u32 v2, vcc_lo, v2, v7
	v_add3_u32 v8, v8, v14, v13
	v_sub_nc_u32_e32 v13, v16, v8
	v_sub_co_ci_u32_e64 v8, null, v16, v8, vcc_lo
	v_subrev_co_ci_u32_e64 v7, null, s65, v13, vcc_lo
	v_add_co_u32 v13, s0, v9, 2
	v_add_co_ci_u32_e64 v14, null, 0, v10, s0
	v_sub_co_u32 v17, s0, v2, s64
	v_subrev_co_ci_u32_e64 v7, null, 0, v7, s0
	v_cmp_le_u32_e32 vcc_lo, s64, v17
	v_cndmask_b32_e64 v16, 0, -1, vcc_lo
	v_cmp_le_u32_e32 vcc_lo, s65, v7
	v_cndmask_b32_e64 v17, 0, -1, vcc_lo
	;; [unrolled: 2-line block ×4, first 2 shown]
	v_cmp_eq_u32_e32 vcc_lo, s65, v7
	v_cndmask_b32_e32 v7, v17, v16, vcc_lo
	v_add_co_u32 v16, vcc_lo, v9, 1
	v_add_co_ci_u32_e64 v17, null, 0, v10, vcc_lo
	v_cmp_eq_u32_e32 vcc_lo, s65, v8
	v_xor_b32_e32 v8, s62, v11
	v_cndmask_b32_e32 v2, v18, v2, vcc_lo
	v_cmp_ne_u32_e32 vcc_lo, 0, v7
	v_cmp_ne_u32_e64 s0, 0, v2
	v_cndmask_b32_e32 v2, v16, v13, vcc_lo
	v_cndmask_b32_e32 v7, v17, v14, vcc_lo
                                        ; implicit-def: $vgpr13
	v_cndmask_b32_e64 v2, v9, v2, s0
	v_cndmask_b32_e64 v7, v10, v7, s0
	v_xor_b32_e32 v2, v2, v8
	v_xor_b32_e32 v9, v7, v8
	v_sub_co_u32 v7, vcc_lo, v2, v8
	v_sub_co_ci_u32_e64 v8, null, v9, v8, vcc_lo
                                        ; implicit-def: $vgpr9
.LBB47_64:                              ;   in Loop: Header=BB47_3 Depth=1
	s_andn2_saveexec_b32 s0, s61
	s_cbranch_execz .LBB47_2
; %bb.65:                               ;   in Loop: Header=BB47_3 Depth=1
	v_rcp_iflag_f32_e32 v2, v13
	s_sub_i32 s61, 0, s54
	v_mul_f32_e32 v2, 0x4f7ffffe, v2
	v_cvt_u32_f32_e32 v2, v2
	v_mul_lo_u32 v7, s61, v2
	v_mul_hi_u32 v7, v2, v7
	v_add_nc_u32_e32 v2, v2, v7
	v_mul_hi_u32 v2, v9, v2
	v_mul_lo_u32 v7, v2, s54
	v_add_nc_u32_e32 v8, 1, v2
	v_sub_nc_u32_e32 v7, v9, v7
	v_subrev_nc_u32_e32 v9, s54, v7
	v_cmp_le_u32_e32 vcc_lo, s54, v7
	v_cndmask_b32_e32 v7, v7, v9, vcc_lo
	v_cndmask_b32_e32 v2, v2, v8, vcc_lo
	v_cmp_le_u32_e32 vcc_lo, s54, v7
	v_add_nc_u32_e32 v8, 1, v2
	v_cndmask_b32_e32 v7, v2, v8, vcc_lo
	v_mov_b32_e32 v8, v1
	s_branch .LBB47_2
.LBB47_66:
	s_endpgm
	.section	.rodata,"a",@progbits
	.p2align	6, 0x0
	.amdhsa_kernel _ZN2at6native12_GLOBAL__N_16kernel16gru_cell_forwardIN3c108BFloat16EflLi2EEEvNS_4cuda6detail10TensorInfoIT_T1_EESB_SB_SB_SB_SB_SB_SA_SA_
		.amdhsa_group_segment_fixed_size 0
		.amdhsa_private_segment_fixed_size 0
		.amdhsa_kernarg_size 3184
		.amdhsa_user_sgpr_count 6
		.amdhsa_user_sgpr_private_segment_buffer 1
		.amdhsa_user_sgpr_dispatch_ptr 0
		.amdhsa_user_sgpr_queue_ptr 0
		.amdhsa_user_sgpr_kernarg_segment_ptr 1
		.amdhsa_user_sgpr_dispatch_id 0
		.amdhsa_user_sgpr_flat_scratch_init 0
		.amdhsa_user_sgpr_private_segment_size 0
		.amdhsa_wavefront_size32 1
		.amdhsa_uses_dynamic_stack 0
		.amdhsa_system_sgpr_private_segment_wavefront_offset 0
		.amdhsa_system_sgpr_workgroup_id_x 1
		.amdhsa_system_sgpr_workgroup_id_y 0
		.amdhsa_system_sgpr_workgroup_id_z 0
		.amdhsa_system_sgpr_workgroup_info 0
		.amdhsa_system_vgpr_workitem_id 0
		.amdhsa_next_free_vgpr 35
		.amdhsa_next_free_sgpr 83
		.amdhsa_reserve_vcc 1
		.amdhsa_reserve_flat_scratch 0
		.amdhsa_float_round_mode_32 0
		.amdhsa_float_round_mode_16_64 0
		.amdhsa_float_denorm_mode_32 3
		.amdhsa_float_denorm_mode_16_64 3
		.amdhsa_dx10_clamp 1
		.amdhsa_ieee_mode 1
		.amdhsa_fp16_overflow 0
		.amdhsa_workgroup_processor_mode 1
		.amdhsa_memory_ordered 1
		.amdhsa_forward_progress 1
		.amdhsa_shared_vgpr_count 0
		.amdhsa_exception_fp_ieee_invalid_op 0
		.amdhsa_exception_fp_denorm_src 0
		.amdhsa_exception_fp_ieee_div_zero 0
		.amdhsa_exception_fp_ieee_overflow 0
		.amdhsa_exception_fp_ieee_underflow 0
		.amdhsa_exception_fp_ieee_inexact 0
		.amdhsa_exception_int_div_zero 0
	.end_amdhsa_kernel
	.section	.text._ZN2at6native12_GLOBAL__N_16kernel16gru_cell_forwardIN3c108BFloat16EflLi2EEEvNS_4cuda6detail10TensorInfoIT_T1_EESB_SB_SB_SB_SB_SB_SA_SA_,"axG",@progbits,_ZN2at6native12_GLOBAL__N_16kernel16gru_cell_forwardIN3c108BFloat16EflLi2EEEvNS_4cuda6detail10TensorInfoIT_T1_EESB_SB_SB_SB_SB_SB_SA_SA_,comdat
.Lfunc_end47:
	.size	_ZN2at6native12_GLOBAL__N_16kernel16gru_cell_forwardIN3c108BFloat16EflLi2EEEvNS_4cuda6detail10TensorInfoIT_T1_EESB_SB_SB_SB_SB_SB_SA_SA_, .Lfunc_end47-_ZN2at6native12_GLOBAL__N_16kernel16gru_cell_forwardIN3c108BFloat16EflLi2EEEvNS_4cuda6detail10TensorInfoIT_T1_EESB_SB_SB_SB_SB_SB_SA_SA_
                                        ; -- End function
	.set _ZN2at6native12_GLOBAL__N_16kernel16gru_cell_forwardIN3c108BFloat16EflLi2EEEvNS_4cuda6detail10TensorInfoIT_T1_EESB_SB_SB_SB_SB_SB_SA_SA_.num_vgpr, 35
	.set _ZN2at6native12_GLOBAL__N_16kernel16gru_cell_forwardIN3c108BFloat16EflLi2EEEvNS_4cuda6detail10TensorInfoIT_T1_EESB_SB_SB_SB_SB_SB_SA_SA_.num_agpr, 0
	.set _ZN2at6native12_GLOBAL__N_16kernel16gru_cell_forwardIN3c108BFloat16EflLi2EEEvNS_4cuda6detail10TensorInfoIT_T1_EESB_SB_SB_SB_SB_SB_SA_SA_.numbered_sgpr, 83
	.set _ZN2at6native12_GLOBAL__N_16kernel16gru_cell_forwardIN3c108BFloat16EflLi2EEEvNS_4cuda6detail10TensorInfoIT_T1_EESB_SB_SB_SB_SB_SB_SA_SA_.num_named_barrier, 0
	.set _ZN2at6native12_GLOBAL__N_16kernel16gru_cell_forwardIN3c108BFloat16EflLi2EEEvNS_4cuda6detail10TensorInfoIT_T1_EESB_SB_SB_SB_SB_SB_SA_SA_.private_seg_size, 0
	.set _ZN2at6native12_GLOBAL__N_16kernel16gru_cell_forwardIN3c108BFloat16EflLi2EEEvNS_4cuda6detail10TensorInfoIT_T1_EESB_SB_SB_SB_SB_SB_SA_SA_.uses_vcc, 1
	.set _ZN2at6native12_GLOBAL__N_16kernel16gru_cell_forwardIN3c108BFloat16EflLi2EEEvNS_4cuda6detail10TensorInfoIT_T1_EESB_SB_SB_SB_SB_SB_SA_SA_.uses_flat_scratch, 0
	.set _ZN2at6native12_GLOBAL__N_16kernel16gru_cell_forwardIN3c108BFloat16EflLi2EEEvNS_4cuda6detail10TensorInfoIT_T1_EESB_SB_SB_SB_SB_SB_SA_SA_.has_dyn_sized_stack, 0
	.set _ZN2at6native12_GLOBAL__N_16kernel16gru_cell_forwardIN3c108BFloat16EflLi2EEEvNS_4cuda6detail10TensorInfoIT_T1_EESB_SB_SB_SB_SB_SB_SA_SA_.has_recursion, 0
	.set _ZN2at6native12_GLOBAL__N_16kernel16gru_cell_forwardIN3c108BFloat16EflLi2EEEvNS_4cuda6detail10TensorInfoIT_T1_EESB_SB_SB_SB_SB_SB_SA_SA_.has_indirect_call, 0
	.section	.AMDGPU.csdata,"",@progbits
; Kernel info:
; codeLenInByte = 15168
; TotalNumSgprs: 85
; NumVgprs: 35
; ScratchSize: 0
; MemoryBound: 0
; FloatMode: 240
; IeeeMode: 1
; LDSByteSize: 0 bytes/workgroup (compile time only)
; SGPRBlocks: 0
; VGPRBlocks: 4
; NumSGPRsForWavesPerEU: 85
; NumVGPRsForWavesPerEU: 35
; Occupancy: 16
; WaveLimiterHint : 1
; COMPUTE_PGM_RSRC2:SCRATCH_EN: 0
; COMPUTE_PGM_RSRC2:USER_SGPR: 6
; COMPUTE_PGM_RSRC2:TRAP_HANDLER: 0
; COMPUTE_PGM_RSRC2:TGID_X_EN: 1
; COMPUTE_PGM_RSRC2:TGID_Y_EN: 0
; COMPUTE_PGM_RSRC2:TGID_Z_EN: 0
; COMPUTE_PGM_RSRC2:TIDIG_COMP_CNT: 0
	.section	.text._ZN2at6native12_GLOBAL__N_16kernel17gru_cell_backwardIddiLi1EEEvNS_4cuda6detail10TensorInfoIT_T1_EES9_S9_S9_S9_S8_S8_,"axG",@progbits,_ZN2at6native12_GLOBAL__N_16kernel17gru_cell_backwardIddiLi1EEEvNS_4cuda6detail10TensorInfoIT_T1_EES9_S9_S9_S9_S8_S8_,comdat
	.globl	_ZN2at6native12_GLOBAL__N_16kernel17gru_cell_backwardIddiLi1EEEvNS_4cuda6detail10TensorInfoIT_T1_EES9_S9_S9_S9_S8_S8_ ; -- Begin function _ZN2at6native12_GLOBAL__N_16kernel17gru_cell_backwardIddiLi1EEEvNS_4cuda6detail10TensorInfoIT_T1_EES9_S9_S9_S9_S8_S8_
	.p2align	8
	.type	_ZN2at6native12_GLOBAL__N_16kernel17gru_cell_backwardIddiLi1EEEvNS_4cuda6detail10TensorInfoIT_T1_EES9_S9_S9_S9_S8_S8_,@function
_ZN2at6native12_GLOBAL__N_16kernel17gru_cell_backwardIddiLi1EEEvNS_4cuda6detail10TensorInfoIT_T1_EES9_S9_S9_S9_S8_S8_: ; @_ZN2at6native12_GLOBAL__N_16kernel17gru_cell_backwardIddiLi1EEEvNS_4cuda6detail10TensorInfoIT_T1_EES9_S9_S9_S9_S8_S8_
; %bb.0:
	s_clause 0x1
	s_load_dword s2, s[4:5], 0x44c
	s_load_dwordx2 s[0:1], s[4:5], 0x438
	s_add_u32 s8, s4, 0x440
	s_addc_u32 s9, s5, 0
	s_waitcnt lgkmcnt(0)
	s_and_b32 s18, s2, 0xffff
	s_mov_b32 s2, exec_lo
	v_mad_u64_u32 v[0:1], null, s6, s18, v[0:1]
	v_cmpx_gt_i32_e64 s1, v0
	s_cbranch_execz .LBB48_3
; %bb.1:
	s_abs_i32 s14, s0
	s_clause 0x3
	s_load_dwordx2 s[2:3], s[4:5], 0x1b0
	s_load_dword s21, s[4:5], 0x21c
	s_load_dwordx2 s[6:7], s[4:5], 0x288
	s_load_dword s22, s[4:5], 0x2f4
	s_load_dword s19, s[8:9], 0x0
	v_cvt_f32_u32_e32 v1, s14
	s_sub_i32 s12, 0, s14
	s_clause 0x3
	s_load_dwordx2 s[8:9], s[4:5], 0x0
	s_load_dword s15, s[4:5], 0x6c
	s_load_dwordx2 s[10:11], s[4:5], 0xd8
	s_load_dword s16, s[4:5], 0x144
	s_mov_b32 s17, 0
	s_lshl_b32 s20, s0, 1
	v_rcp_iflag_f32_e32 v1, v1
	v_mul_f32_e32 v1, 0x4f7ffffe, v1
	s_waitcnt lgkmcnt(0)
	v_mul_lo_u32 v3, v0, s22
	s_mul_i32 s18, s19, s18
	v_cvt_u32_f32_e32 v2, v1
	s_lshl_b32 s19, s0, 2
	s_mul_i32 s22, s18, s22
	v_mul_lo_u32 v1, s12, v2
	s_clause 0x1
	s_load_dwordx2 s[12:13], s[4:5], 0x360
	s_load_dword s4, s[4:5], 0x3cc
	s_ashr_i32 s5, s0, 31
	v_mul_hi_u32 v4, v2, v1
	v_mul_lo_u32 v1, v0, s21
	s_mul_i32 s21, s18, s21
	v_add_nc_u32_e32 v5, v2, v4
.LBB48_2:                               ; =>This Inner Loop Header: Depth=1
	v_sub_nc_u32_e32 v4, 0, v0
	v_ashrrev_i32_e32 v6, 31, v0
	v_ashrrev_i32_e32 v2, 31, v1
	v_max_i32_e32 v4, v0, v4
	v_xor_b32_e32 v22, s5, v6
	v_lshlrev_b64 v[6:7], 3, v[1:2]
	v_mul_hi_u32 v2, v4, v5
	v_lshlrev_b32_e32 v8, 2, v22
	v_add_co_u32 v6, vcc_lo, s2, v6
	v_add_co_ci_u32_e64 v7, null, s3, v7, vcc_lo
	v_mul_lo_u32 v9, v2, s14
	v_add_nc_u32_e32 v10, 1, v2
	global_load_dwordx2 v[6:7], v[6:7], off
	v_sub_nc_u32_e32 v4, v4, v9
	v_subrev_nc_u32_e32 v9, s14, v4
	v_cmp_le_u32_e32 vcc_lo, s14, v4
	v_cndmask_b32_e32 v2, v2, v10, vcc_lo
	v_cndmask_b32_e32 v4, v4, v9, vcc_lo
	v_add_nc_u32_e32 v9, 1, v2
	v_cmp_le_u32_e32 vcc_lo, s14, v4
	v_cndmask_b32_e32 v2, v2, v9, vcc_lo
	v_xor_b32_e32 v2, v2, v22
	v_lshlrev_b32_e32 v4, 2, v2
	v_sub_nc_u32_e32 v26, v2, v22
	v_lshlrev_b32_e32 v2, 1, v2
	v_sub_nc_u32_e32 v4, v4, v8
	v_mad_u64_u32 v[8:9], null, s19, v26, v[0:1]
	v_or_b32_e32 v9, 1, v4
	v_or_b32_e32 v12, 2, v4
	;; [unrolled: 1-line block ×3, first 2 shown]
	v_add_nc_u32_e32 v4, 4, v4
	s_waitcnt lgkmcnt(0)
	v_mul_lo_u32 v8, v8, s4
	v_mad_u64_u32 v[10:11], null, s0, v9, v[0:1]
	v_mad_u64_u32 v[11:12], null, s0, v12, v[0:1]
	;; [unrolled: 1-line block ×4, first 2 shown]
	v_mul_lo_u32 v10, v10, s4
	v_ashrrev_i32_e32 v9, 31, v8
	v_mul_lo_u32 v14, v11, s4
	v_ashrrev_i32_e32 v4, 31, v3
	v_mul_lo_u32 v12, v12, s4
	v_add_nc_u32_e32 v1, s21, v1
	v_lshlrev_b64 v[8:9], 3, v[8:9]
	v_mul_lo_u32 v16, v13, s4
	v_ashrrev_i32_e32 v11, 31, v10
	v_lshlrev_b64 v[20:21], 3, v[3:4]
	v_ashrrev_i32_e32 v15, 31, v14
	v_lshlrev_b32_e32 v4, 1, v22
	v_add_co_u32 v8, vcc_lo, s12, v8
	v_lshlrev_b64 v[10:11], 3, v[10:11]
	v_add_co_ci_u32_e64 v9, null, s13, v9, vcc_lo
	v_lshlrev_b64 v[14:15], 3, v[14:15]
	v_ashrrev_i32_e32 v13, 31, v12
	v_ashrrev_i32_e32 v17, 31, v16
	v_add_co_u32 v10, vcc_lo, s12, v10
	v_add_co_ci_u32_e64 v11, null, s13, v11, vcc_lo
	global_load_dwordx2 v[8:9], v[8:9], off
	v_add_co_u32 v14, vcc_lo, s12, v14
	global_load_dwordx2 v[10:11], v[10:11], off
	v_add_co_ci_u32_e64 v15, null, s13, v15, vcc_lo
	v_lshlrev_b64 v[12:13], 3, v[12:13]
	v_lshlrev_b64 v[16:17], 3, v[16:17]
	v_sub_nc_u32_e32 v2, v2, v4
	global_load_dwordx2 v[14:15], v[14:15], off
	v_mad_u64_u32 v[26:27], null, s20, v26, v[0:1]
	v_add_co_u32 v12, vcc_lo, s12, v12
	v_add_co_ci_u32_e64 v13, null, s13, v13, vcc_lo
	v_add_co_u32 v16, vcc_lo, s12, v16
	v_add_co_ci_u32_e64 v17, null, s13, v17, vcc_lo
	global_load_dwordx2 v[12:13], v[12:13], off
	v_or_b32_e32 v4, 1, v2
	v_add_nc_u32_e32 v2, 2, v2
	global_load_dwordx2 v[16:17], v[16:17], off
	v_mul_lo_u32 v27, v26, s15
	v_add_co_u32 v20, vcc_lo, s6, v20
	v_add_co_ci_u32_e64 v21, null, s7, v21, vcc_lo
	v_add_nc_u32_e32 v3, s22, v3
	v_ashrrev_i32_e32 v28, 31, v27
	v_lshlrev_b64 v[35:36], 3, v[27:28]
	s_waitcnt vmcnt(4)
	v_add_f64 v[29:30], -v[8:9], 1.0
	s_waitcnt vmcnt(3)
	v_add_f64 v[18:19], -v[10:11], 1.0
	s_waitcnt vmcnt(2)
	v_fma_f64 v[22:23], -v[14:15], v[14:15], 1.0
	s_waitcnt vmcnt(1)
	v_add_f64 v[12:13], v[12:13], -v[14:15]
	v_mul_f64 v[24:25], v[18:19], v[6:7]
	v_mul_f64 v[12:13], v[12:13], v[6:7]
	;; [unrolled: 1-line block ×4, first 2 shown]
	v_mad_u64_u32 v[24:25], null, s0, v4, v[0:1]
	v_mul_lo_u32 v22, v26, s16
	v_mad_u64_u32 v[25:26], null, s0, v2, v[0:1]
	v_add_nc_u32_e32 v0, s18, v0
	v_mul_lo_u32 v26, v24, s15
	v_mul_lo_u32 v24, v24, s16
	v_ashrrev_i32_e32 v23, 31, v22
	v_mul_lo_u32 v31, v25, s15
	v_mul_lo_u32 v33, v25, s16
	v_cmp_le_i32_e32 vcc_lo, s1, v0
	v_lshlrev_b64 v[22:23], 3, v[22:23]
	v_mul_f64 v[12:13], v[18:19], v[12:13]
	v_ashrrev_i32_e32 v27, 31, v26
	v_ashrrev_i32_e32 v25, 31, v24
	;; [unrolled: 1-line block ×4, first 2 shown]
	s_waitcnt vmcnt(0)
	v_mul_f64 v[16:17], v[16:17], v[14:15]
	v_lshlrev_b64 v[26:27], 3, v[26:27]
	s_or_b32 s17, vcc_lo, s17
	v_add_co_u32 v18, vcc_lo, s8, v35
	v_add_co_ci_u32_e64 v19, null, s9, v36, vcc_lo
	v_add_co_u32 v22, vcc_lo, s10, v22
	v_lshlrev_b64 v[24:25], 3, v[24:25]
	v_add_co_ci_u32_e64 v23, null, s11, v23, vcc_lo
	v_mul_f64 v[10:11], v[10:11], v[12:13]
	v_mul_f64 v[12:13], v[8:9], v[14:15]
	;; [unrolled: 1-line block ×3, first 2 shown]
	v_lshlrev_b64 v[28:29], 3, v[31:32]
	v_lshlrev_b64 v[30:31], 3, v[33:34]
	v_mul_f64 v[8:9], v[8:9], v[16:17]
	v_add_co_u32 v16, vcc_lo, s8, v26
	v_add_co_ci_u32_e64 v17, null, s9, v27, vcc_lo
	v_add_co_u32 v26, vcc_lo, s8, v28
	v_add_co_ci_u32_e64 v27, null, s9, v29, vcc_lo
	;; [unrolled: 2-line block ×4, first 2 shown]
	global_store_dwordx2 v[18:19], v[8:9], off
	global_store_dwordx2 v[16:17], v[10:11], off
	global_store_dwordx2 v[26:27], v[14:15], off
	global_store_dwordx2 v[22:23], v[8:9], off
	global_store_dwordx2 v[24:25], v[10:11], off
	global_store_dwordx2 v[28:29], v[12:13], off
	global_store_dwordx2 v[20:21], v[6:7], off
	s_andn2_b32 exec_lo, exec_lo, s17
	s_cbranch_execnz .LBB48_2
.LBB48_3:
	s_endpgm
	.section	.rodata,"a",@progbits
	.p2align	6, 0x0
	.amdhsa_kernel _ZN2at6native12_GLOBAL__N_16kernel17gru_cell_backwardIddiLi1EEEvNS_4cuda6detail10TensorInfoIT_T1_EES9_S9_S9_S9_S8_S8_
		.amdhsa_group_segment_fixed_size 0
		.amdhsa_private_segment_fixed_size 0
		.amdhsa_kernarg_size 1344
		.amdhsa_user_sgpr_count 6
		.amdhsa_user_sgpr_private_segment_buffer 1
		.amdhsa_user_sgpr_dispatch_ptr 0
		.amdhsa_user_sgpr_queue_ptr 0
		.amdhsa_user_sgpr_kernarg_segment_ptr 1
		.amdhsa_user_sgpr_dispatch_id 0
		.amdhsa_user_sgpr_flat_scratch_init 0
		.amdhsa_user_sgpr_private_segment_size 0
		.amdhsa_wavefront_size32 1
		.amdhsa_uses_dynamic_stack 0
		.amdhsa_system_sgpr_private_segment_wavefront_offset 0
		.amdhsa_system_sgpr_workgroup_id_x 1
		.amdhsa_system_sgpr_workgroup_id_y 0
		.amdhsa_system_sgpr_workgroup_id_z 0
		.amdhsa_system_sgpr_workgroup_info 0
		.amdhsa_system_vgpr_workitem_id 0
		.amdhsa_next_free_vgpr 37
		.amdhsa_next_free_sgpr 23
		.amdhsa_reserve_vcc 1
		.amdhsa_reserve_flat_scratch 0
		.amdhsa_float_round_mode_32 0
		.amdhsa_float_round_mode_16_64 0
		.amdhsa_float_denorm_mode_32 3
		.amdhsa_float_denorm_mode_16_64 3
		.amdhsa_dx10_clamp 1
		.amdhsa_ieee_mode 1
		.amdhsa_fp16_overflow 0
		.amdhsa_workgroup_processor_mode 1
		.amdhsa_memory_ordered 1
		.amdhsa_forward_progress 1
		.amdhsa_shared_vgpr_count 0
		.amdhsa_exception_fp_ieee_invalid_op 0
		.amdhsa_exception_fp_denorm_src 0
		.amdhsa_exception_fp_ieee_div_zero 0
		.amdhsa_exception_fp_ieee_overflow 0
		.amdhsa_exception_fp_ieee_underflow 0
		.amdhsa_exception_fp_ieee_inexact 0
		.amdhsa_exception_int_div_zero 0
	.end_amdhsa_kernel
	.section	.text._ZN2at6native12_GLOBAL__N_16kernel17gru_cell_backwardIddiLi1EEEvNS_4cuda6detail10TensorInfoIT_T1_EES9_S9_S9_S9_S8_S8_,"axG",@progbits,_ZN2at6native12_GLOBAL__N_16kernel17gru_cell_backwardIddiLi1EEEvNS_4cuda6detail10TensorInfoIT_T1_EES9_S9_S9_S9_S8_S8_,comdat
.Lfunc_end48:
	.size	_ZN2at6native12_GLOBAL__N_16kernel17gru_cell_backwardIddiLi1EEEvNS_4cuda6detail10TensorInfoIT_T1_EES9_S9_S9_S9_S8_S8_, .Lfunc_end48-_ZN2at6native12_GLOBAL__N_16kernel17gru_cell_backwardIddiLi1EEEvNS_4cuda6detail10TensorInfoIT_T1_EES9_S9_S9_S9_S8_S8_
                                        ; -- End function
	.set _ZN2at6native12_GLOBAL__N_16kernel17gru_cell_backwardIddiLi1EEEvNS_4cuda6detail10TensorInfoIT_T1_EES9_S9_S9_S9_S8_S8_.num_vgpr, 37
	.set _ZN2at6native12_GLOBAL__N_16kernel17gru_cell_backwardIddiLi1EEEvNS_4cuda6detail10TensorInfoIT_T1_EES9_S9_S9_S9_S8_S8_.num_agpr, 0
	.set _ZN2at6native12_GLOBAL__N_16kernel17gru_cell_backwardIddiLi1EEEvNS_4cuda6detail10TensorInfoIT_T1_EES9_S9_S9_S9_S8_S8_.numbered_sgpr, 23
	.set _ZN2at6native12_GLOBAL__N_16kernel17gru_cell_backwardIddiLi1EEEvNS_4cuda6detail10TensorInfoIT_T1_EES9_S9_S9_S9_S8_S8_.num_named_barrier, 0
	.set _ZN2at6native12_GLOBAL__N_16kernel17gru_cell_backwardIddiLi1EEEvNS_4cuda6detail10TensorInfoIT_T1_EES9_S9_S9_S9_S8_S8_.private_seg_size, 0
	.set _ZN2at6native12_GLOBAL__N_16kernel17gru_cell_backwardIddiLi1EEEvNS_4cuda6detail10TensorInfoIT_T1_EES9_S9_S9_S9_S8_S8_.uses_vcc, 1
	.set _ZN2at6native12_GLOBAL__N_16kernel17gru_cell_backwardIddiLi1EEEvNS_4cuda6detail10TensorInfoIT_T1_EES9_S9_S9_S9_S8_S8_.uses_flat_scratch, 0
	.set _ZN2at6native12_GLOBAL__N_16kernel17gru_cell_backwardIddiLi1EEEvNS_4cuda6detail10TensorInfoIT_T1_EES9_S9_S9_S9_S8_S8_.has_dyn_sized_stack, 0
	.set _ZN2at6native12_GLOBAL__N_16kernel17gru_cell_backwardIddiLi1EEEvNS_4cuda6detail10TensorInfoIT_T1_EES9_S9_S9_S9_S8_S8_.has_recursion, 0
	.set _ZN2at6native12_GLOBAL__N_16kernel17gru_cell_backwardIddiLi1EEEvNS_4cuda6detail10TensorInfoIT_T1_EES9_S9_S9_S9_S8_S8_.has_indirect_call, 0
	.section	.AMDGPU.csdata,"",@progbits
; Kernel info:
; codeLenInByte = 1176
; TotalNumSgprs: 25
; NumVgprs: 37
; ScratchSize: 0
; MemoryBound: 0
; FloatMode: 240
; IeeeMode: 1
; LDSByteSize: 0 bytes/workgroup (compile time only)
; SGPRBlocks: 0
; VGPRBlocks: 4
; NumSGPRsForWavesPerEU: 25
; NumVGPRsForWavesPerEU: 37
; Occupancy: 16
; WaveLimiterHint : 1
; COMPUTE_PGM_RSRC2:SCRATCH_EN: 0
; COMPUTE_PGM_RSRC2:USER_SGPR: 6
; COMPUTE_PGM_RSRC2:TRAP_HANDLER: 0
; COMPUTE_PGM_RSRC2:TGID_X_EN: 1
; COMPUTE_PGM_RSRC2:TGID_Y_EN: 0
; COMPUTE_PGM_RSRC2:TGID_Z_EN: 0
; COMPUTE_PGM_RSRC2:TIDIG_COMP_CNT: 0
	.section	.text._ZN2at6native12_GLOBAL__N_16kernel17gru_cell_backwardIddiLi2EEEvNS_4cuda6detail10TensorInfoIT_T1_EES9_S9_S9_S9_S8_S8_,"axG",@progbits,_ZN2at6native12_GLOBAL__N_16kernel17gru_cell_backwardIddiLi2EEEvNS_4cuda6detail10TensorInfoIT_T1_EES9_S9_S9_S9_S8_S8_,comdat
	.globl	_ZN2at6native12_GLOBAL__N_16kernel17gru_cell_backwardIddiLi2EEEvNS_4cuda6detail10TensorInfoIT_T1_EES9_S9_S9_S9_S8_S8_ ; -- Begin function _ZN2at6native12_GLOBAL__N_16kernel17gru_cell_backwardIddiLi2EEEvNS_4cuda6detail10TensorInfoIT_T1_EES9_S9_S9_S9_S8_S8_
	.p2align	8
	.type	_ZN2at6native12_GLOBAL__N_16kernel17gru_cell_backwardIddiLi2EEEvNS_4cuda6detail10TensorInfoIT_T1_EES9_S9_S9_S9_S8_S8_,@function
_ZN2at6native12_GLOBAL__N_16kernel17gru_cell_backwardIddiLi2EEEvNS_4cuda6detail10TensorInfoIT_T1_EES9_S9_S9_S9_S8_S8_: ; @_ZN2at6native12_GLOBAL__N_16kernel17gru_cell_backwardIddiLi2EEEvNS_4cuda6detail10TensorInfoIT_T1_EES9_S9_S9_S9_S8_S8_
; %bb.0:
	s_clause 0x1
	s_load_dword s2, s[4:5], 0x44c
	s_load_dwordx2 s[8:9], s[4:5], 0x438
	s_add_u32 s0, s4, 0x440
	s_addc_u32 s1, s5, 0
	s_mov_b32 s3, exec_lo
	s_waitcnt lgkmcnt(0)
	s_and_b32 s2, s2, 0xffff
	v_mad_u64_u32 v[0:1], null, s6, s2, v[0:1]
	v_cmpx_gt_i32_e64 s9, v0
	s_cbranch_execz .LBB49_3
; %bb.1:
	s_clause 0x2
	s_load_dword s3, s[4:5], 0x36c
	s_load_dword s26, s[4:5], 0xc
	;; [unrolled: 1-line block ×4, first 2 shown]
	s_clause 0x3
	s_load_dword s28, s[4:5], 0xe4
	s_load_dwordx2 s[6:7], s[4:5], 0x144
	s_load_dwordx2 s[10:11], s[4:5], 0x1b0
	s_load_dword s0, s[4:5], 0x294
	s_abs_i32 s27, s8
	s_clause 0x7
	s_load_dwordx2 s[12:13], s[4:5], 0x0
	s_load_dwordx2 s[14:15], s[4:5], 0x6c
	s_load_dwordx2 s[16:17], s[4:5], 0xd8
	s_load_dwordx2 s[18:19], s[4:5], 0x21c
	s_load_dwordx2 s[20:21], s[4:5], 0x288
	s_load_dwordx2 s[22:23], s[4:5], 0x2f4
	s_load_dwordx2 s[24:25], s[4:5], 0x360
	s_load_dwordx2 s[4:5], s[4:5], 0x3cc
	v_cvt_f32_u32_e32 v1, s27
	s_sub_i32 s1, 0, s27
	s_ashr_i32 s36, s8, 31
	s_mov_b32 s37, 0
	s_lshl_b32 s43, s8, 2
	v_rcp_iflag_f32_e32 v1, v1
	s_lshl_b32 s44, s8, 1
	s_waitcnt lgkmcnt(0)
	s_abs_i32 s29, s3
	s_abs_i32 s33, s26
	;; [unrolled: 1-line block ×3, first 2 shown]
	v_cvt_f32_u32_e32 v2, s29
	v_cvt_f32_u32_e32 v3, s30
	s_abs_i32 s34, s28
	v_cvt_f32_u32_e32 v4, s33
	s_abs_i32 s35, s0
	v_rcp_iflag_f32_e32 v2, v2
	v_rcp_iflag_f32_e32 v3, v3
	v_cvt_f32_u32_e32 v5, s34
	v_cvt_f32_u32_e32 v7, s35
	v_rcp_iflag_f32_e32 v4, v4
	v_mul_f32_e32 v1, 0x4f7ffffe, v1
	s_mul_i32 s31, s31, s2
	v_rcp_iflag_f32_e32 v5, v5
	v_rcp_iflag_f32_e32 v7, v7
	s_sub_i32 s2, 0, s30
	v_mul_f32_e32 v2, 0x4f7ffffe, v2
	v_mul_f32_e32 v3, 0x4f7ffffe, v3
	v_cvt_u32_f32_e32 v1, v1
	s_ashr_i32 s38, s3, 31
	s_ashr_i32 s39, s45, 31
	v_cvt_u32_f32_e32 v2, v2
	v_cvt_u32_f32_e32 v8, v3
	v_mul_f32_e32 v3, 0x4f7ffffe, v4
	v_mul_lo_u32 v6, s1, v1
	s_sub_i32 s1, 0, s29
	v_mul_f32_e32 v4, 0x4f7ffffe, v5
	v_mul_f32_e32 v7, 0x4f7ffffe, v7
	v_mul_lo_u32 v5, s1, v2
	v_cvt_u32_f32_e32 v10, v3
	s_sub_i32 s1, 0, s33
	v_cvt_u32_f32_e32 v11, v4
	v_cvt_u32_f32_e32 v12, v7
	v_mul_lo_u32 v9, s2, v8
	s_sub_i32 s2, 0, s34
	v_mul_lo_u32 v4, s1, v10
	s_sub_i32 s1, 0, s35
	v_mul_hi_u32 v6, v1, v6
	v_mul_lo_u32 v7, s2, v11
	v_mul_hi_u32 v5, v2, v5
	v_mul_lo_u32 v13, s1, v12
	v_mul_hi_u32 v9, v8, v9
	s_ashr_i32 s40, s26, 31
	s_ashr_i32 s41, s28, 31
	;; [unrolled: 1-line block ×3, first 2 shown]
	v_add_nc_u32_e32 v3, v1, v6
	v_mul_hi_u32 v1, v10, v4
	v_mul_hi_u32 v7, v11, v7
	v_add_nc_u32_e32 v4, v2, v5
	v_mul_hi_u32 v2, v12, v13
	v_add_nc_u32_e32 v5, v8, v9
	s_sub_i32 s45, 0, s45
	s_sub_i32 s46, 0, s0
	v_add_nc_u32_e32 v6, v10, v1
	v_add_nc_u32_e32 v7, v11, v7
	;; [unrolled: 1-line block ×3, first 2 shown]
.LBB49_2:                               ; =>This Inner Loop Header: Depth=1
	v_sub_nc_u32_e32 v1, 0, v0
	v_ashrrev_i32_e32 v10, 31, v0
	v_max_i32_e32 v9, v0, v1
	v_xor_b32_e32 v11, s36, v10
	v_xor_b32_e32 v1, s39, v10
	;; [unrolled: 1-line block ×3, first 2 shown]
	v_mul_hi_u32 v2, v9, v3
	v_mul_hi_u32 v12, v9, v5
	v_lshlrev_b32_e32 v13, 2, v11
	v_mul_lo_u32 v14, v2, s27
	v_mul_lo_u32 v15, v12, s30
	v_add_nc_u32_e32 v16, 1, v2
	v_add_nc_u32_e32 v17, 1, v12
	v_sub_nc_u32_e32 v14, v9, v14
	v_sub_nc_u32_e32 v15, v9, v15
	v_subrev_nc_u32_e32 v18, s27, v14
	v_cmp_le_u32_e32 vcc_lo, s27, v14
	v_cmp_le_u32_e64 s0, s30, v15
	v_cndmask_b32_e32 v2, v2, v16, vcc_lo
	v_subrev_nc_u32_e32 v16, s30, v15
	v_cndmask_b32_e32 v14, v14, v18, vcc_lo
	v_cndmask_b32_e64 v12, v12, v17, s0
	v_add_nc_u32_e32 v17, 1, v2
	v_cndmask_b32_e64 v15, v15, v16, s0
	v_cmp_le_u32_e32 vcc_lo, s27, v14
	v_add_nc_u32_e32 v16, 1, v12
	v_cndmask_b32_e32 v2, v2, v17, vcc_lo
	v_cmp_le_u32_e32 vcc_lo, s30, v15
	v_xor_b32_e32 v22, v2, v11
	v_cndmask_b32_e32 v12, v12, v16, vcc_lo
	v_sub_nc_u32_e32 v23, v22, v11
	v_xor_b32_e32 v2, v12, v1
	v_lshlrev_b32_e32 v12, 2, v22
	v_lshlrev_b32_e32 v11, 1, v11
	v_lshlrev_b32_e32 v22, 1, v22
	v_mul_lo_u32 v15, s43, v23
	v_sub_nc_u32_e32 v14, v2, v1
	v_sub_nc_u32_e32 v12, v12, v13
	v_sub_nc_u32_e32 v11, v22, v11
	v_mad_u64_u32 v[1:2], null, s45, v14, v[0:1]
	v_or_b32_e32 v2, 1, v12
	v_or_b32_e32 v13, 2, v12
	v_or_b32_e32 v16, 3, v12
	v_add_nc_u32_e32 v12, 4, v12
	v_add_nc_u32_e32 v17, v0, v15
	v_mul_lo_u32 v18, s8, v2
	v_mul_lo_u32 v1, v1, s19
	;; [unrolled: 1-line block ×4, first 2 shown]
	v_ashrrev_i32_e32 v12, 31, v17
	v_mul_lo_u32 v16, s8, v16
	v_add_nc_u32_e32 v17, v0, v18
	v_mad_u64_u32 v[1:2], null, v14, s18, v[1:2]
	v_add3_u32 v2, v12, v15, v0
	v_xor_b32_e32 v14, s38, v12
	v_ashrrev_i32_e32 v17, 31, v17
	v_add_nc_u32_e32 v20, v0, v13
	v_add_nc_u32_e32 v21, v0, v16
	v_xor_b32_e32 v12, v2, v12
	v_add_nc_u32_e32 v24, v0, v19
	v_add3_u32 v27, v17, v18, v0
	v_ashrrev_i32_e32 v20, 31, v20
	v_ashrrev_i32_e32 v21, 31, v21
	v_mul_hi_u32 v25, v12, v4
	v_ashrrev_i32_e32 v2, 31, v1
	v_xor_b32_e32 v26, s38, v17
	v_xor_b32_e32 v17, v27, v17
	v_ashrrev_i32_e32 v24, 31, v24
	v_add3_u32 v29, v20, v13, v0
	v_add3_u32 v31, v21, v16, v0
	v_lshlrev_b64 v[1:2], 3, v[1:2]
	v_mul_lo_u32 v27, v25, s29
	v_xor_b32_e32 v28, s38, v20
	v_xor_b32_e32 v30, s38, v21
	v_add3_u32 v33, v24, v19, v0
	v_xor_b32_e32 v20, v29, v20
	v_xor_b32_e32 v21, v31, v21
	v_mul_hi_u32 v31, v17, v4
	v_add_co_u32 v1, vcc_lo, s10, v1
	v_sub_nc_u32_e32 v12, v12, v27
	v_xor_b32_e32 v32, s38, v24
	v_xor_b32_e32 v24, v33, v24
	v_mul_hi_u32 v33, v20, v4
	v_add_co_ci_u32_e64 v2, null, s11, v2, vcc_lo
	v_add_nc_u32_e32 v29, 1, v25
	v_subrev_nc_u32_e32 v43, s29, v12
	v_cmp_le_u32_e32 vcc_lo, s29, v12
	v_mul_hi_u32 v34, v21, v4
	v_mul_lo_u32 v27, v31, s29
	v_mul_lo_u32 v37, v33, s29
	v_mul_hi_u32 v35, v24, v4
	v_cndmask_b32_e32 v25, v25, v29, vcc_lo
	v_cndmask_b32_e32 v12, v12, v43, vcc_lo
	global_load_dwordx2 v[1:2], v[1:2], off
	v_add_nc_u32_e32 v36, 1, v31
	v_mul_lo_u32 v39, v34, s29
	v_add_nc_u32_e32 v29, 1, v25
	v_sub_nc_u32_e32 v17, v17, v27
	v_cmp_le_u32_e32 vcc_lo, s29, v12
	v_sub_nc_u32_e32 v20, v20, v37
	v_mul_lo_u32 v41, v35, s29
	v_add_nc_u32_e32 v38, 1, v33
	v_subrev_nc_u32_e32 v27, s29, v17
	v_cndmask_b32_e32 v12, v25, v29, vcc_lo
	v_cmp_le_u32_e32 vcc_lo, s29, v17
	v_sub_nc_u32_e32 v21, v21, v39
	v_cmp_le_u32_e64 s0, s29, v20
	v_add_nc_u32_e32 v40, 1, v34
	v_xor_b32_e32 v12, v12, v14
	v_cndmask_b32_e32 v25, v31, v36, vcc_lo
	v_subrev_nc_u32_e32 v31, s29, v20
	v_cndmask_b32_e32 v17, v17, v27, vcc_lo
	v_cmp_le_u32_e64 s1, s29, v21
	v_cndmask_b32_e64 v29, v33, v38, s0
	v_add_nc_u32_e32 v27, 1, v25
	v_cndmask_b32_e64 v20, v20, v31, s0
	v_cmp_le_u32_e32 vcc_lo, s29, v17
	v_sub_nc_u32_e32 v24, v24, v41
	v_cndmask_b32_e64 v33, v34, v40, s1
	v_subrev_nc_u32_e32 v34, s29, v21
	v_add_nc_u32_e32 v31, 1, v29
	v_sub_nc_u32_e32 v14, v12, v14
	v_cndmask_b32_e32 v12, v25, v27, vcc_lo
	v_cmp_le_u32_e32 vcc_lo, s29, v20
	v_add_nc_u32_e32 v42, 1, v35
	v_cmp_le_u32_e64 s2, s29, v24
	v_subrev_nc_u32_e32 v36, s29, v24
	v_cndmask_b32_e64 v21, v21, v34, s1
	v_cndmask_b32_e32 v17, v29, v31, vcc_lo
	v_add_nc_u32_e32 v34, 1, v33
	v_cndmask_b32_e64 v35, v35, v42, s2
	v_cndmask_b32_e64 v24, v24, v36, s2
	v_cmp_le_u32_e32 vcc_lo, s29, v21
	v_xor_b32_e32 v12, v12, v26
	v_xor_b32_e32 v17, v17, v28
	v_add_nc_u32_e32 v36, 1, v35
	v_cndmask_b32_e32 v20, v33, v34, vcc_lo
	v_cmp_le_u32_e32 vcc_lo, s29, v24
	v_mul_lo_u32 v24, v14, s3
	v_sub_nc_u32_e32 v25, v12, v26
	v_sub_nc_u32_e32 v26, v17, v28
	v_xor_b32_e32 v20, v20, v30
	v_cndmask_b32_e32 v21, v35, v36, vcc_lo
	v_mul_lo_u32 v17, v26, s3
	v_sub_nc_u32_e32 v12, v15, v24
	v_mul_lo_u32 v15, v25, s3
	v_xor_b32_e32 v21, v21, v32
	v_sub_nc_u32_e32 v20, v20, v30
	v_add_nc_u32_e32 v12, v0, v12
	v_sub_nc_u32_e32 v27, v21, v32
	v_sub_nc_u32_e32 v13, v13, v17
	v_sub_nc_u32_e32 v15, v18, v15
	v_mul_lo_u32 v12, v12, s5
	v_mul_lo_u32 v21, v20, s3
	;; [unrolled: 1-line block ×3, first 2 shown]
	v_add_nc_u32_e32 v18, v0, v13
	v_add_nc_u32_e32 v15, v0, v15
	v_mad_u64_u32 v[12:13], null, v14, s4, v[12:13]
	v_mul_lo_u32 v14, v15, s5
	v_mul_lo_u32 v15, v18, s5
	v_sub_nc_u32_e32 v16, v16, v21
	v_sub_nc_u32_e32 v17, v19, v24
	v_mul_hi_u32 v24, v9, v8
	v_ashrrev_i32_e32 v13, 31, v12
	v_add_nc_u32_e32 v16, v0, v16
	v_add_nc_u32_e32 v17, v0, v17
	v_mad_u64_u32 v[18:19], null, v25, s4, v[14:15]
	v_lshlrev_b64 v[12:13], 3, v[12:13]
	v_mul_lo_u32 v16, v16, s5
	v_mul_lo_u32 v17, v17, s5
	;; [unrolled: 1-line block ×3, first 2 shown]
	v_ashrrev_i32_e32 v19, 31, v18
	v_add_co_u32 v12, vcc_lo, s24, v12
	v_mad_u64_u32 v[14:15], null, v26, s4, v[15:16]
	v_mad_u64_u32 v[20:21], null, v20, s4, v[16:17]
	;; [unrolled: 1-line block ×3, first 2 shown]
	v_lshlrev_b64 v[17:18], 3, v[18:19]
	v_add_co_ci_u32_e64 v13, null, s25, v13, vcc_lo
	v_ashrrev_i32_e32 v15, 31, v14
	v_ashrrev_i32_e32 v21, 31, v20
	v_sub_nc_u32_e32 v9, v9, v25
	v_add_co_u32 v17, vcc_lo, s24, v17
	v_add_co_ci_u32_e64 v18, null, s25, v18, vcc_lo
	v_lshlrev_b64 v[14:15], 3, v[14:15]
	global_load_dwordx2 v[12:13], v[12:13], off
	v_lshlrev_b64 v[20:21], 3, v[20:21]
	global_load_dwordx2 v[18:19], v[17:18], off
	v_ashrrev_i32_e32 v17, 31, v16
	v_add_nc_u32_e32 v26, 1, v24
	v_add_co_u32 v14, vcc_lo, s24, v14
	v_add_co_ci_u32_e64 v15, null, s25, v15, vcc_lo
	v_add_co_u32 v20, vcc_lo, s24, v20
	v_add_co_ci_u32_e64 v21, null, s25, v21, vcc_lo
	global_load_dwordx2 v[14:15], v[14:15], off
	v_lshlrev_b64 v[16:17], 3, v[16:17]
	v_subrev_nc_u32_e32 v25, s35, v9
	global_load_dwordx2 v[20:21], v[20:21], off
	v_add_co_u32 v16, vcc_lo, s24, v16
	v_add_co_ci_u32_e64 v17, null, s25, v17, vcc_lo
	v_cmp_le_u32_e32 vcc_lo, s35, v9
	global_load_dwordx2 v[16:17], v[16:17], off
	v_cndmask_b32_e32 v24, v24, v26, vcc_lo
	v_cndmask_b32_e32 v9, v9, v25, vcc_lo
	v_add_nc_u32_e32 v25, 1, v24
	v_cmp_le_u32_e32 vcc_lo, s35, v9
	v_cndmask_b32_e32 v9, v24, v25, vcc_lo
	v_mul_lo_u32 v25, s44, v23
	v_xor_b32_e32 v9, v9, v10
	v_add_nc_u32_e32 v22, v0, v25
	v_sub_nc_u32_e32 v24, v9, v10
	s_waitcnt vmcnt(5)
	v_mad_u64_u32 v[9:10], null, s46, v24, v[0:1]
	v_or_b32_e32 v10, 1, v11
	v_add_nc_u32_e32 v11, 2, v11
	v_mul_lo_u32 v28, s8, v10
	v_mul_lo_u32 v9, v9, s23
	v_mul_lo_u32 v29, s8, v11
	v_ashrrev_i32_e32 v11, 31, v22
	v_add_nc_u32_e32 v22, v0, v28
	v_mad_u64_u32 v[9:10], null, v24, s22, v[9:10]
	v_add3_u32 v10, v11, v25, v0
	v_xor_b32_e32 v23, s40, v11
	v_add_nc_u32_e32 v24, v0, v29
	v_xor_b32_e32 v26, s41, v11
	v_ashrrev_i32_e32 v22, 31, v22
	v_xor_b32_e32 v11, v10, v11
	v_ashrrev_i32_e32 v10, 31, v9
	v_ashrrev_i32_e32 v24, 31, v24
	v_add3_u32 v31, v22, v28, v0
	v_mul_hi_u32 v27, v11, v6
	v_mul_hi_u32 v34, v11, v7
	v_add3_u32 v33, v24, v29, v0
	v_xor_b32_e32 v30, s40, v22
	v_xor_b32_e32 v35, s41, v22
	v_xor_b32_e32 v22, v31, v22
	v_xor_b32_e32 v32, s40, v24
	v_xor_b32_e32 v36, s41, v24
	v_mul_lo_u32 v31, v27, s33
	v_xor_b32_e32 v24, v33, v24
	v_lshlrev_b64 v[9:10], 3, v[9:10]
	v_mul_lo_u32 v37, v34, s34
	v_mul_hi_u32 v39, v22, v6
	v_add_nc_u32_e32 v33, 1, v27
	v_mul_hi_u32 v40, v24, v6
	v_mul_hi_u32 v41, v22, v7
	v_sub_nc_u32_e32 v31, v11, v31
	v_add_co_u32 v9, vcc_lo, s20, v9
	v_add_co_ci_u32_e64 v10, null, s21, v10, vcc_lo
	v_sub_nc_u32_e32 v11, v11, v37
	v_subrev_nc_u32_e32 v50, s33, v31
	v_cmp_le_u32_e32 vcc_lo, s33, v31
	v_mul_lo_u32 v37, v39, s33
	v_mul_lo_u32 v44, v40, s33
	v_add_nc_u32_e32 v38, 1, v34
	v_cmp_le_u32_e64 s0, s34, v11
	v_cndmask_b32_e32 v27, v27, v33, vcc_lo
	v_cndmask_b32_e32 v31, v31, v50, vcc_lo
	v_mul_hi_u32 v42, v24, v7
	v_mul_lo_u32 v46, v41, s34
	v_cndmask_b32_e64 v33, v34, v38, s0
	v_subrev_nc_u32_e32 v34, s34, v11
	v_add_nc_u32_e32 v38, 1, v27
	v_sub_nc_u32_e32 v37, v22, v37
	v_sub_nc_u32_e32 v44, v24, v44
	v_cmp_le_u32_e32 vcc_lo, s33, v31
	v_mul_lo_u32 v48, v42, s34
	v_add_nc_u32_e32 v43, 1, v39
	v_add_nc_u32_e32 v45, 1, v40
	v_cndmask_b32_e64 v11, v11, v34, s0
	v_cndmask_b32_e32 v27, v27, v38, vcc_lo
	v_cmp_le_u32_e32 vcc_lo, s33, v37
	v_subrev_nc_u32_e32 v38, s33, v37
	v_cmp_le_u32_e64 s0, s33, v44
	v_add_nc_u32_e32 v34, 1, v33
	v_sub_nc_u32_e32 v22, v22, v46
	v_cndmask_b32_e32 v31, v39, v43, vcc_lo
	v_cmp_le_u32_e64 s1, s34, v11
	v_cndmask_b32_e64 v39, v40, v45, s0
	v_subrev_nc_u32_e32 v40, s33, v44
	v_cndmask_b32_e32 v37, v37, v38, vcc_lo
	v_sub_nc_u32_e32 v24, v24, v48
	v_add_nc_u32_e32 v47, 1, v41
	v_cndmask_b32_e64 v11, v33, v34, s1
	v_cmp_le_u32_e64 s1, s34, v22
	v_subrev_nc_u32_e32 v34, s34, v22
	v_xor_b32_e32 v27, v27, v23
	v_add_nc_u32_e32 v38, 1, v31
	v_cndmask_b32_e64 v40, v44, v40, s0
	v_cmp_le_u32_e32 vcc_lo, s33, v37
	v_add_nc_u32_e32 v49, 1, v42
	v_cmp_le_u32_e64 s2, s34, v24
	v_cndmask_b32_e64 v33, v41, v47, s1
	v_add_nc_u32_e32 v43, 1, v39
	v_cndmask_b32_e64 v22, v22, v34, s1
	v_sub_nc_u32_e32 v44, v27, v23
	v_cndmask_b32_e32 v23, v31, v38, vcc_lo
	v_cmp_le_u32_e32 vcc_lo, s33, v40
	v_cndmask_b32_e64 v41, v42, v49, s2
	v_subrev_nc_u32_e32 v42, s34, v24
	v_xor_b32_e32 v11, v11, v26
	v_add_nc_u32_e32 v34, 1, v33
	v_cndmask_b32_e32 v27, v39, v43, vcc_lo
	v_cmp_le_u32_e32 vcc_lo, s34, v22
	v_cndmask_b32_e64 v24, v24, v42, s2
	v_sub_nc_u32_e32 v31, v11, v26
	v_add_nc_u32_e32 v42, 1, v41
	v_mul_lo_u32 v26, v44, s26
	v_cndmask_b32_e32 v11, v33, v34, vcc_lo
	v_xor_b32_e32 v33, v23, v30
	v_cmp_le_u32_e32 vcc_lo, s34, v24
	v_mul_lo_u32 v34, v31, s28
	v_xor_b32_e32 v27, v27, v32
	s_waitcnt vmcnt(3)
	v_add_f64 v[22:23], -v[18:19], 1.0
	v_xor_b32_e32 v11, v11, v35
	v_cndmask_b32_e32 v24, v41, v42, vcc_lo
	v_sub_nc_u32_e32 v33, v33, v30
	v_sub_nc_u32_e32 v37, v27, v32
	;; [unrolled: 1-line block ×3, first 2 shown]
	v_xor_b32_e32 v24, v24, v36
	v_sub_nc_u32_e32 v11, v25, v26
	v_mul_lo_u32 v30, v33, s26
	v_mul_lo_u32 v32, v37, s26
	v_sub_nc_u32_e32 v39, v24, v36
	v_sub_nc_u32_e32 v24, v25, v34
	v_add_nc_u32_e32 v11, v0, v11
	v_mul_lo_u32 v34, v38, s28
	v_mul_lo_u32 v35, v39, s28
	v_add_nc_u32_e32 v36, v0, v24
	s_waitcnt vmcnt(2)
	v_fma_f64 v[24:25], -v[14:15], v[14:15], 1.0
	s_waitcnt vmcnt(1)
	v_add_f64 v[14:15], v[20:21], -v[14:15]
	v_sub_nc_u32_e32 v30, v28, v30
	v_mul_f64 v[26:27], v[22:23], v[1:2]
	v_mul_lo_u32 v11, v11, s15
	v_sub_nc_u32_e32 v32, v29, v32
	v_sub_nc_u32_e32 v29, v29, v35
	v_add_nc_u32_e32 v35, v0, v30
	v_sub_nc_u32_e32 v34, v28, v34
	v_mul_lo_u32 v28, v36, s7
	v_add_nc_u32_e32 v32, v0, v32
	v_add_nc_u32_e32 v36, v0, v29
	v_mad_u64_u32 v[29:30], null, v44, s14, v[11:12]
	v_mul_lo_u32 v11, v35, s15
	v_add_nc_u32_e32 v34, v0, v34
	v_add_nc_u32_e32 v0, s31, v0
	v_ashrrev_i32_e32 v30, 31, v29
	v_cmp_le_i32_e32 vcc_lo, s9, v0
	v_mul_f64 v[14:15], v[14:15], v[1:2]
	v_mul_f64 v[1:2], v[18:19], v[1:2]
	v_mul_f64 v[20:21], v[24:25], v[26:27]
	v_mad_u64_u32 v[24:25], null, v31, s6, v[28:29]
	v_mul_lo_u32 v26, v32, s15
	v_mul_lo_u32 v27, v34, s7
	v_mad_u64_u32 v[31:32], null, v33, s14, v[11:12]
	v_add_f64 v[33:34], -v[12:13], 1.0
	v_mul_lo_u32 v28, v36, s7
	v_ashrrev_i32_e32 v25, 31, v24
	s_or_b32 s37, vcc_lo, s37
	v_mad_u64_u32 v[35:36], null, v37, s14, v[26:27]
	v_ashrrev_i32_e32 v32, 31, v31
	v_lshlrev_b64 v[24:25], 3, v[24:25]
	v_mad_u64_u32 v[26:27], null, v38, s6, v[27:28]
	v_mad_u64_u32 v[37:38], null, v39, s6, v[28:29]
	v_mul_f64 v[14:15], v[22:23], v[14:15]
	v_lshlrev_b64 v[28:29], 3, v[29:30]
	s_waitcnt vmcnt(0)
	v_mul_f64 v[16:17], v[16:17], v[20:21]
	v_ashrrev_i32_e32 v36, 31, v35
	v_ashrrev_i32_e32 v27, 31, v26
	;; [unrolled: 1-line block ×3, first 2 shown]
	v_add_co_u32 v22, vcc_lo, s12, v28
	v_add_co_ci_u32_e64 v23, null, s13, v29, vcc_lo
	v_lshlrev_b64 v[28:29], 3, v[31:32]
	v_lshlrev_b64 v[30:31], 3, v[35:36]
	v_add_co_u32 v24, vcc_lo, s16, v24
	v_lshlrev_b64 v[26:27], 3, v[26:27]
	v_add_co_ci_u32_e64 v25, null, s17, v25, vcc_lo
	v_mul_f64 v[14:15], v[18:19], v[14:15]
	v_mul_f64 v[18:19], v[12:13], v[20:21]
	;; [unrolled: 1-line block ×3, first 2 shown]
	v_lshlrev_b64 v[32:33], 3, v[37:38]
	v_mul_f64 v[11:12], v[12:13], v[16:17]
	v_add_co_u32 v16, vcc_lo, s12, v28
	v_add_co_ci_u32_e64 v17, null, s13, v29, vcc_lo
	v_add_co_u32 v28, vcc_lo, s12, v30
	v_add_co_ci_u32_e64 v29, null, s13, v31, vcc_lo
	v_add_co_u32 v26, vcc_lo, s16, v26
	v_add_co_ci_u32_e64 v27, null, s17, v27, vcc_lo
	v_add_co_u32 v30, vcc_lo, s16, v32
	v_add_co_ci_u32_e64 v31, null, s17, v33, vcc_lo
	global_store_dwordx2 v[22:23], v[11:12], off
	global_store_dwordx2 v[16:17], v[14:15], off
	;; [unrolled: 1-line block ×7, first 2 shown]
	s_andn2_b32 exec_lo, exec_lo, s37
	s_cbranch_execnz .LBB49_2
.LBB49_3:
	s_endpgm
	.section	.rodata,"a",@progbits
	.p2align	6, 0x0
	.amdhsa_kernel _ZN2at6native12_GLOBAL__N_16kernel17gru_cell_backwardIddiLi2EEEvNS_4cuda6detail10TensorInfoIT_T1_EES9_S9_S9_S9_S8_S8_
		.amdhsa_group_segment_fixed_size 0
		.amdhsa_private_segment_fixed_size 0
		.amdhsa_kernarg_size 1344
		.amdhsa_user_sgpr_count 6
		.amdhsa_user_sgpr_private_segment_buffer 1
		.amdhsa_user_sgpr_dispatch_ptr 0
		.amdhsa_user_sgpr_queue_ptr 0
		.amdhsa_user_sgpr_kernarg_segment_ptr 1
		.amdhsa_user_sgpr_dispatch_id 0
		.amdhsa_user_sgpr_flat_scratch_init 0
		.amdhsa_user_sgpr_private_segment_size 0
		.amdhsa_wavefront_size32 1
		.amdhsa_uses_dynamic_stack 0
		.amdhsa_system_sgpr_private_segment_wavefront_offset 0
		.amdhsa_system_sgpr_workgroup_id_x 1
		.amdhsa_system_sgpr_workgroup_id_y 0
		.amdhsa_system_sgpr_workgroup_id_z 0
		.amdhsa_system_sgpr_workgroup_info 0
		.amdhsa_system_vgpr_workitem_id 0
		.amdhsa_next_free_vgpr 51
		.amdhsa_next_free_sgpr 47
		.amdhsa_reserve_vcc 1
		.amdhsa_reserve_flat_scratch 0
		.amdhsa_float_round_mode_32 0
		.amdhsa_float_round_mode_16_64 0
		.amdhsa_float_denorm_mode_32 3
		.amdhsa_float_denorm_mode_16_64 3
		.amdhsa_dx10_clamp 1
		.amdhsa_ieee_mode 1
		.amdhsa_fp16_overflow 0
		.amdhsa_workgroup_processor_mode 1
		.amdhsa_memory_ordered 1
		.amdhsa_forward_progress 1
		.amdhsa_shared_vgpr_count 0
		.amdhsa_exception_fp_ieee_invalid_op 0
		.amdhsa_exception_fp_denorm_src 0
		.amdhsa_exception_fp_ieee_div_zero 0
		.amdhsa_exception_fp_ieee_overflow 0
		.amdhsa_exception_fp_ieee_underflow 0
		.amdhsa_exception_fp_ieee_inexact 0
		.amdhsa_exception_int_div_zero 0
	.end_amdhsa_kernel
	.section	.text._ZN2at6native12_GLOBAL__N_16kernel17gru_cell_backwardIddiLi2EEEvNS_4cuda6detail10TensorInfoIT_T1_EES9_S9_S9_S9_S8_S8_,"axG",@progbits,_ZN2at6native12_GLOBAL__N_16kernel17gru_cell_backwardIddiLi2EEEvNS_4cuda6detail10TensorInfoIT_T1_EES9_S9_S9_S9_S8_S8_,comdat
.Lfunc_end49:
	.size	_ZN2at6native12_GLOBAL__N_16kernel17gru_cell_backwardIddiLi2EEEvNS_4cuda6detail10TensorInfoIT_T1_EES9_S9_S9_S9_S8_S8_, .Lfunc_end49-_ZN2at6native12_GLOBAL__N_16kernel17gru_cell_backwardIddiLi2EEEvNS_4cuda6detail10TensorInfoIT_T1_EES9_S9_S9_S9_S8_S8_
                                        ; -- End function
	.set _ZN2at6native12_GLOBAL__N_16kernel17gru_cell_backwardIddiLi2EEEvNS_4cuda6detail10TensorInfoIT_T1_EES9_S9_S9_S9_S8_S8_.num_vgpr, 51
	.set _ZN2at6native12_GLOBAL__N_16kernel17gru_cell_backwardIddiLi2EEEvNS_4cuda6detail10TensorInfoIT_T1_EES9_S9_S9_S9_S8_S8_.num_agpr, 0
	.set _ZN2at6native12_GLOBAL__N_16kernel17gru_cell_backwardIddiLi2EEEvNS_4cuda6detail10TensorInfoIT_T1_EES9_S9_S9_S9_S8_S8_.numbered_sgpr, 47
	.set _ZN2at6native12_GLOBAL__N_16kernel17gru_cell_backwardIddiLi2EEEvNS_4cuda6detail10TensorInfoIT_T1_EES9_S9_S9_S9_S8_S8_.num_named_barrier, 0
	.set _ZN2at6native12_GLOBAL__N_16kernel17gru_cell_backwardIddiLi2EEEvNS_4cuda6detail10TensorInfoIT_T1_EES9_S9_S9_S9_S8_S8_.private_seg_size, 0
	.set _ZN2at6native12_GLOBAL__N_16kernel17gru_cell_backwardIddiLi2EEEvNS_4cuda6detail10TensorInfoIT_T1_EES9_S9_S9_S9_S8_S8_.uses_vcc, 1
	.set _ZN2at6native12_GLOBAL__N_16kernel17gru_cell_backwardIddiLi2EEEvNS_4cuda6detail10TensorInfoIT_T1_EES9_S9_S9_S9_S8_S8_.uses_flat_scratch, 0
	.set _ZN2at6native12_GLOBAL__N_16kernel17gru_cell_backwardIddiLi2EEEvNS_4cuda6detail10TensorInfoIT_T1_EES9_S9_S9_S9_S8_S8_.has_dyn_sized_stack, 0
	.set _ZN2at6native12_GLOBAL__N_16kernel17gru_cell_backwardIddiLi2EEEvNS_4cuda6detail10TensorInfoIT_T1_EES9_S9_S9_S9_S8_S8_.has_recursion, 0
	.set _ZN2at6native12_GLOBAL__N_16kernel17gru_cell_backwardIddiLi2EEEvNS_4cuda6detail10TensorInfoIT_T1_EES9_S9_S9_S9_S8_S8_.has_indirect_call, 0
	.section	.AMDGPU.csdata,"",@progbits
; Kernel info:
; codeLenInByte = 2856
; TotalNumSgprs: 49
; NumVgprs: 51
; ScratchSize: 0
; MemoryBound: 0
; FloatMode: 240
; IeeeMode: 1
; LDSByteSize: 0 bytes/workgroup (compile time only)
; SGPRBlocks: 0
; VGPRBlocks: 6
; NumSGPRsForWavesPerEU: 49
; NumVGPRsForWavesPerEU: 51
; Occupancy: 16
; WaveLimiterHint : 1
; COMPUTE_PGM_RSRC2:SCRATCH_EN: 0
; COMPUTE_PGM_RSRC2:USER_SGPR: 6
; COMPUTE_PGM_RSRC2:TRAP_HANDLER: 0
; COMPUTE_PGM_RSRC2:TGID_X_EN: 1
; COMPUTE_PGM_RSRC2:TGID_Y_EN: 0
; COMPUTE_PGM_RSRC2:TGID_Z_EN: 0
; COMPUTE_PGM_RSRC2:TIDIG_COMP_CNT: 0
	.section	.text._ZN2at6native12_GLOBAL__N_16kernel17gru_cell_backwardIddlLi1EEEvNS_4cuda6detail10TensorInfoIT_T1_EES9_S9_S9_S9_S8_S8_,"axG",@progbits,_ZN2at6native12_GLOBAL__N_16kernel17gru_cell_backwardIddlLi1EEEvNS_4cuda6detail10TensorInfoIT_T1_EES9_S9_S9_S9_S8_S8_,comdat
	.globl	_ZN2at6native12_GLOBAL__N_16kernel17gru_cell_backwardIddlLi1EEEvNS_4cuda6detail10TensorInfoIT_T1_EES9_S9_S9_S9_S8_S8_ ; -- Begin function _ZN2at6native12_GLOBAL__N_16kernel17gru_cell_backwardIddlLi1EEEvNS_4cuda6detail10TensorInfoIT_T1_EES9_S9_S9_S9_S8_S8_
	.p2align	8
	.type	_ZN2at6native12_GLOBAL__N_16kernel17gru_cell_backwardIddlLi1EEEvNS_4cuda6detail10TensorInfoIT_T1_EES9_S9_S9_S9_S8_S8_,@function
_ZN2at6native12_GLOBAL__N_16kernel17gru_cell_backwardIddlLi1EEEvNS_4cuda6detail10TensorInfoIT_T1_EES9_S9_S9_S9_S8_S8_: ; @_ZN2at6native12_GLOBAL__N_16kernel17gru_cell_backwardIddlLi1EEEvNS_4cuda6detail10TensorInfoIT_T1_EES9_S9_S9_S9_S8_S8_
; %bb.0:
	s_clause 0x1
	s_load_dword s2, s[4:5], 0x83c
	s_load_dwordx4 s[8:11], s[4:5], 0x820
	v_mov_b32_e32 v1, 0
	s_add_u32 s0, s4, 0x830
	s_addc_u32 s1, s5, 0
	s_waitcnt lgkmcnt(0)
	s_and_b32 s22, s2, 0xffff
	s_mov_b32 s2, exec_lo
	v_mad_u64_u32 v[3:4], null, s6, s22, v[0:1]
	v_mov_b32_e32 v4, v1
	v_cmpx_gt_i64_e64 s[10:11], v[3:4]
	s_cbranch_execz .LBB50_7
; %bb.1:
	s_clause 0x1
	s_load_dwordx2 s[24:25], s[4:5], 0x410
	s_load_dwordx2 s[26:27], s[4:5], 0x5b0
	v_cvt_f32_u32_e32 v0, s8
	s_load_dword s0, s[0:1], 0x0
	s_clause 0x7
	s_load_dwordx2 s[28:29], s[4:5], 0x340
	s_load_dwordx2 s[34:35], s[4:5], 0x4e0
	;; [unrolled: 1-line block ×8, first 2 shown]
	s_mov_b32 s1, 0
	s_lshl_b64 s[18:19], s[8:9], 2
	v_rcp_iflag_f32_e32 v0, v0
	s_lshl_b64 s[20:21], s[8:9], 1
	v_mul_f32_e32 v0, 0x4f7ffffe, v0
	s_waitcnt lgkmcnt(0)
	v_mul_lo_u32 v2, 0, s24
	v_mul_lo_u32 v9, v3, s25
	v_mad_u64_u32 v[5:6], null, v3, s24, 0
	v_mul_lo_u32 v10, 0, s26
	v_mul_lo_u32 v11, v3, s27
	v_mad_u64_u32 v[7:8], null, v3, s26, 0
	v_cvt_u32_f32_e32 v0, v0
	s_mul_i32 s30, s0, s22
	v_add3_u32 v6, v6, v9, v2
	s_mul_i32 s0, s30, s25
	s_sub_i32 s25, 0, s8
	s_mul_hi_u32 s22, s30, s24
	v_mul_lo_u32 v2, s25, v0
	v_add3_u32 v8, v8, v11, v10
	v_lshlrev_b64 v[5:6], 3, v[5:6]
	s_add_i32 s23, s22, s0
	s_mul_i32 s22, s30, s24
	s_mul_i32 s0, s30, s27
	v_lshlrev_b64 v[7:8], 3, v[7:8]
	s_mul_hi_u32 s24, s30, s26
	v_mul_hi_u32 v2, v0, v2
	v_add_co_u32 v5, vcc_lo, s28, v5
	v_add_co_ci_u32_e64 v6, null, s29, v6, vcc_lo
	v_add_co_u32 v7, vcc_lo, s34, v7
	v_add_co_ci_u32_e64 v8, null, s35, v8, vcc_lo
	v_add_nc_u32_e32 v0, v0, v2
	s_add_i32 s25, s24, s0
	s_mul_i32 s24, s30, s26
	s_lshl_b64 s[22:23], s[22:23], 3
	s_lshl_b64 s[24:25], s[24:25], 3
	s_ashr_i32 s26, s9, 31
	s_branch .LBB50_3
.LBB50_2:                               ;   in Loop: Header=BB50_3 Depth=1
	s_or_b32 exec_lo, exec_lo, s0
	v_lshlrev_b64 v[11:12], 2, v[9:10]
	v_mad_u64_u32 v[19:20], null, s18, v9, v[3:4]
	v_mul_lo_u32 v25, s19, v9
	v_mad_u64_u32 v[29:30], null, s20, v9, v[3:4]
	v_or_b32_e32 v2, 1, v11
	v_mul_lo_u32 v21, s8, v12
	v_lshlrev_b64 v[31:32], 1, v[9:10]
	v_mul_lo_u32 v33, s21, v9
	v_mul_lo_u32 v15, s9, v2
	v_mad_u64_u32 v[13:14], null, s8, v2, v[3:4]
	v_or_b32_e32 v34, 1, v31
	v_mul_lo_u32 v35, s8, v32
	v_mul_lo_u32 v37, v29, s7
	;; [unrolled: 1-line block ×3, first 2 shown]
	v_add3_u32 v2, v15, v14, v21
	v_or_b32_e32 v15, 2, v11
	v_mul_lo_u32 v17, v13, s5
	v_mad_u64_u32 v[13:14], null, v13, s4, 0
	v_mul_lo_u32 v2, v2, s4
	v_mul_lo_u32 v18, s9, v15
	v_mad_u64_u32 v[15:16], null, s8, v15, v[3:4]
	v_add3_u32 v14, v14, v17, v2
	v_or_b32_e32 v2, 3, v11
	v_add3_u32 v17, v18, v16, v21
	v_mul_lo_u32 v22, v15, s5
	v_mad_u64_u32 v[15:16], null, v15, s4, 0
	v_mul_lo_u32 v24, s9, v2
	v_mul_lo_u32 v23, v17, s4
	v_mad_u64_u32 v[17:18], null, s8, v2, v[3:4]
	v_lshlrev_b64 v[13:14], 3, v[13:14]
	v_add3_u32 v16, v16, v22, v23
	v_add3_u32 v18, v24, v18, v21
	v_add_co_u32 v13, vcc_lo, s16, v13
	v_add_co_ci_u32_e64 v14, null, s17, v14, vcc_lo
	v_add_co_u32 v2, vcc_lo, v11, 4
	v_add_co_ci_u32_e64 v22, null, 0, v12, vcc_lo
	v_lshlrev_b64 v[11:12], 3, v[15:16]
	v_mul_lo_u32 v21, v17, s5
	v_mad_u64_u32 v[15:16], null, v17, s4, 0
	v_mul_lo_u32 v23, v18, s4
	global_load_dwordx2 v[13:14], v[13:14], off
	v_add_co_u32 v11, vcc_lo, s16, v11
	v_add_co_ci_u32_e64 v12, null, s17, v12, vcc_lo
	global_load_dwordx2 v[17:18], v[5:6], off
	v_mul_lo_u32 v24, s18, v10
	v_add3_u32 v16, v16, v21, v23
	v_mul_lo_u32 v26, s8, v22
	v_mul_lo_u32 v27, s9, v2
	v_mad_u64_u32 v[21:22], null, s8, v2, v[3:4]
	v_lshlrev_b64 v[15:16], 3, v[15:16]
	v_mul_lo_u32 v23, v19, s5
	v_add3_u32 v2, v25, v20, v24
	v_mad_u64_u32 v[19:20], null, v19, s4, 0
	v_add_co_u32 v15, vcc_lo, s16, v15
	v_add_co_ci_u32_e64 v16, null, s17, v16, vcc_lo
	v_add3_u32 v24, v27, v22, v26
	v_mul_lo_u32 v2, v2, s4
	v_mul_lo_u32 v25, v21, s5
	s_clause 0x1
	global_load_dwordx2 v[15:16], v[15:16], off
	global_load_dwordx2 v[11:12], v[11:12], off
	v_mad_u64_u32 v[21:22], null, v21, s4, 0
	v_mul_lo_u32 v24, v24, s4
	v_add3_u32 v20, v20, v23, v2
	v_mul_lo_u32 v2, s20, v10
	v_lshlrev_b64 v[19:20], 3, v[19:20]
	v_add3_u32 v22, v22, v25, v24
	v_add3_u32 v2, v33, v30, v2
	v_mul_lo_u32 v33, s9, v34
	v_lshlrev_b64 v[21:22], 3, v[21:22]
	v_add_co_u32 v19, vcc_lo, s16, v19
	v_add_co_ci_u32_e64 v20, null, s17, v20, vcc_lo
	v_mul_lo_u32 v40, v2, s6
	v_add_co_u32 v21, vcc_lo, s16, v21
	v_add_co_ci_u32_e64 v22, null, s17, v22, vcc_lo
	s_clause 0x1
	global_load_dwordx2 v[19:20], v[19:20], off
	global_load_dwordx2 v[21:22], v[21:22], off
	v_add_co_u32 v5, vcc_lo, v5, s22
	v_add_co_ci_u32_e64 v6, null, s23, v6, vcc_lo
	v_add_co_u32 v36, vcc_lo, v31, 2
	v_add_co_ci_u32_e64 v31, null, 0, v32, vcc_lo
	v_mul_lo_u32 v2, v2, s14
	v_mul_lo_u32 v39, s8, v31
	s_waitcnt vmcnt(5)
	v_add_f64 v[23:24], -v[13:14], 1.0
	s_waitcnt vmcnt(4)
	v_mul_f64 v[27:28], v[23:24], v[17:18]
	s_waitcnt vmcnt(2)
	v_fma_f64 v[25:26], -v[11:12], v[11:12], 1.0
	v_add_f64 v[9:10], v[15:16], -v[11:12]
	v_mad_u64_u32 v[15:16], null, v29, s6, 0
	v_add3_u32 v16, v16, v37, v40
	v_lshlrev_b64 v[15:16], 3, v[15:16]
	v_add_co_u32 v15, s0, s2, v15
	v_mul_f64 v[11:12], v[25:26], v[27:28]
	v_mul_f64 v[9:10], v[9:10], v[17:18]
	v_mad_u64_u32 v[27:28], null, s8, v34, v[3:4]
	s_waitcnt vmcnt(1)
	v_add_f64 v[31:32], -v[19:20], 1.0
	v_mad_u64_u32 v[25:26], null, v29, s14, 0
	v_mad_u64_u32 v[29:30], null, s8, v36, v[3:4]
	v_mul_lo_u32 v36, s9, v36
	v_add3_u32 v41, v33, v28, v35
	v_mul_lo_u32 v42, v27, s7
	v_mad_u64_u32 v[33:34], null, v27, s6, 0
	v_add3_u32 v26, v26, v38, v2
	v_mul_lo_u32 v2, v41, s6
	v_mul_lo_u32 v43, v29, s7
	v_add3_u32 v39, v36, v30, v39
	v_mad_u64_u32 v[35:36], null, v29, s6, 0
	v_mul_lo_u32 v44, v27, s15
	v_mad_u64_u32 v[27:28], null, v27, s14, 0
	s_waitcnt vmcnt(0)
	v_mul_f64 v[21:22], v[21:22], v[11:12]
	v_mul_f64 v[9:10], v[23:24], v[9:10]
	v_mul_lo_u32 v45, v29, s15
	v_mad_u64_u32 v[29:30], null, v29, s14, 0
	v_mul_lo_u32 v37, v39, s14
	v_add3_u32 v34, v34, v42, v2
	v_lshlrev_b64 v[23:24], 3, v[25:26]
	v_add_co_ci_u32_e64 v16, null, s3, v16, s0
	v_add_co_u32 v3, vcc_lo, v3, s30
	v_lshlrev_b64 v[25:26], 3, v[33:34]
	v_add3_u32 v30, v30, v45, v37
	v_add_co_u32 v23, s0, s12, v23
	v_add_co_ci_u32_e64 v24, null, s13, v24, s0
	v_lshlrev_b64 v[29:30], 3, v[29:30]
	v_add_co_ci_u32_e64 v4, null, 0, v4, vcc_lo
	v_mul_f64 v[21:22], v[31:32], v[21:22]
	v_mul_lo_u32 v31, v39, s6
	v_mul_lo_u32 v32, v41, s14
	v_mul_f64 v[9:10], v[13:14], v[9:10]
	v_mul_f64 v[13:14], v[13:14], v[17:18]
	;; [unrolled: 1-line block ×3, first 2 shown]
	v_cmp_le_i64_e32 vcc_lo, s[10:11], v[3:4]
	v_add3_u32 v36, v36, v43, v31
	v_add3_u32 v28, v28, v44, v32
	s_or_b32 s1, vcc_lo, s1
	v_lshlrev_b64 v[31:32], 3, v[35:36]
	v_lshlrev_b64 v[27:28], 3, v[27:28]
	v_mul_f64 v[21:22], v[19:20], v[21:22]
	v_add_co_u32 v19, s0, s2, v25
	v_add_co_ci_u32_e64 v20, null, s3, v26, s0
	v_add_co_u32 v25, s0, s2, v31
	v_add_co_ci_u32_e64 v26, null, s3, v32, s0
	;; [unrolled: 2-line block ×4, first 2 shown]
	global_store_dwordx2 v[15:16], v[21:22], off
	global_store_dwordx2 v[19:20], v[9:10], off
	;; [unrolled: 1-line block ×7, first 2 shown]
	v_add_co_u32 v7, s0, v7, s24
	v_add_co_ci_u32_e64 v8, null, s25, v8, s0
	s_andn2_b32 exec_lo, exec_lo, s1
	s_cbranch_execz .LBB50_7
.LBB50_3:                               ; =>This Inner Loop Header: Depth=1
	v_or_b32_e32 v2, s9, v4
                                        ; implicit-def: $vgpr9_vgpr10
	s_mov_b32 s0, exec_lo
	v_cmpx_ne_u64_e32 0, v[1:2]
	s_xor_b32 s31, exec_lo, s0
	s_cbranch_execz .LBB50_5
; %bb.4:                                ;   in Loop: Header=BB50_3 Depth=1
	s_add_u32 s28, s8, s26
	s_mov_b32 s27, s26
	s_addc_u32 s29, s9, s26
	v_ashrrev_i32_e32 v15, 31, v4
	s_xor_b64 s[28:29], s[28:29], s[26:27]
	v_cvt_f32_u32_e32 v2, s28
	v_cvt_f32_u32_e32 v9, s29
	s_sub_u32 s0, 0, s28
	s_subb_u32 s34, 0, s29
	v_add_co_u32 v10, vcc_lo, v3, v15
	v_fmac_f32_e32 v2, 0x4f800000, v9
	v_xor_b32_e32 v16, v10, v15
	v_rcp_f32_e32 v2, v2
	v_mul_f32_e32 v2, 0x5f7ffffc, v2
	v_mul_f32_e32 v9, 0x2f800000, v2
	v_trunc_f32_e32 v9, v9
	v_fmac_f32_e32 v2, 0xcf800000, v9
	v_cvt_u32_f32_e32 v9, v9
	v_cvt_u32_f32_e32 v2, v2
	v_readfirstlane_b32 s27, v9
	v_readfirstlane_b32 s33, v2
	s_mul_i32 s35, s0, s27
	v_add_co_ci_u32_e64 v2, null, v4, v15, vcc_lo
	s_mul_hi_u32 s37, s0, s33
	s_mul_i32 s36, s34, s33
	s_add_i32 s35, s37, s35
	s_mul_i32 s38, s0, s33
	s_add_i32 s35, s35, s36
	s_mul_hi_u32 s37, s33, s38
	s_mul_i32 s40, s33, s35
	s_mul_hi_u32 s39, s27, s38
	s_mul_i32 s36, s27, s38
	s_mul_hi_u32 s38, s33, s35
	s_add_u32 s37, s37, s40
	s_addc_u32 s38, 0, s38
	s_mul_hi_u32 s41, s27, s35
	s_add_u32 s36, s37, s36
	s_mul_i32 s35, s27, s35
	s_addc_u32 s36, s38, s39
	s_addc_u32 s37, s41, 0
	s_add_u32 s35, s36, s35
	s_addc_u32 s36, 0, s37
	s_add_u32 s33, s33, s35
	s_cselect_b32 s35, -1, 0
	s_mul_hi_u32 s37, s0, s33
	s_cmp_lg_u32 s35, 0
	s_mul_i32 s35, s0, s33
	s_addc_u32 s27, s27, s36
	s_mul_i32 s34, s34, s33
	s_mul_i32 s0, s0, s27
	s_mul_hi_u32 s36, s33, s35
	s_add_i32 s0, s37, s0
	s_mul_hi_u32 s37, s27, s35
	s_add_i32 s0, s0, s34
	s_mul_i32 s34, s27, s35
	s_mul_i32 s39, s33, s0
	s_mul_hi_u32 s38, s33, s0
	s_add_u32 s36, s36, s39
	s_addc_u32 s38, 0, s38
	s_mul_hi_u32 s35, s27, s0
	s_add_u32 s34, s36, s34
	s_mul_i32 s0, s27, s0
	s_addc_u32 s34, s38, s37
	s_addc_u32 s35, s35, 0
	s_add_u32 s0, s34, s0
	s_addc_u32 s34, 0, s35
	s_add_u32 s0, s33, s0
	s_cselect_b32 s33, -1, 0
	v_xor_b32_e32 v2, v2, v15
	s_cmp_lg_u32 s33, 0
	v_mul_hi_u32 v17, v16, s0
	s_addc_u32 s27, s27, s34
	v_mad_u64_u32 v[9:10], null, v16, s27, 0
	v_mad_u64_u32 v[11:12], null, v2, s0, 0
	;; [unrolled: 1-line block ×3, first 2 shown]
	v_add_co_u32 v9, vcc_lo, v17, v9
	v_add_co_ci_u32_e64 v10, null, 0, v10, vcc_lo
	v_add_co_u32 v9, vcc_lo, v9, v11
	v_add_co_ci_u32_e32 v9, vcc_lo, v10, v12, vcc_lo
	v_add_co_ci_u32_e32 v10, vcc_lo, 0, v14, vcc_lo
	v_add_co_u32 v11, vcc_lo, v9, v13
	v_add_co_ci_u32_e64 v12, null, 0, v10, vcc_lo
	v_mul_lo_u32 v13, s29, v11
	v_mad_u64_u32 v[9:10], null, s28, v11, 0
	v_mul_lo_u32 v14, s28, v12
	v_sub_co_u32 v9, vcc_lo, v16, v9
	v_add3_u32 v10, v10, v14, v13
	v_add_co_u32 v14, s0, v11, 2
	v_add_co_ci_u32_e64 v16, null, 0, v12, s0
	v_sub_nc_u32_e32 v13, v2, v10
	v_sub_co_u32 v17, s0, v9, s28
	v_sub_co_ci_u32_e64 v2, null, v2, v10, vcc_lo
	v_subrev_co_ci_u32_e64 v13, null, s29, v13, vcc_lo
	v_cmp_le_u32_e32 vcc_lo, s28, v17
	v_subrev_co_ci_u32_e64 v13, null, 0, v13, s0
	v_cndmask_b32_e64 v10, 0, -1, vcc_lo
	v_cmp_le_u32_e32 vcc_lo, s29, v13
	v_cndmask_b32_e64 v17, 0, -1, vcc_lo
	v_cmp_le_u32_e32 vcc_lo, s28, v9
	;; [unrolled: 2-line block ×3, first 2 shown]
	v_cndmask_b32_e64 v18, 0, -1, vcc_lo
	v_cmp_eq_u32_e32 vcc_lo, s29, v13
	v_cndmask_b32_e32 v10, v17, v10, vcc_lo
	v_add_co_u32 v13, vcc_lo, v11, 1
	v_add_co_ci_u32_e64 v17, null, 0, v12, vcc_lo
	v_cmp_eq_u32_e32 vcc_lo, s29, v2
	v_cndmask_b32_e32 v2, v18, v9, vcc_lo
	v_cmp_ne_u32_e32 vcc_lo, 0, v10
	v_xor_b32_e32 v10, s26, v15
	v_cmp_ne_u32_e64 s0, 0, v2
	v_cndmask_b32_e32 v2, v13, v14, vcc_lo
	v_cndmask_b32_e32 v9, v17, v16, vcc_lo
	v_cndmask_b32_e64 v2, v11, v2, s0
	v_cndmask_b32_e64 v9, v12, v9, s0
	v_xor_b32_e32 v2, v2, v10
	v_xor_b32_e32 v11, v9, v10
	v_sub_co_u32 v9, vcc_lo, v2, v10
	v_sub_co_ci_u32_e64 v10, null, v11, v10, vcc_lo
.LBB50_5:                               ;   in Loop: Header=BB50_3 Depth=1
	s_andn2_saveexec_b32 s0, s31
	s_cbranch_execz .LBB50_2
; %bb.6:                                ;   in Loop: Header=BB50_3 Depth=1
	v_mul_hi_u32 v2, v3, v0
	v_mul_lo_u32 v9, v2, s8
	v_add_nc_u32_e32 v10, 1, v2
	v_sub_nc_u32_e32 v9, v3, v9
	v_subrev_nc_u32_e32 v11, s8, v9
	v_cmp_le_u32_e32 vcc_lo, s8, v9
	v_cndmask_b32_e32 v9, v9, v11, vcc_lo
	v_cndmask_b32_e32 v2, v2, v10, vcc_lo
	v_cmp_le_u32_e32 vcc_lo, s8, v9
	v_add_nc_u32_e32 v10, 1, v2
	v_cndmask_b32_e32 v9, v2, v10, vcc_lo
	v_mov_b32_e32 v10, v1
	s_branch .LBB50_2
.LBB50_7:
	s_endpgm
	.section	.rodata,"a",@progbits
	.p2align	6, 0x0
	.amdhsa_kernel _ZN2at6native12_GLOBAL__N_16kernel17gru_cell_backwardIddlLi1EEEvNS_4cuda6detail10TensorInfoIT_T1_EES9_S9_S9_S9_S8_S8_
		.amdhsa_group_segment_fixed_size 0
		.amdhsa_private_segment_fixed_size 0
		.amdhsa_kernarg_size 2352
		.amdhsa_user_sgpr_count 6
		.amdhsa_user_sgpr_private_segment_buffer 1
		.amdhsa_user_sgpr_dispatch_ptr 0
		.amdhsa_user_sgpr_queue_ptr 0
		.amdhsa_user_sgpr_kernarg_segment_ptr 1
		.amdhsa_user_sgpr_dispatch_id 0
		.amdhsa_user_sgpr_flat_scratch_init 0
		.amdhsa_user_sgpr_private_segment_size 0
		.amdhsa_wavefront_size32 1
		.amdhsa_uses_dynamic_stack 0
		.amdhsa_system_sgpr_private_segment_wavefront_offset 0
		.amdhsa_system_sgpr_workgroup_id_x 1
		.amdhsa_system_sgpr_workgroup_id_y 0
		.amdhsa_system_sgpr_workgroup_id_z 0
		.amdhsa_system_sgpr_workgroup_info 0
		.amdhsa_system_vgpr_workitem_id 0
		.amdhsa_next_free_vgpr 46
		.amdhsa_next_free_sgpr 42
		.amdhsa_reserve_vcc 1
		.amdhsa_reserve_flat_scratch 0
		.amdhsa_float_round_mode_32 0
		.amdhsa_float_round_mode_16_64 0
		.amdhsa_float_denorm_mode_32 3
		.amdhsa_float_denorm_mode_16_64 3
		.amdhsa_dx10_clamp 1
		.amdhsa_ieee_mode 1
		.amdhsa_fp16_overflow 0
		.amdhsa_workgroup_processor_mode 1
		.amdhsa_memory_ordered 1
		.amdhsa_forward_progress 1
		.amdhsa_shared_vgpr_count 0
		.amdhsa_exception_fp_ieee_invalid_op 0
		.amdhsa_exception_fp_denorm_src 0
		.amdhsa_exception_fp_ieee_div_zero 0
		.amdhsa_exception_fp_ieee_overflow 0
		.amdhsa_exception_fp_ieee_underflow 0
		.amdhsa_exception_fp_ieee_inexact 0
		.amdhsa_exception_int_div_zero 0
	.end_amdhsa_kernel
	.section	.text._ZN2at6native12_GLOBAL__N_16kernel17gru_cell_backwardIddlLi1EEEvNS_4cuda6detail10TensorInfoIT_T1_EES9_S9_S9_S9_S8_S8_,"axG",@progbits,_ZN2at6native12_GLOBAL__N_16kernel17gru_cell_backwardIddlLi1EEEvNS_4cuda6detail10TensorInfoIT_T1_EES9_S9_S9_S9_S8_S8_,comdat
.Lfunc_end50:
	.size	_ZN2at6native12_GLOBAL__N_16kernel17gru_cell_backwardIddlLi1EEEvNS_4cuda6detail10TensorInfoIT_T1_EES9_S9_S9_S9_S8_S8_, .Lfunc_end50-_ZN2at6native12_GLOBAL__N_16kernel17gru_cell_backwardIddlLi1EEEvNS_4cuda6detail10TensorInfoIT_T1_EES9_S9_S9_S9_S8_S8_
                                        ; -- End function
	.set _ZN2at6native12_GLOBAL__N_16kernel17gru_cell_backwardIddlLi1EEEvNS_4cuda6detail10TensorInfoIT_T1_EES9_S9_S9_S9_S8_S8_.num_vgpr, 46
	.set _ZN2at6native12_GLOBAL__N_16kernel17gru_cell_backwardIddlLi1EEEvNS_4cuda6detail10TensorInfoIT_T1_EES9_S9_S9_S9_S8_S8_.num_agpr, 0
	.set _ZN2at6native12_GLOBAL__N_16kernel17gru_cell_backwardIddlLi1EEEvNS_4cuda6detail10TensorInfoIT_T1_EES9_S9_S9_S9_S8_S8_.numbered_sgpr, 42
	.set _ZN2at6native12_GLOBAL__N_16kernel17gru_cell_backwardIddlLi1EEEvNS_4cuda6detail10TensorInfoIT_T1_EES9_S9_S9_S9_S8_S8_.num_named_barrier, 0
	.set _ZN2at6native12_GLOBAL__N_16kernel17gru_cell_backwardIddlLi1EEEvNS_4cuda6detail10TensorInfoIT_T1_EES9_S9_S9_S9_S8_S8_.private_seg_size, 0
	.set _ZN2at6native12_GLOBAL__N_16kernel17gru_cell_backwardIddlLi1EEEvNS_4cuda6detail10TensorInfoIT_T1_EES9_S9_S9_S9_S8_S8_.uses_vcc, 1
	.set _ZN2at6native12_GLOBAL__N_16kernel17gru_cell_backwardIddlLi1EEEvNS_4cuda6detail10TensorInfoIT_T1_EES9_S9_S9_S9_S8_S8_.uses_flat_scratch, 0
	.set _ZN2at6native12_GLOBAL__N_16kernel17gru_cell_backwardIddlLi1EEEvNS_4cuda6detail10TensorInfoIT_T1_EES9_S9_S9_S9_S8_S8_.has_dyn_sized_stack, 0
	.set _ZN2at6native12_GLOBAL__N_16kernel17gru_cell_backwardIddlLi1EEEvNS_4cuda6detail10TensorInfoIT_T1_EES9_S9_S9_S9_S8_S8_.has_recursion, 0
	.set _ZN2at6native12_GLOBAL__N_16kernel17gru_cell_backwardIddlLi1EEEvNS_4cuda6detail10TensorInfoIT_T1_EES9_S9_S9_S9_S8_S8_.has_indirect_call, 0
	.section	.AMDGPU.csdata,"",@progbits
; Kernel info:
; codeLenInByte = 2344
; TotalNumSgprs: 44
; NumVgprs: 46
; ScratchSize: 0
; MemoryBound: 0
; FloatMode: 240
; IeeeMode: 1
; LDSByteSize: 0 bytes/workgroup (compile time only)
; SGPRBlocks: 0
; VGPRBlocks: 5
; NumSGPRsForWavesPerEU: 44
; NumVGPRsForWavesPerEU: 46
; Occupancy: 16
; WaveLimiterHint : 1
; COMPUTE_PGM_RSRC2:SCRATCH_EN: 0
; COMPUTE_PGM_RSRC2:USER_SGPR: 6
; COMPUTE_PGM_RSRC2:TRAP_HANDLER: 0
; COMPUTE_PGM_RSRC2:TGID_X_EN: 1
; COMPUTE_PGM_RSRC2:TGID_Y_EN: 0
; COMPUTE_PGM_RSRC2:TGID_Z_EN: 0
; COMPUTE_PGM_RSRC2:TIDIG_COMP_CNT: 0
	.section	.text._ZN2at6native12_GLOBAL__N_16kernel17gru_cell_backwardIddlLi2EEEvNS_4cuda6detail10TensorInfoIT_T1_EES9_S9_S9_S9_S8_S8_,"axG",@progbits,_ZN2at6native12_GLOBAL__N_16kernel17gru_cell_backwardIddlLi2EEEvNS_4cuda6detail10TensorInfoIT_T1_EES9_S9_S9_S9_S8_S8_,comdat
	.globl	_ZN2at6native12_GLOBAL__N_16kernel17gru_cell_backwardIddlLi2EEEvNS_4cuda6detail10TensorInfoIT_T1_EES9_S9_S9_S9_S8_S8_ ; -- Begin function _ZN2at6native12_GLOBAL__N_16kernel17gru_cell_backwardIddlLi2EEEvNS_4cuda6detail10TensorInfoIT_T1_EES9_S9_S9_S9_S8_S8_
	.p2align	8
	.type	_ZN2at6native12_GLOBAL__N_16kernel17gru_cell_backwardIddlLi2EEEvNS_4cuda6detail10TensorInfoIT_T1_EES9_S9_S9_S9_S8_S8_,@function
_ZN2at6native12_GLOBAL__N_16kernel17gru_cell_backwardIddlLi2EEEvNS_4cuda6detail10TensorInfoIT_T1_EES9_S9_S9_S9_S8_S8_: ; @_ZN2at6native12_GLOBAL__N_16kernel17gru_cell_backwardIddlLi2EEEvNS_4cuda6detail10TensorInfoIT_T1_EES9_S9_S9_S9_S8_S8_
; %bb.0:
	s_clause 0x1
	s_load_dword s2, s[4:5], 0x83c
	s_load_dwordx4 s[8:11], s[4:5], 0x820
	v_mov_b32_e32 v1, 0
	s_add_u32 s0, s4, 0x830
	s_addc_u32 s1, s5, 0
	s_waitcnt lgkmcnt(0)
	s_and_b32 s33, s2, 0xffff
	s_mov_b32 s2, exec_lo
	v_mad_u64_u32 v[3:4], null, s6, s33, v[0:1]
	v_mov_b32_e32 v4, v1
	v_cmpx_gt_i64_e64 s[10:11], v[3:4]
	s_cbranch_execz .LBB51_59
; %bb.1:
	v_cvt_f32_u32_e32 v0, s8
	s_clause 0x5
	s_load_dwordx2 s[2:3], s[4:5], 0x0
	s_load_dwordx2 s[28:29], s[4:5], 0x10
	s_load_dwordx4 s[12:15], s[4:5], 0xd0
	s_load_dwordx2 s[30:31], s[4:5], 0x1a0
	s_load_dwordx2 s[34:35], s[4:5], 0x1b0
	s_load_dwordx4 s[16:19], s[4:5], 0x270
	s_load_dword s0, s[0:1], 0x0
	s_clause 0x8
	s_load_dwordx2 s[36:37], s[4:5], 0x340
	s_load_dwordx2 s[38:39], s[4:5], 0x350
	s_load_dwordx4 s[20:23], s[4:5], 0x410
	s_load_dwordx2 s[40:41], s[4:5], 0x4e0
	s_load_dwordx2 s[42:43], s[4:5], 0x4f0
	s_load_dwordx4 s[24:27], s[4:5], 0x5b0
	;; [unrolled: 3-line block ×3, first 2 shown]
	s_lshl_b64 s[48:49], s[8:9], 2
	v_rcp_iflag_f32_e32 v0, v0
	s_lshl_b64 s[50:51], s[8:9], 1
	s_mov_b32 s1, 0
	v_mul_f32_e32 v0, 0x4f7ffffe, v0
	s_waitcnt lgkmcnt(0)
	s_mul_i32 s33, s0, s33
	s_sub_u32 s58, 0, s38
	v_cvt_u32_f32_e32 v0, v0
	s_subb_u32 s59, 0, s39
	s_sub_u32 s60, 0, s42
	s_subb_u32 s61, 0, s43
	s_ashr_i32 s52, s9, 31
	s_branch .LBB51_3
.LBB51_2:                               ;   in Loop: Header=BB51_3 Depth=1
	s_or_b32 exec_lo, exec_lo, s0
	v_mad_u64_u32 v[9:10], null, s60, v5, v[3:4]
	v_mul_lo_u32 v2, s60, v6
	v_mul_lo_u32 v13, s61, v5
	;; [unrolled: 1-line block ×4, first 2 shown]
	v_mad_u64_u32 v[5:6], null, v5, s24, 0
	v_mul_f64 v[7:8], v[7:8], v[11:12]
	v_add_co_u32 v3, vcc_lo, v3, s33
	v_add3_u32 v2, v13, v10, v2
	v_mul_lo_u32 v13, v9, s27
	v_mad_u64_u32 v[9:10], null, v9, s26, 0
	v_add3_u32 v6, v6, v15, v14
	v_mul_lo_u32 v2, v2, s26
	v_add_co_ci_u32_e64 v4, null, 0, v4, vcc_lo
	v_lshlrev_b64 v[5:6], 3, v[5:6]
	v_add3_u32 v10, v10, v13, v2
	v_add_co_u32 v2, vcc_lo, s40, v5
	v_add_co_ci_u32_e64 v6, null, s41, v6, vcc_lo
	v_lshlrev_b64 v[9:10], 3, v[9:10]
	v_cmp_le_i64_e32 vcc_lo, s[10:11], v[3:4]
	v_add_co_u32 v5, s0, v2, v9
	v_add_co_ci_u32_e64 v6, null, v6, v10, s0
	s_or_b32 s1, vcc_lo, s1
	global_store_dwordx2 v[5:6], v[7:8], off
	s_andn2_b32 exec_lo, exec_lo, s1
	s_cbranch_execz .LBB51_59
.LBB51_3:                               ; =>This Inner Loop Header: Depth=1
	v_or_b32_e32 v2, s9, v4
	v_ashrrev_i32_e32 v29, 31, v4
                                        ; implicit-def: $vgpr9_vgpr10
	s_mov_b32 s0, exec_lo
	v_cmpx_ne_u64_e32 0, v[1:2]
	s_xor_b32 s56, exec_lo, s0
	s_cbranch_execz .LBB51_5
; %bb.4:                                ;   in Loop: Header=BB51_3 Depth=1
	s_add_u32 s54, s8, s52
	s_mov_b32 s53, s52
	s_addc_u32 s55, s9, s52
	v_add_co_u32 v6, vcc_lo, v3, v29
	s_xor_b64 s[54:55], s[54:55], s[52:53]
	v_add_co_ci_u32_e64 v7, null, v4, v29, vcc_lo
	v_cvt_f32_u32_e32 v2, s54
	v_cvt_f32_u32_e32 v5, s55
	s_sub_u32 s57, 0, s54
	s_subb_u32 s62, 0, s55
	v_xor_b32_e32 v11, v7, v29
	v_fmac_f32_e32 v2, 0x4f800000, v5
	v_rcp_f32_e32 v2, v2
	v_mul_f32_e32 v2, 0x5f7ffffc, v2
	v_mul_f32_e32 v5, 0x2f800000, v2
	v_trunc_f32_e32 v5, v5
	v_fmac_f32_e32 v2, 0xcf800000, v5
	v_cvt_u32_f32_e32 v5, v5
	v_cvt_u32_f32_e32 v2, v2
	v_readfirstlane_b32 s0, v5
	v_readfirstlane_b32 s53, v2
	s_mul_i32 s63, s57, s0
	v_xor_b32_e32 v2, v6, v29
	s_mul_hi_u32 s65, s57, s53
	s_mul_i32 s64, s62, s53
	s_add_i32 s63, s65, s63
	s_mul_i32 s66, s57, s53
	s_add_i32 s63, s63, s64
	s_mul_hi_u32 s65, s53, s66
	s_mul_i32 s68, s53, s63
	s_mul_hi_u32 s67, s0, s66
	s_mul_i32 s64, s0, s66
	s_mul_hi_u32 s66, s53, s63
	s_add_u32 s65, s65, s68
	s_addc_u32 s66, 0, s66
	s_mul_hi_u32 s69, s0, s63
	s_add_u32 s64, s65, s64
	s_mul_i32 s63, s0, s63
	s_addc_u32 s64, s66, s67
	s_addc_u32 s65, s69, 0
	s_add_u32 s63, s64, s63
	s_addc_u32 s64, 0, s65
	s_add_u32 s53, s53, s63
	s_cselect_b32 s63, -1, 0
	s_mul_hi_u32 s65, s57, s53
	s_cmp_lg_u32 s63, 0
	s_mul_i32 s63, s57, s53
	s_addc_u32 s0, s0, s64
	s_mul_i32 s62, s62, s53
	s_mul_i32 s57, s57, s0
	s_mul_hi_u32 s64, s53, s63
	s_add_i32 s57, s65, s57
	s_mul_hi_u32 s65, s0, s63
	s_add_i32 s57, s57, s62
	s_mul_i32 s62, s0, s63
	s_mul_i32 s67, s53, s57
	s_mul_hi_u32 s66, s53, s57
	s_add_u32 s64, s64, s67
	s_addc_u32 s66, 0, s66
	s_mul_hi_u32 s63, s0, s57
	s_add_u32 s62, s64, s62
	s_mul_i32 s57, s0, s57
	s_addc_u32 s62, s66, s65
	s_addc_u32 s63, s63, 0
	s_add_u32 s57, s62, s57
	s_addc_u32 s62, 0, s63
	s_add_u32 s53, s53, s57
	s_cselect_b32 s57, -1, 0
	v_mul_hi_u32 v12, v2, s53
	s_cmp_lg_u32 s57, 0
	v_mad_u64_u32 v[7:8], null, v11, s53, 0
	s_addc_u32 s0, s0, s62
	v_mad_u64_u32 v[5:6], null, v2, s0, 0
	v_mad_u64_u32 v[9:10], null, v11, s0, 0
	v_add_co_u32 v5, vcc_lo, v12, v5
	v_add_co_ci_u32_e64 v6, null, 0, v6, vcc_lo
	v_add_co_u32 v5, vcc_lo, v5, v7
	v_add_co_ci_u32_e32 v5, vcc_lo, v6, v8, vcc_lo
	v_add_co_ci_u32_e32 v6, vcc_lo, 0, v10, vcc_lo
	v_add_co_u32 v7, vcc_lo, v5, v9
	v_add_co_ci_u32_e64 v8, null, 0, v6, vcc_lo
	v_mul_lo_u32 v9, s55, v7
	v_mad_u64_u32 v[5:6], null, s54, v7, 0
	v_mul_lo_u32 v10, s54, v8
	v_sub_co_u32 v2, vcc_lo, v2, v5
	v_add3_u32 v6, v6, v10, v9
	v_sub_nc_u32_e32 v9, v11, v6
	v_sub_co_ci_u32_e64 v6, null, v11, v6, vcc_lo
	v_subrev_co_ci_u32_e64 v5, null, s55, v9, vcc_lo
	v_add_co_u32 v9, s0, v7, 2
	v_add_co_ci_u32_e64 v10, null, 0, v8, s0
	v_sub_co_u32 v12, s0, v2, s54
	v_subrev_co_ci_u32_e64 v5, null, 0, v5, s0
	v_cmp_le_u32_e32 vcc_lo, s54, v12
	v_cndmask_b32_e64 v11, 0, -1, vcc_lo
	v_cmp_le_u32_e32 vcc_lo, s55, v5
	v_cndmask_b32_e64 v12, 0, -1, vcc_lo
	;; [unrolled: 2-line block ×4, first 2 shown]
	v_cmp_eq_u32_e32 vcc_lo, s55, v5
	v_cndmask_b32_e32 v5, v12, v11, vcc_lo
	v_add_co_u32 v11, vcc_lo, v7, 1
	v_add_co_ci_u32_e64 v12, null, 0, v8, vcc_lo
	v_cmp_eq_u32_e32 vcc_lo, s55, v6
	v_xor_b32_e32 v6, s52, v29
	v_cndmask_b32_e32 v2, v13, v2, vcc_lo
	v_cmp_ne_u32_e32 vcc_lo, 0, v5
	v_cmp_ne_u32_e64 s0, 0, v2
	v_cndmask_b32_e32 v2, v11, v9, vcc_lo
	v_cndmask_b32_e32 v5, v12, v10, vcc_lo
	v_cndmask_b32_e64 v2, v7, v2, s0
	v_cndmask_b32_e64 v5, v8, v5, s0
	v_xor_b32_e32 v2, v2, v6
	v_xor_b32_e32 v5, v5, v6
	v_sub_co_u32 v9, vcc_lo, v2, v6
	v_sub_co_ci_u32_e64 v10, null, v5, v6, vcc_lo
.LBB51_5:                               ;   in Loop: Header=BB51_3 Depth=1
	s_andn2_saveexec_b32 s0, s56
	s_cbranch_execz .LBB51_7
; %bb.6:                                ;   in Loop: Header=BB51_3 Depth=1
	s_sub_i32 s53, 0, s8
	v_mov_b32_e32 v10, v1
	v_mul_lo_u32 v2, s53, v0
	v_mul_hi_u32 v2, v0, v2
	v_add_nc_u32_e32 v2, v0, v2
	v_mul_hi_u32 v2, v3, v2
	v_mul_lo_u32 v5, v2, s8
	v_add_nc_u32_e32 v6, 1, v2
	v_sub_nc_u32_e32 v5, v3, v5
	v_subrev_nc_u32_e32 v7, s8, v5
	v_cmp_le_u32_e32 vcc_lo, s8, v5
	v_cndmask_b32_e32 v5, v5, v7, vcc_lo
	v_cndmask_b32_e32 v2, v2, v6, vcc_lo
	v_cmp_le_u32_e32 vcc_lo, s8, v5
	v_add_nc_u32_e32 v6, 1, v2
	v_cndmask_b32_e32 v9, v2, v6, vcc_lo
.LBB51_7:                               ;   in Loop: Header=BB51_3 Depth=1
	s_or_b32 exec_lo, exec_lo, s0
	v_mul_lo_u32 v2, s49, v9
	v_mul_lo_u32 v7, s48, v10
	v_mad_u64_u32 v[5:6], null, s48, v9, 0
	s_mov_b32 s0, exec_lo
	v_add3_u32 v6, v6, v7, v2
	v_add_co_u32 v11, vcc_lo, v3, v5
                                        ; implicit-def: $vgpr7_vgpr8
	v_add_co_ci_u32_e64 v12, null, v4, v6, vcc_lo
	v_or_b32_e32 v2, s47, v12
	v_cmpx_ne_u64_e32 0, v[1:2]
	s_xor_b32 s53, exec_lo, s0
	s_cbranch_execz .LBB51_9
; %bb.8:                                ;   in Loop: Header=BB51_3 Depth=1
	s_ashr_i32 s54, s47, 31
	v_ashrrev_i32_e32 v15, 31, v12
	s_add_u32 s56, s46, s54
	s_mov_b32 s55, s54
	s_addc_u32 s57, s47, s54
	s_xor_b64 s[56:57], s[56:57], s[54:55]
	v_add_co_u32 v8, vcc_lo, v11, v15
	v_cvt_f32_u32_e32 v2, s56
	v_cvt_f32_u32_e32 v7, s57
	s_sub_u32 s62, 0, s56
	s_subb_u32 s63, 0, s57
	v_add_co_ci_u32_e64 v11, null, v12, v15, vcc_lo
	v_fmac_f32_e32 v2, 0x4f800000, v7
	v_xor_b32_e32 v16, v11, v15
	v_rcp_f32_e32 v2, v2
	v_mul_f32_e32 v2, 0x5f7ffffc, v2
	v_mul_f32_e32 v7, 0x2f800000, v2
	v_trunc_f32_e32 v7, v7
	v_fmac_f32_e32 v2, 0xcf800000, v7
	v_cvt_u32_f32_e32 v7, v7
	v_cvt_u32_f32_e32 v2, v2
	v_readfirstlane_b32 s0, v7
	v_readfirstlane_b32 s55, v2
	s_mul_i32 s64, s62, s0
	v_xor_b32_e32 v2, v8, v15
	s_mul_hi_u32 s66, s62, s55
	s_mul_i32 s65, s63, s55
	s_add_i32 s64, s66, s64
	s_mul_i32 s67, s62, s55
	s_add_i32 s64, s64, s65
	s_mul_hi_u32 s66, s55, s67
	s_mul_i32 s69, s55, s64
	s_mul_hi_u32 s68, s0, s67
	s_mul_i32 s65, s0, s67
	s_mul_hi_u32 s67, s55, s64
	s_add_u32 s66, s66, s69
	s_addc_u32 s67, 0, s67
	s_mul_hi_u32 s70, s0, s64
	s_add_u32 s65, s66, s65
	s_mul_i32 s64, s0, s64
	s_addc_u32 s65, s67, s68
	s_addc_u32 s66, s70, 0
	s_add_u32 s64, s65, s64
	s_addc_u32 s65, 0, s66
	s_add_u32 s55, s55, s64
	s_cselect_b32 s64, -1, 0
	s_mul_hi_u32 s66, s62, s55
	s_cmp_lg_u32 s64, 0
	s_mul_i32 s64, s62, s55
	s_addc_u32 s0, s0, s65
	s_mul_i32 s63, s63, s55
	s_mul_i32 s62, s62, s0
	s_mul_hi_u32 s65, s55, s64
	s_add_i32 s62, s66, s62
	s_mul_hi_u32 s66, s0, s64
	s_add_i32 s62, s62, s63
	s_mul_i32 s63, s0, s64
	s_mul_i32 s68, s55, s62
	s_mul_hi_u32 s67, s55, s62
	s_add_u32 s65, s65, s68
	s_addc_u32 s67, 0, s67
	s_mul_hi_u32 s64, s0, s62
	s_add_u32 s63, s65, s63
	s_mul_i32 s62, s0, s62
	s_addc_u32 s63, s67, s66
	s_addc_u32 s64, s64, 0
	s_add_u32 s62, s63, s62
	s_addc_u32 s63, 0, s64
	s_add_u32 s55, s55, s62
	s_cselect_b32 s62, -1, 0
	v_mul_hi_u32 v17, v2, s55
	s_cmp_lg_u32 s62, 0
	v_mad_u64_u32 v[11:12], null, v16, s55, 0
	s_addc_u32 s0, s0, s63
	v_mad_u64_u32 v[7:8], null, v2, s0, 0
	v_mad_u64_u32 v[13:14], null, v16, s0, 0
	v_add_co_u32 v7, vcc_lo, v17, v7
	v_add_co_ci_u32_e64 v8, null, 0, v8, vcc_lo
	v_add_co_u32 v7, vcc_lo, v7, v11
	v_add_co_ci_u32_e32 v7, vcc_lo, v8, v12, vcc_lo
	v_add_co_ci_u32_e32 v8, vcc_lo, 0, v14, vcc_lo
	v_add_co_u32 v11, vcc_lo, v7, v13
	v_add_co_ci_u32_e64 v12, null, 0, v8, vcc_lo
	v_mul_lo_u32 v13, s57, v11
	v_mad_u64_u32 v[7:8], null, s56, v11, 0
	v_mul_lo_u32 v14, s56, v12
	v_sub_co_u32 v2, vcc_lo, v2, v7
	v_add3_u32 v8, v8, v14, v13
	v_sub_nc_u32_e32 v13, v16, v8
	v_sub_co_ci_u32_e64 v8, null, v16, v8, vcc_lo
	v_subrev_co_ci_u32_e64 v7, null, s57, v13, vcc_lo
	v_add_co_u32 v13, s0, v11, 2
	v_add_co_ci_u32_e64 v14, null, 0, v12, s0
	v_sub_co_u32 v17, s0, v2, s56
	v_subrev_co_ci_u32_e64 v7, null, 0, v7, s0
	v_cmp_le_u32_e32 vcc_lo, s56, v17
	v_cndmask_b32_e64 v16, 0, -1, vcc_lo
	v_cmp_le_u32_e32 vcc_lo, s57, v7
	v_cndmask_b32_e64 v17, 0, -1, vcc_lo
	;; [unrolled: 2-line block ×4, first 2 shown]
	v_cmp_eq_u32_e32 vcc_lo, s57, v7
	v_cndmask_b32_e32 v7, v17, v16, vcc_lo
	v_add_co_u32 v16, vcc_lo, v11, 1
	v_add_co_ci_u32_e64 v17, null, 0, v12, vcc_lo
	v_cmp_eq_u32_e32 vcc_lo, s57, v8
	v_xor_b32_e32 v8, s54, v15
	v_cndmask_b32_e32 v2, v18, v2, vcc_lo
	v_cmp_ne_u32_e32 vcc_lo, 0, v7
	v_cmp_ne_u32_e64 s0, 0, v2
	v_cndmask_b32_e32 v2, v16, v13, vcc_lo
	v_cndmask_b32_e32 v7, v17, v14, vcc_lo
	v_cndmask_b32_e64 v2, v11, v2, s0
	v_cndmask_b32_e64 v7, v12, v7, s0
	v_xor_b32_e32 v2, v2, v8
	v_xor_b32_e32 v11, v7, v8
	v_sub_co_u32 v7, vcc_lo, v2, v8
	v_sub_co_ci_u32_e64 v8, null, v11, v8, vcc_lo
                                        ; implicit-def: $vgpr11
.LBB51_9:                               ;   in Loop: Header=BB51_3 Depth=1
	s_or_saveexec_b32 s0, s53
	v_cvt_f32_u32_e32 v21, s46
	s_xor_b32 exec_lo, exec_lo, s0
	s_cbranch_execz .LBB51_11
; %bb.10:                               ;   in Loop: Header=BB51_3 Depth=1
	v_rcp_iflag_f32_e32 v2, v21
	s_sub_i32 s53, 0, s46
	v_mul_f32_e32 v2, 0x4f7ffffe, v2
	v_cvt_u32_f32_e32 v2, v2
	v_mul_lo_u32 v7, s53, v2
	v_mul_hi_u32 v7, v2, v7
	v_add_nc_u32_e32 v2, v2, v7
	v_mul_hi_u32 v2, v11, v2
	v_mul_lo_u32 v7, v2, s46
	v_add_nc_u32_e32 v8, 1, v2
	v_sub_nc_u32_e32 v7, v11, v7
	v_subrev_nc_u32_e32 v11, s46, v7
	v_cmp_le_u32_e32 vcc_lo, s46, v7
	v_cndmask_b32_e32 v7, v7, v11, vcc_lo
	v_cndmask_b32_e32 v2, v2, v8, vcc_lo
	v_cmp_le_u32_e32 vcc_lo, s46, v7
	v_add_nc_u32_e32 v8, 1, v2
	v_cndmask_b32_e32 v7, v2, v8, vcc_lo
	v_mov_b32_e32 v8, v1
.LBB51_11:                              ;   in Loop: Header=BB51_3 Depth=1
	s_or_b32 exec_lo, exec_lo, s0
	v_mul_lo_u32 v2, v8, s46
	v_mul_lo_u32 v13, v7, s47
	v_mad_u64_u32 v[11:12], null, v7, s46, 0
	s_mov_b32 s0, exec_lo
	v_add3_u32 v2, v12, v13, v2
	v_sub_co_u32 v5, vcc_lo, v5, v11
	v_mul_lo_u32 v12, v8, s4
	v_mul_lo_u32 v11, v7, s5
	v_sub_co_ci_u32_e64 v2, null, v6, v2, vcc_lo
	v_add_co_u32 v8, vcc_lo, v3, v5
	v_mad_u64_u32 v[5:6], null, v7, s4, 0
	v_add_co_ci_u32_e64 v2, null, v4, v2, vcc_lo
	v_mul_lo_u32 v13, v8, s7
	v_mad_u64_u32 v[7:8], null, v8, s6, 0
	v_mul_lo_u32 v2, v2, s6
	v_add3_u32 v6, v6, v11, v12
	v_lshlrev_b64 v[11:12], 2, v[9:10]
	v_lshlrev_b64 v[5:6], 3, v[5:6]
	v_add3_u32 v8, v8, v13, v2
	v_mul_lo_u32 v13, s9, v11
	v_add_co_u32 v2, vcc_lo, s44, v5
	v_lshlrev_b64 v[7:8], 3, v[7:8]
	v_add_co_ci_u32_e64 v6, null, s45, v6, vcc_lo
	v_add_co_u32 v5, vcc_lo, v2, v7
	v_add_co_ci_u32_e64 v6, null, v6, v8, vcc_lo
	v_alignbit_b32 v2, v10, v9, 30
	v_mad_u64_u32 v[7:8], null, s8, v11, s[8:9]
	global_load_dwordx2 v[5:6], v[5:6], off
	v_mul_lo_u32 v2, s8, v2
	v_add_co_u32 v15, vcc_lo, v3, v7
	v_add3_u32 v8, v13, v8, v2
                                        ; implicit-def: $vgpr13_vgpr14
	v_add_co_ci_u32_e64 v16, null, v4, v8, vcc_lo
	v_or_b32_e32 v2, s47, v16
	v_cmpx_ne_u64_e32 0, v[1:2]
	s_xor_b32 s53, exec_lo, s0
	s_cbranch_execz .LBB51_13
; %bb.12:                               ;   in Loop: Header=BB51_3 Depth=1
	s_ashr_i32 s54, s47, 31
	v_ashrrev_i32_e32 v19, 31, v16
	s_add_u32 s56, s46, s54
	s_mov_b32 s55, s54
	s_addc_u32 s57, s47, s54
	s_xor_b64 s[56:57], s[56:57], s[54:55]
	v_add_co_u32 v14, vcc_lo, v15, v19
	v_cvt_f32_u32_e32 v2, s56
	v_cvt_f32_u32_e32 v13, s57
	s_sub_u32 s62, 0, s56
	s_subb_u32 s63, 0, s57
	v_add_co_ci_u32_e64 v15, null, v16, v19, vcc_lo
	v_fmac_f32_e32 v2, 0x4f800000, v13
	v_xor_b32_e32 v20, v15, v19
	v_rcp_f32_e32 v2, v2
	v_mul_f32_e32 v2, 0x5f7ffffc, v2
	v_mul_f32_e32 v13, 0x2f800000, v2
	v_trunc_f32_e32 v13, v13
	v_fmac_f32_e32 v2, 0xcf800000, v13
	v_cvt_u32_f32_e32 v13, v13
	v_cvt_u32_f32_e32 v2, v2
	v_readfirstlane_b32 s0, v13
	v_readfirstlane_b32 s55, v2
	s_mul_i32 s64, s62, s0
	v_xor_b32_e32 v2, v14, v19
	s_mul_hi_u32 s66, s62, s55
	s_mul_i32 s65, s63, s55
	s_add_i32 s64, s66, s64
	s_mul_i32 s67, s62, s55
	s_add_i32 s64, s64, s65
	s_mul_hi_u32 s66, s55, s67
	s_mul_i32 s69, s55, s64
	s_mul_hi_u32 s68, s0, s67
	s_mul_i32 s65, s0, s67
	s_mul_hi_u32 s67, s55, s64
	s_add_u32 s66, s66, s69
	s_addc_u32 s67, 0, s67
	s_mul_hi_u32 s70, s0, s64
	s_add_u32 s65, s66, s65
	s_mul_i32 s64, s0, s64
	s_addc_u32 s65, s67, s68
	s_addc_u32 s66, s70, 0
	s_add_u32 s64, s65, s64
	s_addc_u32 s65, 0, s66
	s_add_u32 s55, s55, s64
	s_cselect_b32 s64, -1, 0
	s_mul_hi_u32 s66, s62, s55
	s_cmp_lg_u32 s64, 0
	s_mul_i32 s64, s62, s55
	s_addc_u32 s0, s0, s65
	s_mul_i32 s63, s63, s55
	s_mul_i32 s62, s62, s0
	s_mul_hi_u32 s65, s55, s64
	s_add_i32 s62, s66, s62
	s_mul_hi_u32 s66, s0, s64
	s_add_i32 s62, s62, s63
	s_mul_i32 s63, s0, s64
	s_mul_i32 s68, s55, s62
	s_mul_hi_u32 s67, s55, s62
	s_add_u32 s65, s65, s68
	s_addc_u32 s67, 0, s67
	s_mul_hi_u32 s64, s0, s62
	s_add_u32 s63, s65, s63
	s_mul_i32 s62, s0, s62
	s_addc_u32 s63, s67, s66
	s_addc_u32 s64, s64, 0
	s_add_u32 s62, s63, s62
	s_addc_u32 s63, 0, s64
	s_add_u32 s55, s55, s62
	s_cselect_b32 s62, -1, 0
	v_mul_hi_u32 v22, v2, s55
	s_cmp_lg_u32 s62, 0
	v_mad_u64_u32 v[15:16], null, v20, s55, 0
	s_addc_u32 s0, s0, s63
	v_mad_u64_u32 v[13:14], null, v2, s0, 0
	v_mad_u64_u32 v[17:18], null, v20, s0, 0
	v_add_co_u32 v13, vcc_lo, v22, v13
	v_add_co_ci_u32_e64 v14, null, 0, v14, vcc_lo
	v_add_co_u32 v13, vcc_lo, v13, v15
	v_add_co_ci_u32_e32 v13, vcc_lo, v14, v16, vcc_lo
	v_add_co_ci_u32_e32 v14, vcc_lo, 0, v18, vcc_lo
	v_add_co_u32 v15, vcc_lo, v13, v17
	v_add_co_ci_u32_e64 v16, null, 0, v14, vcc_lo
	v_mul_lo_u32 v17, s57, v15
	v_mad_u64_u32 v[13:14], null, s56, v15, 0
	v_mul_lo_u32 v18, s56, v16
	v_sub_co_u32 v2, vcc_lo, v2, v13
	v_add3_u32 v14, v14, v18, v17
	v_sub_nc_u32_e32 v17, v20, v14
	v_sub_co_ci_u32_e64 v14, null, v20, v14, vcc_lo
	v_subrev_co_ci_u32_e64 v13, null, s57, v17, vcc_lo
	v_add_co_u32 v17, s0, v15, 2
	v_add_co_ci_u32_e64 v18, null, 0, v16, s0
	v_sub_co_u32 v22, s0, v2, s56
	v_subrev_co_ci_u32_e64 v13, null, 0, v13, s0
	v_cmp_le_u32_e32 vcc_lo, s56, v22
	v_cndmask_b32_e64 v20, 0, -1, vcc_lo
	v_cmp_le_u32_e32 vcc_lo, s57, v13
	v_cndmask_b32_e64 v22, 0, -1, vcc_lo
	;; [unrolled: 2-line block ×4, first 2 shown]
	v_cmp_eq_u32_e32 vcc_lo, s57, v13
	v_cndmask_b32_e32 v13, v22, v20, vcc_lo
	v_add_co_u32 v20, vcc_lo, v15, 1
	v_add_co_ci_u32_e64 v22, null, 0, v16, vcc_lo
	v_cmp_eq_u32_e32 vcc_lo, s57, v14
	v_xor_b32_e32 v14, s54, v19
	v_cndmask_b32_e32 v2, v23, v2, vcc_lo
	v_cmp_ne_u32_e32 vcc_lo, 0, v13
	v_cmp_ne_u32_e64 s0, 0, v2
	v_cndmask_b32_e32 v2, v20, v17, vcc_lo
	v_cndmask_b32_e32 v13, v22, v18, vcc_lo
	v_cndmask_b32_e64 v2, v15, v2, s0
	v_cndmask_b32_e64 v13, v16, v13, s0
	v_xor_b32_e32 v2, v2, v14
	v_xor_b32_e32 v15, v13, v14
	v_sub_co_u32 v13, vcc_lo, v2, v14
	v_sub_co_ci_u32_e64 v14, null, v15, v14, vcc_lo
                                        ; implicit-def: $vgpr15
.LBB51_13:                              ;   in Loop: Header=BB51_3 Depth=1
	s_andn2_saveexec_b32 s0, s53
	s_cbranch_execz .LBB51_15
; %bb.14:                               ;   in Loop: Header=BB51_3 Depth=1
	v_rcp_iflag_f32_e32 v2, v21
	s_sub_i32 s53, 0, s46
	v_mul_f32_e32 v2, 0x4f7ffffe, v2
	v_cvt_u32_f32_e32 v2, v2
	v_mul_lo_u32 v13, s53, v2
	v_mul_hi_u32 v13, v2, v13
	v_add_nc_u32_e32 v2, v2, v13
	v_mul_hi_u32 v2, v15, v2
	v_mul_lo_u32 v13, v2, s46
	v_add_nc_u32_e32 v14, 1, v2
	v_sub_nc_u32_e32 v13, v15, v13
	v_subrev_nc_u32_e32 v15, s46, v13
	v_cmp_le_u32_e32 vcc_lo, s46, v13
	v_cndmask_b32_e32 v13, v13, v15, vcc_lo
	v_cndmask_b32_e32 v2, v2, v14, vcc_lo
	v_cmp_le_u32_e32 vcc_lo, s46, v13
	v_add_nc_u32_e32 v14, 1, v2
	v_cndmask_b32_e32 v13, v2, v14, vcc_lo
	v_mov_b32_e32 v14, v1
.LBB51_15:                              ;   in Loop: Header=BB51_3 Depth=1
	s_or_b32 exec_lo, exec_lo, s0
	v_mul_lo_u32 v2, v14, s46
	v_mul_lo_u32 v17, v13, s47
	v_mad_u64_u32 v[15:16], null, v13, s46, 0
	s_mov_b32 s0, exec_lo
	v_add3_u32 v2, v16, v17, v2
	v_sub_co_u32 v7, vcc_lo, v7, v15
	v_mul_lo_u32 v16, v14, s4
	v_mul_lo_u32 v15, v13, s5
	v_sub_co_ci_u32_e64 v2, null, v8, v2, vcc_lo
	v_add_co_u32 v14, vcc_lo, v3, v7
	v_mad_u64_u32 v[7:8], null, v13, s4, 0
	v_add_co_ci_u32_e64 v2, null, v4, v2, vcc_lo
	v_mul_lo_u32 v17, v14, s7
	v_mad_u64_u32 v[13:14], null, v14, s6, 0
	v_mul_lo_u32 v2, v2, s6
	v_add3_u32 v8, v8, v15, v16
	v_lshlrev_b64 v[7:8], 3, v[7:8]
	v_add3_u32 v14, v14, v17, v2
	v_add_co_u32 v2, vcc_lo, s44, v7
	v_lshlrev_b64 v[13:14], 3, v[13:14]
	v_add_co_ci_u32_e64 v8, null, s45, v8, vcc_lo
	v_add_co_u32 v7, vcc_lo, v2, v13
	v_add_co_ci_u32_e64 v8, null, v8, v14, vcc_lo
	v_add_co_u32 v2, vcc_lo, v11, 2
	v_add_co_ci_u32_e64 v13, null, 0, v12, vcc_lo
	global_load_dwordx2 v[7:8], v[7:8], off
	v_mul_lo_u32 v15, s9, v2
	v_mul_lo_u32 v16, s8, v13
	v_mad_u64_u32 v[13:14], null, s8, v2, 0
	v_add3_u32 v14, v14, v16, v15
	v_add_co_u32 v17, vcc_lo, v3, v13
                                        ; implicit-def: $vgpr15_vgpr16
	v_add_co_ci_u32_e64 v18, null, v4, v14, vcc_lo
	v_or_b32_e32 v2, s47, v18
	v_cmpx_ne_u64_e32 0, v[1:2]
	s_xor_b32 s53, exec_lo, s0
	s_cbranch_execz .LBB51_17
; %bb.16:                               ;   in Loop: Header=BB51_3 Depth=1
	s_ashr_i32 s54, s47, 31
	v_ashrrev_i32_e32 v22, 31, v18
	s_add_u32 s56, s46, s54
	s_mov_b32 s55, s54
	s_addc_u32 s57, s47, s54
	s_xor_b64 s[56:57], s[56:57], s[54:55]
	v_add_co_u32 v16, vcc_lo, v17, v22
	v_cvt_f32_u32_e32 v2, s56
	v_cvt_f32_u32_e32 v15, s57
	s_sub_u32 s62, 0, s56
	s_subb_u32 s63, 0, s57
	v_add_co_ci_u32_e64 v17, null, v18, v22, vcc_lo
	v_fmac_f32_e32 v2, 0x4f800000, v15
	v_xor_b32_e32 v23, v17, v22
	v_rcp_f32_e32 v2, v2
	v_mul_f32_e32 v2, 0x5f7ffffc, v2
	v_mul_f32_e32 v15, 0x2f800000, v2
	v_trunc_f32_e32 v15, v15
	v_fmac_f32_e32 v2, 0xcf800000, v15
	v_cvt_u32_f32_e32 v15, v15
	v_cvt_u32_f32_e32 v2, v2
	v_readfirstlane_b32 s0, v15
	v_readfirstlane_b32 s55, v2
	s_mul_i32 s64, s62, s0
	v_xor_b32_e32 v2, v16, v22
	s_mul_hi_u32 s66, s62, s55
	s_mul_i32 s65, s63, s55
	s_add_i32 s64, s66, s64
	s_mul_i32 s67, s62, s55
	s_add_i32 s64, s64, s65
	s_mul_hi_u32 s66, s55, s67
	s_mul_i32 s69, s55, s64
	s_mul_hi_u32 s68, s0, s67
	s_mul_i32 s65, s0, s67
	s_mul_hi_u32 s67, s55, s64
	s_add_u32 s66, s66, s69
	s_addc_u32 s67, 0, s67
	s_mul_hi_u32 s70, s0, s64
	s_add_u32 s65, s66, s65
	s_mul_i32 s64, s0, s64
	s_addc_u32 s65, s67, s68
	s_addc_u32 s66, s70, 0
	s_add_u32 s64, s65, s64
	s_addc_u32 s65, 0, s66
	s_add_u32 s55, s55, s64
	s_cselect_b32 s64, -1, 0
	s_mul_hi_u32 s66, s62, s55
	s_cmp_lg_u32 s64, 0
	s_mul_i32 s64, s62, s55
	s_addc_u32 s0, s0, s65
	s_mul_i32 s63, s63, s55
	s_mul_i32 s62, s62, s0
	s_mul_hi_u32 s65, s55, s64
	s_add_i32 s62, s66, s62
	s_mul_hi_u32 s66, s0, s64
	s_add_i32 s62, s62, s63
	s_mul_i32 s63, s0, s64
	s_mul_i32 s68, s55, s62
	s_mul_hi_u32 s67, s55, s62
	s_add_u32 s65, s65, s68
	s_addc_u32 s67, 0, s67
	s_mul_hi_u32 s64, s0, s62
	s_add_u32 s63, s65, s63
	s_mul_i32 s62, s0, s62
	s_addc_u32 s63, s67, s66
	s_addc_u32 s64, s64, 0
	s_add_u32 s62, s63, s62
	s_addc_u32 s63, 0, s64
	s_add_u32 s55, s55, s62
	s_cselect_b32 s62, -1, 0
	v_mul_hi_u32 v24, v2, s55
	s_cmp_lg_u32 s62, 0
	v_mad_u64_u32 v[17:18], null, v23, s55, 0
	s_addc_u32 s0, s0, s63
	v_mad_u64_u32 v[15:16], null, v2, s0, 0
	v_mad_u64_u32 v[19:20], null, v23, s0, 0
	v_add_co_u32 v15, vcc_lo, v24, v15
	v_add_co_ci_u32_e64 v16, null, 0, v16, vcc_lo
	v_add_co_u32 v15, vcc_lo, v15, v17
	v_add_co_ci_u32_e32 v15, vcc_lo, v16, v18, vcc_lo
	v_add_co_ci_u32_e32 v16, vcc_lo, 0, v20, vcc_lo
	v_add_co_u32 v17, vcc_lo, v15, v19
	v_add_co_ci_u32_e64 v18, null, 0, v16, vcc_lo
	v_mul_lo_u32 v19, s57, v17
	v_mad_u64_u32 v[15:16], null, s56, v17, 0
	v_mul_lo_u32 v20, s56, v18
	v_sub_co_u32 v2, vcc_lo, v2, v15
	v_add3_u32 v16, v16, v20, v19
	v_sub_nc_u32_e32 v19, v23, v16
	v_sub_co_ci_u32_e64 v16, null, v23, v16, vcc_lo
	v_subrev_co_ci_u32_e64 v15, null, s57, v19, vcc_lo
	v_add_co_u32 v19, s0, v17, 2
	v_add_co_ci_u32_e64 v20, null, 0, v18, s0
	v_sub_co_u32 v24, s0, v2, s56
	v_subrev_co_ci_u32_e64 v15, null, 0, v15, s0
	v_cmp_le_u32_e32 vcc_lo, s56, v24
	v_cndmask_b32_e64 v23, 0, -1, vcc_lo
	v_cmp_le_u32_e32 vcc_lo, s57, v15
	v_cndmask_b32_e64 v24, 0, -1, vcc_lo
	;; [unrolled: 2-line block ×4, first 2 shown]
	v_cmp_eq_u32_e32 vcc_lo, s57, v15
	v_cndmask_b32_e32 v15, v24, v23, vcc_lo
	v_add_co_u32 v23, vcc_lo, v17, 1
	v_add_co_ci_u32_e64 v24, null, 0, v18, vcc_lo
	v_cmp_eq_u32_e32 vcc_lo, s57, v16
	v_xor_b32_e32 v16, s54, v22
	v_cndmask_b32_e32 v2, v25, v2, vcc_lo
	v_cmp_ne_u32_e32 vcc_lo, 0, v15
	v_cmp_ne_u32_e64 s0, 0, v2
	v_cndmask_b32_e32 v2, v23, v19, vcc_lo
	v_cndmask_b32_e32 v15, v24, v20, vcc_lo
	v_cndmask_b32_e64 v2, v17, v2, s0
	v_cndmask_b32_e64 v15, v18, v15, s0
	v_xor_b32_e32 v2, v2, v16
	v_xor_b32_e32 v17, v15, v16
	v_sub_co_u32 v15, vcc_lo, v2, v16
	v_sub_co_ci_u32_e64 v16, null, v17, v16, vcc_lo
                                        ; implicit-def: $vgpr17
.LBB51_17:                              ;   in Loop: Header=BB51_3 Depth=1
	s_andn2_saveexec_b32 s0, s53
	s_cbranch_execz .LBB51_19
; %bb.18:                               ;   in Loop: Header=BB51_3 Depth=1
	v_rcp_iflag_f32_e32 v2, v21
	s_sub_i32 s53, 0, s46
	v_mul_f32_e32 v2, 0x4f7ffffe, v2
	v_cvt_u32_f32_e32 v2, v2
	v_mul_lo_u32 v15, s53, v2
	v_mul_hi_u32 v15, v2, v15
	v_add_nc_u32_e32 v2, v2, v15
	v_mul_hi_u32 v2, v17, v2
	v_mul_lo_u32 v15, v2, s46
	v_add_nc_u32_e32 v16, 1, v2
	v_sub_nc_u32_e32 v15, v17, v15
	v_subrev_nc_u32_e32 v17, s46, v15
	v_cmp_le_u32_e32 vcc_lo, s46, v15
	v_cndmask_b32_e32 v15, v15, v17, vcc_lo
	v_cndmask_b32_e32 v2, v2, v16, vcc_lo
	v_cmp_le_u32_e32 vcc_lo, s46, v15
	v_add_nc_u32_e32 v16, 1, v2
	v_cndmask_b32_e32 v15, v2, v16, vcc_lo
	v_mov_b32_e32 v16, v1
.LBB51_19:                              ;   in Loop: Header=BB51_3 Depth=1
	s_or_b32 exec_lo, exec_lo, s0
	v_mul_lo_u32 v2, v16, s46
	v_mul_lo_u32 v19, v15, s47
	v_mad_u64_u32 v[17:18], null, v15, s46, 0
	s_mov_b32 s0, exec_lo
	v_add3_u32 v2, v18, v19, v2
	v_sub_co_u32 v13, vcc_lo, v13, v17
	v_mul_lo_u32 v18, v16, s4
	v_mul_lo_u32 v17, v15, s5
	v_sub_co_ci_u32_e64 v2, null, v14, v2, vcc_lo
	v_add_co_u32 v16, vcc_lo, v3, v13
	v_mad_u64_u32 v[13:14], null, v15, s4, 0
	v_add_co_ci_u32_e64 v2, null, v4, v2, vcc_lo
	v_mul_lo_u32 v19, v16, s7
	v_mad_u64_u32 v[15:16], null, v16, s6, 0
	v_mul_lo_u32 v2, v2, s6
	v_add3_u32 v14, v14, v17, v18
	v_lshlrev_b64 v[13:14], 3, v[13:14]
	v_add3_u32 v16, v16, v19, v2
	v_add_co_u32 v2, vcc_lo, s44, v13
	v_lshlrev_b64 v[15:16], 3, v[15:16]
	v_add_co_ci_u32_e64 v14, null, s45, v14, vcc_lo
	v_add_co_u32 v13, vcc_lo, v2, v15
	v_add_co_ci_u32_e64 v14, null, v14, v16, vcc_lo
	v_add_co_u32 v2, vcc_lo, v11, 3
	global_load_dwordx2 v[15:16], v[13:14], off
	v_add_co_ci_u32_e64 v13, null, 0, v12, vcc_lo
	v_mul_lo_u32 v17, s9, v2
	v_mul_lo_u32 v18, s8, v13
	v_mad_u64_u32 v[13:14], null, s8, v2, 0
	v_add3_u32 v14, v14, v18, v17
	v_add_co_u32 v19, vcc_lo, v3, v13
                                        ; implicit-def: $vgpr17_vgpr18
	v_add_co_ci_u32_e64 v20, null, v4, v14, vcc_lo
	v_or_b32_e32 v2, s47, v20
	v_cmpx_ne_u64_e32 0, v[1:2]
	s_xor_b32 s53, exec_lo, s0
	s_cbranch_execz .LBB51_21
; %bb.20:                               ;   in Loop: Header=BB51_3 Depth=1
	s_ashr_i32 s54, s47, 31
	v_ashrrev_i32_e32 v24, 31, v20
	s_add_u32 s56, s46, s54
	s_mov_b32 s55, s54
	s_addc_u32 s57, s47, s54
	s_xor_b64 s[56:57], s[56:57], s[54:55]
	v_add_co_u32 v18, vcc_lo, v19, v24
	v_cvt_f32_u32_e32 v2, s56
	v_cvt_f32_u32_e32 v17, s57
	s_sub_u32 s62, 0, s56
	s_subb_u32 s63, 0, s57
	v_add_co_ci_u32_e64 v19, null, v20, v24, vcc_lo
	v_fmac_f32_e32 v2, 0x4f800000, v17
	v_xor_b32_e32 v25, v19, v24
	v_rcp_f32_e32 v2, v2
	v_mul_f32_e32 v2, 0x5f7ffffc, v2
	v_mul_f32_e32 v17, 0x2f800000, v2
	v_trunc_f32_e32 v17, v17
	v_fmac_f32_e32 v2, 0xcf800000, v17
	v_cvt_u32_f32_e32 v17, v17
	v_cvt_u32_f32_e32 v2, v2
	v_readfirstlane_b32 s0, v17
	v_readfirstlane_b32 s55, v2
	s_mul_i32 s64, s62, s0
	v_xor_b32_e32 v2, v18, v24
	s_mul_hi_u32 s66, s62, s55
	s_mul_i32 s65, s63, s55
	s_add_i32 s64, s66, s64
	s_mul_i32 s67, s62, s55
	s_add_i32 s64, s64, s65
	s_mul_hi_u32 s66, s55, s67
	s_mul_i32 s69, s55, s64
	s_mul_hi_u32 s68, s0, s67
	s_mul_i32 s65, s0, s67
	s_mul_hi_u32 s67, s55, s64
	s_add_u32 s66, s66, s69
	s_addc_u32 s67, 0, s67
	s_mul_hi_u32 s70, s0, s64
	s_add_u32 s65, s66, s65
	s_mul_i32 s64, s0, s64
	s_addc_u32 s65, s67, s68
	s_addc_u32 s66, s70, 0
	s_add_u32 s64, s65, s64
	s_addc_u32 s65, 0, s66
	s_add_u32 s55, s55, s64
	s_cselect_b32 s64, -1, 0
	s_mul_hi_u32 s66, s62, s55
	s_cmp_lg_u32 s64, 0
	s_mul_i32 s64, s62, s55
	s_addc_u32 s0, s0, s65
	s_mul_i32 s63, s63, s55
	s_mul_i32 s62, s62, s0
	s_mul_hi_u32 s65, s55, s64
	s_add_i32 s62, s66, s62
	s_mul_hi_u32 s66, s0, s64
	s_add_i32 s62, s62, s63
	s_mul_i32 s63, s0, s64
	s_mul_i32 s68, s55, s62
	s_mul_hi_u32 s67, s55, s62
	s_add_u32 s65, s65, s68
	s_addc_u32 s67, 0, s67
	s_mul_hi_u32 s64, s0, s62
	s_add_u32 s63, s65, s63
	s_mul_i32 s62, s0, s62
	s_addc_u32 s63, s67, s66
	s_addc_u32 s64, s64, 0
	s_add_u32 s62, s63, s62
	s_addc_u32 s63, 0, s64
	s_add_u32 s55, s55, s62
	s_cselect_b32 s62, -1, 0
	v_mul_hi_u32 v26, v2, s55
	s_cmp_lg_u32 s62, 0
	v_mad_u64_u32 v[19:20], null, v25, s55, 0
	s_addc_u32 s0, s0, s63
	v_mad_u64_u32 v[17:18], null, v2, s0, 0
	v_mad_u64_u32 v[22:23], null, v25, s0, 0
	v_add_co_u32 v17, vcc_lo, v26, v17
	v_add_co_ci_u32_e64 v18, null, 0, v18, vcc_lo
	v_add_co_u32 v17, vcc_lo, v17, v19
	v_add_co_ci_u32_e32 v17, vcc_lo, v18, v20, vcc_lo
	v_add_co_ci_u32_e32 v18, vcc_lo, 0, v23, vcc_lo
	v_add_co_u32 v19, vcc_lo, v17, v22
	v_add_co_ci_u32_e64 v20, null, 0, v18, vcc_lo
	v_mul_lo_u32 v22, s57, v19
	v_mad_u64_u32 v[17:18], null, s56, v19, 0
	v_mul_lo_u32 v23, s56, v20
	v_sub_co_u32 v2, vcc_lo, v2, v17
	v_add3_u32 v18, v18, v23, v22
	v_sub_nc_u32_e32 v22, v25, v18
	v_sub_co_ci_u32_e64 v18, null, v25, v18, vcc_lo
	v_subrev_co_ci_u32_e64 v17, null, s57, v22, vcc_lo
	v_add_co_u32 v22, s0, v19, 2
	v_add_co_ci_u32_e64 v23, null, 0, v20, s0
	v_sub_co_u32 v26, s0, v2, s56
	v_subrev_co_ci_u32_e64 v17, null, 0, v17, s0
	v_cmp_le_u32_e32 vcc_lo, s56, v26
	v_cndmask_b32_e64 v25, 0, -1, vcc_lo
	v_cmp_le_u32_e32 vcc_lo, s57, v17
	v_cndmask_b32_e64 v26, 0, -1, vcc_lo
	;; [unrolled: 2-line block ×4, first 2 shown]
	v_cmp_eq_u32_e32 vcc_lo, s57, v17
	v_cndmask_b32_e32 v17, v26, v25, vcc_lo
	v_add_co_u32 v25, vcc_lo, v19, 1
	v_add_co_ci_u32_e64 v26, null, 0, v20, vcc_lo
	v_cmp_eq_u32_e32 vcc_lo, s57, v18
	v_xor_b32_e32 v18, s54, v24
	v_cndmask_b32_e32 v2, v27, v2, vcc_lo
	v_cmp_ne_u32_e32 vcc_lo, 0, v17
	v_cmp_ne_u32_e64 s0, 0, v2
	v_cndmask_b32_e32 v2, v25, v22, vcc_lo
	v_cndmask_b32_e32 v17, v26, v23, vcc_lo
	v_cndmask_b32_e64 v2, v19, v2, s0
	v_cndmask_b32_e64 v17, v20, v17, s0
	v_xor_b32_e32 v2, v2, v18
	v_xor_b32_e32 v19, v17, v18
	v_sub_co_u32 v17, vcc_lo, v2, v18
	v_sub_co_ci_u32_e64 v18, null, v19, v18, vcc_lo
                                        ; implicit-def: $vgpr19
.LBB51_21:                              ;   in Loop: Header=BB51_3 Depth=1
	s_andn2_saveexec_b32 s0, s53
	s_cbranch_execz .LBB51_23
; %bb.22:                               ;   in Loop: Header=BB51_3 Depth=1
	v_rcp_iflag_f32_e32 v2, v21
	s_sub_i32 s53, 0, s46
	v_mul_f32_e32 v2, 0x4f7ffffe, v2
	v_cvt_u32_f32_e32 v2, v2
	v_mul_lo_u32 v17, s53, v2
	v_mul_hi_u32 v17, v2, v17
	v_add_nc_u32_e32 v2, v2, v17
	v_mul_hi_u32 v2, v19, v2
	v_mul_lo_u32 v17, v2, s46
	v_add_nc_u32_e32 v18, 1, v2
	v_sub_nc_u32_e32 v17, v19, v17
	v_subrev_nc_u32_e32 v19, s46, v17
	v_cmp_le_u32_e32 vcc_lo, s46, v17
	v_cndmask_b32_e32 v17, v17, v19, vcc_lo
	v_cndmask_b32_e32 v2, v2, v18, vcc_lo
	v_cmp_le_u32_e32 vcc_lo, s46, v17
	v_add_nc_u32_e32 v18, 1, v2
	v_cndmask_b32_e32 v17, v2, v18, vcc_lo
	v_mov_b32_e32 v18, v1
.LBB51_23:                              ;   in Loop: Header=BB51_3 Depth=1
	s_or_b32 exec_lo, exec_lo, s0
	v_mul_lo_u32 v2, v18, s46
	v_mul_lo_u32 v22, v17, s47
	v_mad_u64_u32 v[19:20], null, v17, s46, 0
	s_mov_b32 s0, exec_lo
	v_add3_u32 v2, v20, v22, v2
	v_sub_co_u32 v13, vcc_lo, v13, v19
	v_mul_lo_u32 v20, v18, s4
	v_mul_lo_u32 v19, v17, s5
	v_sub_co_ci_u32_e64 v2, null, v14, v2, vcc_lo
	v_add_co_u32 v18, vcc_lo, v3, v13
	v_mad_u64_u32 v[13:14], null, v17, s4, 0
	v_add_co_ci_u32_e64 v2, null, v4, v2, vcc_lo
	v_mul_lo_u32 v22, v18, s7
	v_mad_u64_u32 v[17:18], null, v18, s6, 0
	v_mul_lo_u32 v2, v2, s6
	v_add3_u32 v14, v14, v19, v20
	v_lshlrev_b64 v[13:14], 3, v[13:14]
	v_add3_u32 v18, v18, v22, v2
	v_add_co_u32 v2, vcc_lo, s44, v13
	v_lshlrev_b64 v[17:18], 3, v[17:18]
	v_add_co_ci_u32_e64 v14, null, s45, v14, vcc_lo
	v_add_co_u32 v13, vcc_lo, v2, v17
	v_add_co_ci_u32_e64 v14, null, v14, v18, vcc_lo
	v_add_co_u32 v2, vcc_lo, v11, 4
	v_add_co_ci_u32_e64 v11, null, 0, v12, vcc_lo
	global_load_dwordx2 v[19:20], v[13:14], off
	v_mul_lo_u32 v13, s9, v2
	v_mul_lo_u32 v14, s8, v11
	v_mad_u64_u32 v[11:12], null, s8, v2, 0
	v_add3_u32 v12, v12, v14, v13
	v_add_co_u32 v17, vcc_lo, v3, v11
                                        ; implicit-def: $vgpr13_vgpr14
	v_add_co_ci_u32_e64 v18, null, v4, v12, vcc_lo
	v_or_b32_e32 v2, s47, v18
	v_cmpx_ne_u64_e32 0, v[1:2]
	s_xor_b32 s53, exec_lo, s0
	s_cbranch_execz .LBB51_25
; %bb.24:                               ;   in Loop: Header=BB51_3 Depth=1
	s_ashr_i32 s54, s47, 31
	v_ashrrev_i32_e32 v23, 31, v18
	s_add_u32 s56, s46, s54
	s_mov_b32 s55, s54
	s_addc_u32 s57, s47, s54
	s_xor_b64 s[56:57], s[56:57], s[54:55]
	v_add_co_u32 v14, vcc_lo, v17, v23
	v_cvt_f32_u32_e32 v2, s56
	v_cvt_f32_u32_e32 v13, s57
	s_sub_u32 s62, 0, s56
	s_subb_u32 s63, 0, s57
	v_add_co_ci_u32_e64 v17, null, v18, v23, vcc_lo
	v_fmac_f32_e32 v2, 0x4f800000, v13
	v_xor_b32_e32 v24, v17, v23
	v_rcp_f32_e32 v2, v2
	v_mul_f32_e32 v2, 0x5f7ffffc, v2
	v_mul_f32_e32 v13, 0x2f800000, v2
	v_trunc_f32_e32 v13, v13
	v_fmac_f32_e32 v2, 0xcf800000, v13
	v_cvt_u32_f32_e32 v13, v13
	v_cvt_u32_f32_e32 v2, v2
	v_readfirstlane_b32 s0, v13
	v_readfirstlane_b32 s55, v2
	s_mul_i32 s64, s62, s0
	v_xor_b32_e32 v2, v14, v23
	s_mul_hi_u32 s66, s62, s55
	s_mul_i32 s65, s63, s55
	s_add_i32 s64, s66, s64
	s_mul_i32 s67, s62, s55
	s_add_i32 s64, s64, s65
	s_mul_hi_u32 s66, s55, s67
	s_mul_i32 s69, s55, s64
	s_mul_hi_u32 s68, s0, s67
	s_mul_i32 s65, s0, s67
	s_mul_hi_u32 s67, s55, s64
	s_add_u32 s66, s66, s69
	s_addc_u32 s67, 0, s67
	s_mul_hi_u32 s70, s0, s64
	s_add_u32 s65, s66, s65
	s_mul_i32 s64, s0, s64
	s_addc_u32 s65, s67, s68
	s_addc_u32 s66, s70, 0
	s_add_u32 s64, s65, s64
	s_addc_u32 s65, 0, s66
	s_add_u32 s55, s55, s64
	s_cselect_b32 s64, -1, 0
	s_mul_hi_u32 s66, s62, s55
	s_cmp_lg_u32 s64, 0
	s_mul_i32 s64, s62, s55
	s_addc_u32 s0, s0, s65
	s_mul_i32 s63, s63, s55
	s_mul_i32 s62, s62, s0
	s_mul_hi_u32 s65, s55, s64
	s_add_i32 s62, s66, s62
	s_mul_hi_u32 s66, s0, s64
	s_add_i32 s62, s62, s63
	s_mul_i32 s63, s0, s64
	s_mul_i32 s68, s55, s62
	s_mul_hi_u32 s67, s55, s62
	s_add_u32 s65, s65, s68
	s_addc_u32 s67, 0, s67
	s_mul_hi_u32 s64, s0, s62
	s_add_u32 s63, s65, s63
	s_mul_i32 s62, s0, s62
	s_addc_u32 s63, s67, s66
	s_addc_u32 s64, s64, 0
	s_add_u32 s62, s63, s62
	s_addc_u32 s63, 0, s64
	s_add_u32 s55, s55, s62
	s_cselect_b32 s62, -1, 0
	v_mul_hi_u32 v25, v2, s55
	s_cmp_lg_u32 s62, 0
	v_mad_u64_u32 v[17:18], null, v24, s55, 0
	s_addc_u32 s0, s0, s63
	v_mad_u64_u32 v[13:14], null, v2, s0, 0
	v_mad_u64_u32 v[21:22], null, v24, s0, 0
	v_add_co_u32 v13, vcc_lo, v25, v13
	v_add_co_ci_u32_e64 v14, null, 0, v14, vcc_lo
	v_add_co_u32 v13, vcc_lo, v13, v17
	v_add_co_ci_u32_e32 v13, vcc_lo, v14, v18, vcc_lo
	v_add_co_ci_u32_e32 v14, vcc_lo, 0, v22, vcc_lo
	v_add_co_u32 v17, vcc_lo, v13, v21
	v_add_co_ci_u32_e64 v18, null, 0, v14, vcc_lo
	v_mul_lo_u32 v21, s57, v17
	v_mad_u64_u32 v[13:14], null, s56, v17, 0
	v_mul_lo_u32 v22, s56, v18
	v_sub_co_u32 v2, vcc_lo, v2, v13
	v_add3_u32 v14, v14, v22, v21
	v_sub_nc_u32_e32 v21, v24, v14
	v_sub_co_ci_u32_e64 v14, null, v24, v14, vcc_lo
	v_subrev_co_ci_u32_e64 v13, null, s57, v21, vcc_lo
	v_add_co_u32 v21, s0, v17, 2
	v_add_co_ci_u32_e64 v22, null, 0, v18, s0
	v_sub_co_u32 v25, s0, v2, s56
	v_subrev_co_ci_u32_e64 v13, null, 0, v13, s0
	v_cmp_le_u32_e32 vcc_lo, s56, v25
	v_cndmask_b32_e64 v24, 0, -1, vcc_lo
	v_cmp_le_u32_e32 vcc_lo, s57, v13
	v_cndmask_b32_e64 v25, 0, -1, vcc_lo
	;; [unrolled: 2-line block ×4, first 2 shown]
	v_cmp_eq_u32_e32 vcc_lo, s57, v13
	v_cndmask_b32_e32 v13, v25, v24, vcc_lo
	v_add_co_u32 v24, vcc_lo, v17, 1
	v_add_co_ci_u32_e64 v25, null, 0, v18, vcc_lo
	v_cmp_eq_u32_e32 vcc_lo, s57, v14
	v_xor_b32_e32 v14, s54, v23
	v_cndmask_b32_e32 v2, v26, v2, vcc_lo
	v_cmp_ne_u32_e32 vcc_lo, 0, v13
	v_cmp_ne_u32_e64 s0, 0, v2
	v_cndmask_b32_e32 v2, v24, v21, vcc_lo
	v_cndmask_b32_e32 v13, v25, v22, vcc_lo
                                        ; implicit-def: $vgpr21
	v_cndmask_b32_e64 v2, v17, v2, s0
	v_cndmask_b32_e64 v13, v18, v13, s0
	v_xor_b32_e32 v2, v2, v14
	v_xor_b32_e32 v17, v13, v14
	v_sub_co_u32 v13, vcc_lo, v2, v14
	v_sub_co_ci_u32_e64 v14, null, v17, v14, vcc_lo
                                        ; implicit-def: $vgpr17
.LBB51_25:                              ;   in Loop: Header=BB51_3 Depth=1
	s_andn2_saveexec_b32 s0, s53
	s_cbranch_execz .LBB51_27
; %bb.26:                               ;   in Loop: Header=BB51_3 Depth=1
	v_rcp_iflag_f32_e32 v2, v21
	s_sub_i32 s53, 0, s46
	v_mul_f32_e32 v2, 0x4f7ffffe, v2
	v_cvt_u32_f32_e32 v2, v2
	v_mul_lo_u32 v13, s53, v2
	v_mul_hi_u32 v13, v2, v13
	v_add_nc_u32_e32 v2, v2, v13
	v_mul_hi_u32 v2, v17, v2
	v_mul_lo_u32 v13, v2, s46
	v_add_nc_u32_e32 v14, 1, v2
	v_sub_nc_u32_e32 v13, v17, v13
	v_subrev_nc_u32_e32 v17, s46, v13
	v_cmp_le_u32_e32 vcc_lo, s46, v13
	v_cndmask_b32_e32 v13, v13, v17, vcc_lo
	v_cndmask_b32_e32 v2, v2, v14, vcc_lo
	v_cmp_le_u32_e32 vcc_lo, s46, v13
	v_add_nc_u32_e32 v14, 1, v2
	v_cndmask_b32_e32 v13, v2, v14, vcc_lo
	v_mov_b32_e32 v14, v1
.LBB51_27:                              ;   in Loop: Header=BB51_3 Depth=1
	s_or_b32 exec_lo, exec_lo, s0
	v_mul_lo_u32 v2, v14, s46
	v_mul_lo_u32 v21, v13, s47
	v_mad_u64_u32 v[17:18], null, v13, s46, 0
	s_mov_b32 s0, exec_lo
	v_add3_u32 v2, v18, v21, v2
	v_sub_co_u32 v11, vcc_lo, v11, v17
	v_mul_lo_u32 v18, v14, s4
	v_mul_lo_u32 v17, v13, s5
	v_sub_co_ci_u32_e64 v2, null, v12, v2, vcc_lo
	v_add_co_u32 v14, vcc_lo, v3, v11
	v_mad_u64_u32 v[11:12], null, v13, s4, 0
	v_add_co_ci_u32_e64 v2, null, v4, v2, vcc_lo
	v_mul_lo_u32 v21, v14, s7
	v_mad_u64_u32 v[13:14], null, v14, s6, 0
	v_mul_lo_u32 v2, v2, s6
	v_add3_u32 v12, v12, v17, v18
	v_lshlrev_b64 v[11:12], 3, v[11:12]
	v_add3_u32 v14, v14, v21, v2
	v_add_co_u32 v2, vcc_lo, s44, v11
	v_lshlrev_b64 v[13:14], 3, v[13:14]
	v_add_co_ci_u32_e64 v12, null, s45, v12, vcc_lo
	v_add_co_u32 v11, vcc_lo, v2, v13
	v_add_co_ci_u32_e64 v12, null, v12, v14, vcc_lo
	v_or_b32_e32 v2, s39, v4
	global_load_dwordx2 v[21:22], v[11:12], off
                                        ; implicit-def: $vgpr11_vgpr12
	v_cmpx_ne_u64_e32 0, v[1:2]
	s_xor_b32 s53, exec_lo, s0
	s_cbranch_execz .LBB51_29
; %bb.28:                               ;   in Loop: Header=BB51_3 Depth=1
	s_ashr_i32 s54, s39, 31
	v_add_co_u32 v12, vcc_lo, v3, v29
	s_add_u32 s56, s38, s54
	s_mov_b32 s55, s54
	s_addc_u32 s57, s39, s54
	v_add_co_ci_u32_e64 v13, null, v4, v29, vcc_lo
	s_xor_b64 s[56:57], s[56:57], s[54:55]
	v_cvt_f32_u32_e32 v2, s56
	v_cvt_f32_u32_e32 v11, s57
	s_sub_u32 s62, 0, s56
	s_subb_u32 s63, 0, s57
	v_xor_b32_e32 v23, v13, v29
	v_fmac_f32_e32 v2, 0x4f800000, v11
	v_rcp_f32_e32 v2, v2
	v_mul_f32_e32 v2, 0x5f7ffffc, v2
	v_mul_f32_e32 v11, 0x2f800000, v2
	v_trunc_f32_e32 v11, v11
	v_fmac_f32_e32 v2, 0xcf800000, v11
	v_cvt_u32_f32_e32 v11, v11
	v_cvt_u32_f32_e32 v2, v2
	v_readfirstlane_b32 s0, v11
	v_readfirstlane_b32 s55, v2
	s_mul_i32 s64, s62, s0
	v_xor_b32_e32 v2, v12, v29
	s_mul_hi_u32 s66, s62, s55
	s_mul_i32 s65, s63, s55
	s_add_i32 s64, s66, s64
	s_mul_i32 s67, s62, s55
	s_add_i32 s64, s64, s65
	s_mul_hi_u32 s66, s55, s67
	s_mul_i32 s69, s55, s64
	s_mul_hi_u32 s68, s0, s67
	s_mul_i32 s65, s0, s67
	s_mul_hi_u32 s67, s55, s64
	s_add_u32 s66, s66, s69
	s_addc_u32 s67, 0, s67
	s_mul_hi_u32 s70, s0, s64
	s_add_u32 s65, s66, s65
	s_mul_i32 s64, s0, s64
	s_addc_u32 s65, s67, s68
	s_addc_u32 s66, s70, 0
	s_add_u32 s64, s65, s64
	s_addc_u32 s65, 0, s66
	s_add_u32 s55, s55, s64
	s_cselect_b32 s64, -1, 0
	s_mul_hi_u32 s66, s62, s55
	s_cmp_lg_u32 s64, 0
	s_mul_i32 s64, s62, s55
	s_addc_u32 s0, s0, s65
	s_mul_i32 s63, s63, s55
	s_mul_i32 s62, s62, s0
	s_mul_hi_u32 s65, s55, s64
	s_add_i32 s62, s66, s62
	s_mul_hi_u32 s66, s0, s64
	s_add_i32 s62, s62, s63
	s_mul_i32 s63, s0, s64
	s_mul_i32 s68, s55, s62
	s_mul_hi_u32 s67, s55, s62
	s_add_u32 s65, s65, s68
	s_addc_u32 s67, 0, s67
	s_mul_hi_u32 s64, s0, s62
	s_add_u32 s63, s65, s63
	s_mul_i32 s62, s0, s62
	s_addc_u32 s63, s67, s66
	s_addc_u32 s64, s64, 0
	s_add_u32 s62, s63, s62
	s_addc_u32 s63, 0, s64
	s_add_u32 s55, s55, s62
	s_cselect_b32 s62, -1, 0
	v_mul_hi_u32 v24, v2, s55
	s_cmp_lg_u32 s62, 0
	v_mad_u64_u32 v[13:14], null, v23, s55, 0
	s_addc_u32 s0, s0, s63
	v_mad_u64_u32 v[11:12], null, v2, s0, 0
	v_mad_u64_u32 v[17:18], null, v23, s0, 0
	v_add_co_u32 v11, vcc_lo, v24, v11
	v_add_co_ci_u32_e64 v12, null, 0, v12, vcc_lo
	v_add_co_u32 v11, vcc_lo, v11, v13
	v_add_co_ci_u32_e32 v11, vcc_lo, v12, v14, vcc_lo
	v_add_co_ci_u32_e32 v12, vcc_lo, 0, v18, vcc_lo
	v_add_co_u32 v13, vcc_lo, v11, v17
	v_add_co_ci_u32_e64 v14, null, 0, v12, vcc_lo
	v_mul_lo_u32 v17, s57, v13
	v_mad_u64_u32 v[11:12], null, s56, v13, 0
	v_mul_lo_u32 v18, s56, v14
	v_sub_co_u32 v2, vcc_lo, v2, v11
	v_add3_u32 v12, v12, v18, v17
	v_sub_nc_u32_e32 v17, v23, v12
	v_sub_co_ci_u32_e64 v12, null, v23, v12, vcc_lo
	v_subrev_co_ci_u32_e64 v11, null, s57, v17, vcc_lo
	v_add_co_u32 v17, s0, v13, 2
	v_add_co_ci_u32_e64 v18, null, 0, v14, s0
	v_sub_co_u32 v24, s0, v2, s56
	v_subrev_co_ci_u32_e64 v11, null, 0, v11, s0
	v_cmp_le_u32_e32 vcc_lo, s56, v24
	v_cndmask_b32_e64 v23, 0, -1, vcc_lo
	v_cmp_le_u32_e32 vcc_lo, s57, v11
	v_cndmask_b32_e64 v24, 0, -1, vcc_lo
	;; [unrolled: 2-line block ×4, first 2 shown]
	v_cmp_eq_u32_e32 vcc_lo, s57, v11
	v_cndmask_b32_e32 v11, v24, v23, vcc_lo
	v_add_co_u32 v23, vcc_lo, v13, 1
	v_add_co_ci_u32_e64 v24, null, 0, v14, vcc_lo
	v_cmp_eq_u32_e32 vcc_lo, s57, v12
	v_xor_b32_e32 v12, s54, v29
	v_cndmask_b32_e32 v2, v25, v2, vcc_lo
	v_cmp_ne_u32_e32 vcc_lo, 0, v11
	v_cmp_ne_u32_e64 s0, 0, v2
	v_cndmask_b32_e32 v2, v23, v17, vcc_lo
	v_cndmask_b32_e32 v11, v24, v18, vcc_lo
	v_cndmask_b32_e64 v2, v13, v2, s0
	v_cndmask_b32_e64 v11, v14, v11, s0
	v_xor_b32_e32 v2, v2, v12
	v_xor_b32_e32 v13, v11, v12
	v_sub_co_u32 v11, vcc_lo, v2, v12
	v_sub_co_ci_u32_e64 v12, null, v13, v12, vcc_lo
.LBB51_29:                              ;   in Loop: Header=BB51_3 Depth=1
	s_andn2_saveexec_b32 s0, s53
	s_cbranch_execz .LBB51_31
; %bb.30:                               ;   in Loop: Header=BB51_3 Depth=1
	v_cvt_f32_u32_e32 v2, s38
	s_sub_i32 s53, 0, s38
	v_rcp_iflag_f32_e32 v2, v2
	v_mul_f32_e32 v2, 0x4f7ffffe, v2
	v_cvt_u32_f32_e32 v2, v2
	v_mul_lo_u32 v11, s53, v2
	v_mul_hi_u32 v11, v2, v11
	v_add_nc_u32_e32 v2, v2, v11
	v_mul_hi_u32 v2, v3, v2
	v_mul_lo_u32 v11, v2, s38
	v_add_nc_u32_e32 v12, 1, v2
	v_sub_nc_u32_e32 v11, v3, v11
	v_subrev_nc_u32_e32 v13, s38, v11
	v_cmp_le_u32_e32 vcc_lo, s38, v11
	v_cndmask_b32_e32 v11, v11, v13, vcc_lo
	v_cndmask_b32_e32 v2, v2, v12, vcc_lo
	v_cmp_le_u32_e32 vcc_lo, s38, v11
	v_add_nc_u32_e32 v12, 1, v2
	v_cndmask_b32_e32 v11, v2, v12, vcc_lo
	v_mov_b32_e32 v12, v1
.LBB51_31:                              ;   in Loop: Header=BB51_3 Depth=1
	s_or_b32 exec_lo, exec_lo, s0
	v_mad_u64_u32 v[13:14], null, s58, v11, v[3:4]
	v_mul_lo_u32 v2, s58, v12
	v_mul_lo_u32 v17, s59, v11
	;; [unrolled: 1-line block ×4, first 2 shown]
	v_mad_u64_u32 v[11:12], null, v11, s20, 0
                                        ; implicit-def: $vgpr27_vgpr28
	s_mov_b32 s0, exec_lo
	v_add3_u32 v2, v17, v14, v2
	v_mul_lo_u32 v17, v13, s23
	v_mad_u64_u32 v[13:14], null, v13, s22, 0
	v_add3_u32 v12, v12, v23, v18
	v_mul_lo_u32 v2, v2, s22
	v_lshlrev_b64 v[11:12], 3, v[11:12]
	v_add3_u32 v14, v14, v17, v2
	v_mad_u64_u32 v[17:18], null, s50, v9, 0
	v_add_co_u32 v2, vcc_lo, s36, v11
	v_lshlrev_b64 v[13:14], 3, v[13:14]
	v_add_co_ci_u32_e64 v12, null, s37, v12, vcc_lo
	v_add_co_u32 v11, vcc_lo, v2, v13
	v_add_co_ci_u32_e64 v12, null, v12, v14, vcc_lo
	v_mul_lo_u32 v2, s51, v9
	v_mul_lo_u32 v13, s50, v10
	v_add_co_u32 v32, vcc_lo, v3, v17
	global_load_dwordx2 v[11:12], v[11:12], off
	v_add3_u32 v18, v18, v13, v2
	v_add_co_ci_u32_e64 v34, null, v4, v18, vcc_lo
	v_or_b32_e32 v2, s29, v34
	v_ashrrev_i32_e32 v30, 31, v34
	v_cmpx_ne_u64_e32 0, v[1:2]
	s_xor_b32 s53, exec_lo, s0
	s_cbranch_execz .LBB51_33
; %bb.32:                               ;   in Loop: Header=BB51_3 Depth=1
	s_ashr_i32 s54, s29, 31
	v_add_co_u32 v14, vcc_lo, v32, v30
	s_add_u32 s56, s28, s54
	s_mov_b32 s55, s54
	s_addc_u32 s57, s29, s54
	v_add_co_ci_u32_e64 v23, null, v34, v30, vcc_lo
	s_xor_b64 s[56:57], s[56:57], s[54:55]
	v_cvt_f32_u32_e32 v2, s56
	v_cvt_f32_u32_e32 v13, s57
	s_sub_u32 s62, 0, s56
	s_subb_u32 s63, 0, s57
	v_xor_b32_e32 v27, v23, v30
	v_fmac_f32_e32 v2, 0x4f800000, v13
	v_rcp_f32_e32 v2, v2
	v_mul_f32_e32 v2, 0x5f7ffffc, v2
	v_mul_f32_e32 v13, 0x2f800000, v2
	v_trunc_f32_e32 v13, v13
	v_fmac_f32_e32 v2, 0xcf800000, v13
	v_cvt_u32_f32_e32 v13, v13
	v_cvt_u32_f32_e32 v2, v2
	v_readfirstlane_b32 s0, v13
	v_readfirstlane_b32 s55, v2
	s_mul_i32 s64, s62, s0
	v_xor_b32_e32 v2, v14, v30
	s_mul_hi_u32 s66, s62, s55
	s_mul_i32 s65, s63, s55
	s_add_i32 s64, s66, s64
	s_mul_i32 s67, s62, s55
	s_add_i32 s64, s64, s65
	s_mul_hi_u32 s66, s55, s67
	s_mul_i32 s69, s55, s64
	s_mul_hi_u32 s68, s0, s67
	s_mul_i32 s65, s0, s67
	s_mul_hi_u32 s67, s55, s64
	s_add_u32 s66, s66, s69
	s_addc_u32 s67, 0, s67
	s_mul_hi_u32 s70, s0, s64
	s_add_u32 s65, s66, s65
	s_mul_i32 s64, s0, s64
	s_addc_u32 s65, s67, s68
	s_addc_u32 s66, s70, 0
	s_add_u32 s64, s65, s64
	s_addc_u32 s65, 0, s66
	s_add_u32 s55, s55, s64
	s_cselect_b32 s64, -1, 0
	s_mul_hi_u32 s66, s62, s55
	s_cmp_lg_u32 s64, 0
	s_mul_i32 s64, s62, s55
	s_addc_u32 s0, s0, s65
	s_mul_i32 s63, s63, s55
	s_mul_i32 s62, s62, s0
	s_mul_hi_u32 s65, s55, s64
	s_add_i32 s62, s66, s62
	s_mul_hi_u32 s66, s0, s64
	s_add_i32 s62, s62, s63
	s_mul_i32 s63, s0, s64
	s_mul_i32 s68, s55, s62
	s_mul_hi_u32 s67, s55, s62
	s_add_u32 s65, s65, s68
	s_addc_u32 s67, 0, s67
	s_mul_hi_u32 s64, s0, s62
	s_add_u32 s63, s65, s63
	s_mul_i32 s62, s0, s62
	s_addc_u32 s63, s67, s66
	s_addc_u32 s64, s64, 0
	s_add_u32 s62, s63, s62
	s_addc_u32 s63, 0, s64
	s_add_u32 s55, s55, s62
	s_cselect_b32 s62, -1, 0
	v_mul_hi_u32 v28, v2, s55
	s_cmp_lg_u32 s62, 0
	v_mad_u64_u32 v[23:24], null, v27, s55, 0
	s_addc_u32 s0, s0, s63
	v_mad_u64_u32 v[13:14], null, v2, s0, 0
	v_mad_u64_u32 v[25:26], null, v27, s0, 0
	v_add_co_u32 v13, vcc_lo, v28, v13
	v_add_co_ci_u32_e64 v14, null, 0, v14, vcc_lo
	v_add_co_u32 v13, vcc_lo, v13, v23
	v_add_co_ci_u32_e32 v13, vcc_lo, v14, v24, vcc_lo
	v_add_co_ci_u32_e32 v14, vcc_lo, 0, v26, vcc_lo
	v_add_co_u32 v23, vcc_lo, v13, v25
	v_add_co_ci_u32_e64 v24, null, 0, v14, vcc_lo
	v_mul_lo_u32 v25, s57, v23
	v_mad_u64_u32 v[13:14], null, s56, v23, 0
	v_mul_lo_u32 v26, s56, v24
	v_sub_co_u32 v2, vcc_lo, v2, v13
	v_add3_u32 v14, v14, v26, v25
	v_sub_nc_u32_e32 v25, v27, v14
	v_sub_co_ci_u32_e64 v14, null, v27, v14, vcc_lo
	v_subrev_co_ci_u32_e64 v13, null, s57, v25, vcc_lo
	v_add_co_u32 v25, s0, v23, 2
	v_add_co_ci_u32_e64 v26, null, 0, v24, s0
	v_sub_co_u32 v28, s0, v2, s56
	v_subrev_co_ci_u32_e64 v13, null, 0, v13, s0
	v_cmp_le_u32_e32 vcc_lo, s56, v28
	v_cndmask_b32_e64 v27, 0, -1, vcc_lo
	v_cmp_le_u32_e32 vcc_lo, s57, v13
	v_cndmask_b32_e64 v28, 0, -1, vcc_lo
	;; [unrolled: 2-line block ×4, first 2 shown]
	v_cmp_eq_u32_e32 vcc_lo, s57, v13
	v_cndmask_b32_e32 v13, v28, v27, vcc_lo
	v_add_co_u32 v27, vcc_lo, v23, 1
	v_add_co_ci_u32_e64 v28, null, 0, v24, vcc_lo
	v_cmp_eq_u32_e32 vcc_lo, s57, v14
	v_xor_b32_e32 v14, s54, v30
	v_cndmask_b32_e32 v2, v31, v2, vcc_lo
	v_cmp_ne_u32_e32 vcc_lo, 0, v13
	v_cmp_ne_u32_e64 s0, 0, v2
	v_cndmask_b32_e32 v2, v27, v25, vcc_lo
	v_cndmask_b32_e32 v13, v28, v26, vcc_lo
	v_cndmask_b32_e64 v2, v23, v2, s0
	v_cndmask_b32_e64 v13, v24, v13, s0
	v_xor_b32_e32 v2, v2, v14
	v_xor_b32_e32 v13, v13, v14
	v_sub_co_u32 v27, vcc_lo, v2, v14
	v_sub_co_ci_u32_e64 v28, null, v13, v14, vcc_lo
.LBB51_33:                              ;   in Loop: Header=BB51_3 Depth=1
	s_or_saveexec_b32 s0, s53
	v_cvt_f32_u32_e32 v36, s28
	s_xor_b32 exec_lo, exec_lo, s0
	s_cbranch_execz .LBB51_35
; %bb.34:                               ;   in Loop: Header=BB51_3 Depth=1
	v_rcp_iflag_f32_e32 v2, v36
	s_sub_i32 s53, 0, s28
	v_mov_b32_e32 v28, v1
	v_mul_f32_e32 v2, 0x4f7ffffe, v2
	v_cvt_u32_f32_e32 v2, v2
	v_mul_lo_u32 v13, s53, v2
	v_mul_hi_u32 v13, v2, v13
	v_add_nc_u32_e32 v2, v2, v13
	v_mul_hi_u32 v2, v32, v2
	v_mul_lo_u32 v13, v2, s28
	v_add_nc_u32_e32 v14, 1, v2
	v_sub_nc_u32_e32 v13, v32, v13
	v_subrev_nc_u32_e32 v23, s28, v13
	v_cmp_le_u32_e32 vcc_lo, s28, v13
	v_cndmask_b32_e32 v13, v13, v23, vcc_lo
	v_cndmask_b32_e32 v2, v2, v14, vcc_lo
	v_cmp_le_u32_e32 vcc_lo, s28, v13
	v_add_nc_u32_e32 v14, 1, v2
	v_cndmask_b32_e32 v27, v2, v14, vcc_lo
.LBB51_35:                              ;   in Loop: Header=BB51_3 Depth=1
	s_or_b32 exec_lo, exec_lo, s0
	s_waitcnt vmcnt(4)
	v_add_f64 v[23:24], -v[7:8], 1.0
	s_waitcnt vmcnt(3)
	v_fma_f64 v[13:14], -v[15:16], v[15:16], 1.0
	v_mul_lo_u32 v2, v28, s28
	v_mul_lo_u32 v31, v27, s29
	v_mad_u64_u32 v[37:38], null, v27, s28, 0
	v_mul_lo_u32 v35, v28, s12
	v_mul_lo_u32 v39, v27, s13
	v_mad_u64_u32 v[27:28], null, v27, s12, 0
	s_mov_b32 s0, exec_lo
	v_add3_u32 v2, v38, v31, v2
	v_sub_co_u32 v31, vcc_lo, v17, v37
	v_add3_u32 v28, v28, v39, v35
	v_sub_co_ci_u32_e64 v2, null, v18, v2, vcc_lo
	v_add_co_u32 v31, vcc_lo, v3, v31
	v_lshlrev_b64 v[27:28], 3, v[27:28]
	s_waitcnt vmcnt(0)
	v_mul_f64 v[25:26], v[23:24], v[11:12]
	v_add_co_ci_u32_e64 v2, null, v4, v2, vcc_lo
	v_mul_lo_u32 v33, v31, s15
	v_mad_u64_u32 v[37:38], null, v31, s14, 0
	v_mul_lo_u32 v2, v2, s14
	v_add3_u32 v38, v38, v33, v2
	v_lshlrev_b64 v[37:38], 3, v[37:38]
	v_mul_f64 v[13:14], v[13:14], v[25:26]
	v_add_f64 v[25:26], -v[5:6], 1.0
	v_mul_f64 v[21:22], v[21:22], v[13:14]
	v_mul_f64 v[21:22], v[25:26], v[21:22]
	v_lshlrev_b64 v[25:26], 1, v[9:10]
	v_alignbit_b32 v9, v10, v9, 31
	v_mul_lo_u32 v31, s8, v9
	v_mul_lo_u32 v40, s9, v25
	v_mad_u64_u32 v[9:10], null, s8, v25, s[8:9]
	v_add3_u32 v10, v40, v10, v31
	v_add_co_u32 v33, vcc_lo, v3, v9
	v_add_co_ci_u32_e64 v35, null, v4, v10, vcc_lo
	v_mul_f64 v[21:22], v[5:6], v[21:22]
	v_add_co_u32 v27, vcc_lo, s2, v27
	v_add_co_ci_u32_e64 v28, null, s3, v28, vcc_lo
	v_or_b32_e32 v2, s29, v35
	v_add_co_u32 v27, vcc_lo, v27, v37
	v_add_co_ci_u32_e64 v28, null, v28, v38, vcc_lo
	v_ashrrev_i32_e32 v31, 31, v35
	global_store_dwordx2 v[27:28], v[21:22], off
                                        ; implicit-def: $vgpr27_vgpr28
	v_cmpx_ne_u64_e32 0, v[1:2]
	s_xor_b32 s53, exec_lo, s0
	s_cbranch_execz .LBB51_37
; %bb.36:                               ;   in Loop: Header=BB51_3 Depth=1
	s_ashr_i32 s54, s29, 31
	v_add_co_u32 v28, vcc_lo, v33, v31
	s_add_u32 s56, s28, s54
	s_mov_b32 s55, s54
	s_addc_u32 s57, s29, s54
	v_add_co_ci_u32_e64 v37, null, v35, v31, vcc_lo
	s_xor_b64 s[56:57], s[56:57], s[54:55]
	v_cvt_f32_u32_e32 v2, s56
	v_cvt_f32_u32_e32 v27, s57
	s_sub_u32 s62, 0, s56
	s_subb_u32 s63, 0, s57
	v_xor_b32_e32 v41, v37, v31
	v_fmac_f32_e32 v2, 0x4f800000, v27
	v_rcp_f32_e32 v2, v2
	v_mul_f32_e32 v2, 0x5f7ffffc, v2
	v_mul_f32_e32 v27, 0x2f800000, v2
	v_trunc_f32_e32 v27, v27
	v_fmac_f32_e32 v2, 0xcf800000, v27
	v_cvt_u32_f32_e32 v27, v27
	v_cvt_u32_f32_e32 v2, v2
	v_readfirstlane_b32 s0, v27
	v_readfirstlane_b32 s55, v2
	s_mul_i32 s64, s62, s0
	v_xor_b32_e32 v2, v28, v31
	s_mul_hi_u32 s66, s62, s55
	s_mul_i32 s65, s63, s55
	s_add_i32 s64, s66, s64
	s_mul_i32 s67, s62, s55
	s_add_i32 s64, s64, s65
	s_mul_hi_u32 s66, s55, s67
	s_mul_i32 s69, s55, s64
	s_mul_hi_u32 s68, s0, s67
	s_mul_i32 s65, s0, s67
	s_mul_hi_u32 s67, s55, s64
	s_add_u32 s66, s66, s69
	s_addc_u32 s67, 0, s67
	s_mul_hi_u32 s70, s0, s64
	s_add_u32 s65, s66, s65
	s_mul_i32 s64, s0, s64
	s_addc_u32 s65, s67, s68
	s_addc_u32 s66, s70, 0
	s_add_u32 s64, s65, s64
	s_addc_u32 s65, 0, s66
	s_add_u32 s55, s55, s64
	s_cselect_b32 s64, -1, 0
	s_mul_hi_u32 s66, s62, s55
	s_cmp_lg_u32 s64, 0
	s_mul_i32 s64, s62, s55
	s_addc_u32 s0, s0, s65
	s_mul_i32 s63, s63, s55
	s_mul_i32 s62, s62, s0
	s_mul_hi_u32 s65, s55, s64
	s_add_i32 s62, s66, s62
	s_mul_hi_u32 s66, s0, s64
	s_add_i32 s62, s62, s63
	s_mul_i32 s63, s0, s64
	s_mul_i32 s68, s55, s62
	s_mul_hi_u32 s67, s55, s62
	s_add_u32 s65, s65, s68
	s_addc_u32 s67, 0, s67
	s_mul_hi_u32 s64, s0, s62
	s_add_u32 s63, s65, s63
	s_mul_i32 s62, s0, s62
	s_addc_u32 s63, s67, s66
	s_addc_u32 s64, s64, 0
	s_add_u32 s62, s63, s62
	s_addc_u32 s63, 0, s64
	s_add_u32 s55, s55, s62
	s_cselect_b32 s62, -1, 0
	v_mul_hi_u32 v42, v2, s55
	s_cmp_lg_u32 s62, 0
	v_mad_u64_u32 v[37:38], null, v41, s55, 0
	s_addc_u32 s0, s0, s63
	v_mad_u64_u32 v[27:28], null, v2, s0, 0
	v_mad_u64_u32 v[39:40], null, v41, s0, 0
	v_add_co_u32 v27, vcc_lo, v42, v27
	v_add_co_ci_u32_e64 v28, null, 0, v28, vcc_lo
	v_add_co_u32 v27, vcc_lo, v27, v37
	v_add_co_ci_u32_e32 v27, vcc_lo, v28, v38, vcc_lo
	v_add_co_ci_u32_e32 v28, vcc_lo, 0, v40, vcc_lo
	v_add_co_u32 v37, vcc_lo, v27, v39
	v_add_co_ci_u32_e64 v38, null, 0, v28, vcc_lo
	v_mul_lo_u32 v39, s57, v37
	v_mad_u64_u32 v[27:28], null, s56, v37, 0
	v_mul_lo_u32 v40, s56, v38
	v_sub_co_u32 v2, vcc_lo, v2, v27
	v_add3_u32 v28, v28, v40, v39
	v_sub_nc_u32_e32 v39, v41, v28
	v_sub_co_ci_u32_e64 v28, null, v41, v28, vcc_lo
	v_subrev_co_ci_u32_e64 v27, null, s57, v39, vcc_lo
	v_add_co_u32 v39, s0, v37, 2
	v_add_co_ci_u32_e64 v40, null, 0, v38, s0
	v_sub_co_u32 v42, s0, v2, s56
	v_subrev_co_ci_u32_e64 v27, null, 0, v27, s0
	v_cmp_le_u32_e32 vcc_lo, s56, v42
	v_cndmask_b32_e64 v41, 0, -1, vcc_lo
	v_cmp_le_u32_e32 vcc_lo, s57, v27
	v_cndmask_b32_e64 v42, 0, -1, vcc_lo
	;; [unrolled: 2-line block ×4, first 2 shown]
	v_cmp_eq_u32_e32 vcc_lo, s57, v27
	v_cndmask_b32_e32 v27, v42, v41, vcc_lo
	v_add_co_u32 v41, vcc_lo, v37, 1
	v_add_co_ci_u32_e64 v42, null, 0, v38, vcc_lo
	v_cmp_eq_u32_e32 vcc_lo, s57, v28
	v_xor_b32_e32 v28, s54, v31
	v_cndmask_b32_e32 v2, v43, v2, vcc_lo
	v_cmp_ne_u32_e32 vcc_lo, 0, v27
	v_cmp_ne_u32_e64 s0, 0, v2
	v_cndmask_b32_e32 v2, v41, v39, vcc_lo
	v_cndmask_b32_e32 v27, v42, v40, vcc_lo
	v_cndmask_b32_e64 v2, v37, v2, s0
	v_cndmask_b32_e64 v27, v38, v27, s0
	v_xor_b32_e32 v2, v2, v28
	v_xor_b32_e32 v37, v27, v28
	v_sub_co_u32 v27, vcc_lo, v2, v28
	v_sub_co_ci_u32_e64 v28, null, v37, v28, vcc_lo
.LBB51_37:                              ;   in Loop: Header=BB51_3 Depth=1
	s_andn2_saveexec_b32 s0, s53
	s_cbranch_execz .LBB51_39
; %bb.38:                               ;   in Loop: Header=BB51_3 Depth=1
	v_rcp_iflag_f32_e32 v2, v36
	s_sub_i32 s53, 0, s28
	v_mul_f32_e32 v2, 0x4f7ffffe, v2
	v_cvt_u32_f32_e32 v2, v2
	v_mul_lo_u32 v27, s53, v2
	v_mul_hi_u32 v27, v2, v27
	v_add_nc_u32_e32 v2, v2, v27
	v_mul_hi_u32 v2, v33, v2
	v_mul_lo_u32 v27, v2, s28
	v_add_nc_u32_e32 v28, 1, v2
	v_sub_nc_u32_e32 v27, v33, v27
	v_subrev_nc_u32_e32 v37, s28, v27
	v_cmp_le_u32_e32 vcc_lo, s28, v27
	v_cndmask_b32_e32 v27, v27, v37, vcc_lo
	v_cndmask_b32_e32 v2, v2, v28, vcc_lo
	v_cmp_le_u32_e32 vcc_lo, s28, v27
	v_add_nc_u32_e32 v28, 1, v2
	v_cndmask_b32_e32 v27, v2, v28, vcc_lo
	v_mov_b32_e32 v28, v1
.LBB51_39:                              ;   in Loop: Header=BB51_3 Depth=1
	s_or_b32 exec_lo, exec_lo, s0
	v_add_f64 v[15:16], v[19:20], -v[15:16]
	v_mul_lo_u32 v2, v28, s28
	v_mul_lo_u32 v37, v27, s29
	v_mad_u64_u32 v[19:20], null, v27, s28, 0
	v_mul_lo_u32 v28, v28, s12
	v_mul_lo_u32 v39, v27, s13
	s_mov_b32 s0, exec_lo
	v_add3_u32 v2, v20, v37, v2
	v_sub_co_u32 v19, vcc_lo, v9, v19
	v_sub_co_ci_u32_e64 v2, null, v10, v2, vcc_lo
	v_add_co_u32 v37, vcc_lo, v3, v19
	v_add_co_ci_u32_e64 v2, null, v4, v2, vcc_lo
	v_mul_f64 v[15:16], v[15:16], v[11:12]
	v_mul_lo_u32 v38, v37, s15
	v_mul_lo_u32 v2, v2, s14
	v_mul_f64 v[19:20], v[23:24], v[15:16]
	v_add_co_u32 v15, vcc_lo, v25, 2
	v_mad_u64_u32 v[23:24], null, v27, s12, 0
	v_add_co_ci_u32_e64 v16, null, 0, v26, vcc_lo
	v_mad_u64_u32 v[25:26], null, v37, s14, 0
	v_mul_lo_u32 v27, s9, v15
	v_mul_lo_u32 v37, s8, v16
	v_mad_u64_u32 v[15:16], null, s8, v15, 0
	v_add3_u32 v24, v24, v39, v28
	v_add3_u32 v26, v26, v38, v2
	v_lshlrev_b64 v[23:24], 3, v[23:24]
	v_add3_u32 v16, v16, v37, v27
	v_lshlrev_b64 v[37:38], 3, v[25:26]
	v_add_co_u32 v26, vcc_lo, v3, v15
	v_mul_f64 v[19:20], v[7:8], v[19:20]
	v_add_co_ci_u32_e64 v27, null, v4, v16, vcc_lo
	v_add_co_u32 v23, vcc_lo, s2, v23
	v_add_co_ci_u32_e64 v24, null, s3, v24, vcc_lo
	v_or_b32_e32 v2, s29, v27
	v_add_co_u32 v23, vcc_lo, v23, v37
	v_add_co_ci_u32_e64 v24, null, v24, v38, vcc_lo
	v_ashrrev_i32_e32 v25, 31, v27
	global_store_dwordx2 v[23:24], v[19:20], off
                                        ; implicit-def: $vgpr23_vgpr24
	v_cmpx_ne_u64_e32 0, v[1:2]
	s_xor_b32 s53, exec_lo, s0
	s_cbranch_execz .LBB51_41
; %bb.40:                               ;   in Loop: Header=BB51_3 Depth=1
	s_ashr_i32 s54, s29, 31
	v_add_co_u32 v24, vcc_lo, v26, v25
	s_add_u32 s56, s28, s54
	s_mov_b32 s55, s54
	s_addc_u32 s57, s29, s54
	v_add_co_ci_u32_e64 v28, null, v27, v25, vcc_lo
	s_xor_b64 s[56:57], s[56:57], s[54:55]
	v_cvt_f32_u32_e32 v2, s56
	v_cvt_f32_u32_e32 v23, s57
	s_sub_u32 s62, 0, s56
	s_subb_u32 s63, 0, s57
	v_xor_b32_e32 v28, v28, v25
	v_fmac_f32_e32 v2, 0x4f800000, v23
	v_rcp_f32_e32 v2, v2
	v_mul_f32_e32 v2, 0x5f7ffffc, v2
	v_mul_f32_e32 v23, 0x2f800000, v2
	v_trunc_f32_e32 v23, v23
	v_fmac_f32_e32 v2, 0xcf800000, v23
	v_cvt_u32_f32_e32 v23, v23
	v_cvt_u32_f32_e32 v2, v2
	v_readfirstlane_b32 s0, v23
	v_readfirstlane_b32 s55, v2
	s_mul_i32 s64, s62, s0
	v_xor_b32_e32 v2, v24, v25
	s_mul_hi_u32 s66, s62, s55
	s_mul_i32 s65, s63, s55
	s_add_i32 s64, s66, s64
	s_mul_i32 s67, s62, s55
	s_add_i32 s64, s64, s65
	s_mul_hi_u32 s66, s55, s67
	s_mul_i32 s69, s55, s64
	s_mul_hi_u32 s68, s0, s67
	s_mul_i32 s65, s0, s67
	s_mul_hi_u32 s67, s55, s64
	s_add_u32 s66, s66, s69
	s_addc_u32 s67, 0, s67
	s_mul_hi_u32 s70, s0, s64
	s_add_u32 s65, s66, s65
	s_mul_i32 s64, s0, s64
	s_addc_u32 s65, s67, s68
	s_addc_u32 s66, s70, 0
	s_add_u32 s64, s65, s64
	s_addc_u32 s65, 0, s66
	s_add_u32 s55, s55, s64
	s_cselect_b32 s64, -1, 0
	s_mul_hi_u32 s66, s62, s55
	s_cmp_lg_u32 s64, 0
	s_mul_i32 s64, s62, s55
	s_addc_u32 s0, s0, s65
	s_mul_i32 s63, s63, s55
	s_mul_i32 s62, s62, s0
	s_mul_hi_u32 s65, s55, s64
	s_add_i32 s62, s66, s62
	s_mul_hi_u32 s66, s0, s64
	s_add_i32 s62, s62, s63
	s_mul_i32 s63, s0, s64
	s_mul_i32 s68, s55, s62
	s_mul_hi_u32 s67, s55, s62
	s_add_u32 s65, s65, s68
	s_addc_u32 s67, 0, s67
	s_mul_hi_u32 s64, s0, s62
	s_add_u32 s63, s65, s63
	s_mul_i32 s62, s0, s62
	s_addc_u32 s63, s67, s66
	s_addc_u32 s64, s64, 0
	s_add_u32 s62, s63, s62
	s_addc_u32 s63, 0, s64
	s_add_u32 s55, s55, s62
	s_cselect_b32 s62, -1, 0
	v_mul_hi_u32 v40, v2, s55
	s_cmp_lg_u32 s62, 0
	v_mad_u64_u32 v[36:37], null, v28, s55, 0
	s_addc_u32 s0, s0, s63
	v_mad_u64_u32 v[23:24], null, v2, s0, 0
	v_mad_u64_u32 v[38:39], null, v28, s0, 0
	v_add_co_u32 v23, vcc_lo, v40, v23
	v_add_co_ci_u32_e64 v24, null, 0, v24, vcc_lo
	v_add_co_u32 v23, vcc_lo, v23, v36
	v_add_co_ci_u32_e32 v23, vcc_lo, v24, v37, vcc_lo
	v_add_co_ci_u32_e32 v24, vcc_lo, 0, v39, vcc_lo
	v_add_co_u32 v36, vcc_lo, v23, v38
	v_add_co_ci_u32_e64 v37, null, 0, v24, vcc_lo
	v_mul_lo_u32 v38, s57, v36
	v_mad_u64_u32 v[23:24], null, s56, v36, 0
	v_mul_lo_u32 v39, s56, v37
	v_sub_co_u32 v2, vcc_lo, v2, v23
	v_add3_u32 v24, v24, v39, v38
	v_sub_nc_u32_e32 v38, v28, v24
	v_sub_co_ci_u32_e64 v24, null, v28, v24, vcc_lo
	v_subrev_co_ci_u32_e64 v23, null, s57, v38, vcc_lo
	v_add_co_u32 v38, s0, v36, 2
	v_add_co_ci_u32_e64 v39, null, 0, v37, s0
	v_sub_co_u32 v40, s0, v2, s56
	v_subrev_co_ci_u32_e64 v23, null, 0, v23, s0
	v_cmp_le_u32_e32 vcc_lo, s56, v40
	v_cndmask_b32_e64 v28, 0, -1, vcc_lo
	v_cmp_le_u32_e32 vcc_lo, s57, v23
	v_cndmask_b32_e64 v40, 0, -1, vcc_lo
	;; [unrolled: 2-line block ×4, first 2 shown]
	v_cmp_eq_u32_e32 vcc_lo, s57, v23
	v_cndmask_b32_e32 v23, v40, v28, vcc_lo
	v_add_co_u32 v28, vcc_lo, v36, 1
	v_add_co_ci_u32_e64 v40, null, 0, v37, vcc_lo
	v_cmp_eq_u32_e32 vcc_lo, s57, v24
	v_xor_b32_e32 v24, s54, v25
	v_cndmask_b32_e32 v2, v41, v2, vcc_lo
	v_cmp_ne_u32_e32 vcc_lo, 0, v23
	v_cmp_ne_u32_e64 s0, 0, v2
	v_cndmask_b32_e32 v2, v28, v38, vcc_lo
	v_cndmask_b32_e32 v23, v40, v39, vcc_lo
	v_cndmask_b32_e64 v2, v36, v2, s0
	v_cndmask_b32_e64 v23, v37, v23, s0
                                        ; implicit-def: $vgpr36
	v_xor_b32_e32 v2, v2, v24
	v_xor_b32_e32 v28, v23, v24
	v_sub_co_u32 v23, vcc_lo, v2, v24
	v_sub_co_ci_u32_e64 v24, null, v28, v24, vcc_lo
.LBB51_41:                              ;   in Loop: Header=BB51_3 Depth=1
	s_andn2_saveexec_b32 s0, s53
	s_cbranch_execz .LBB51_43
; %bb.42:                               ;   in Loop: Header=BB51_3 Depth=1
	v_rcp_iflag_f32_e32 v2, v36
	s_sub_i32 s53, 0, s28
	v_mul_f32_e32 v2, 0x4f7ffffe, v2
	v_cvt_u32_f32_e32 v2, v2
	v_mul_lo_u32 v23, s53, v2
	v_mul_hi_u32 v23, v2, v23
	v_add_nc_u32_e32 v2, v2, v23
	v_mul_hi_u32 v2, v26, v2
	v_mul_lo_u32 v23, v2, s28
	v_add_nc_u32_e32 v24, 1, v2
	v_sub_nc_u32_e32 v23, v26, v23
	v_subrev_nc_u32_e32 v28, s28, v23
	v_cmp_le_u32_e32 vcc_lo, s28, v23
	v_cndmask_b32_e32 v23, v23, v28, vcc_lo
	v_cndmask_b32_e32 v2, v2, v24, vcc_lo
	v_cmp_le_u32_e32 vcc_lo, s28, v23
	v_add_nc_u32_e32 v24, 1, v2
	v_cndmask_b32_e32 v23, v2, v24, vcc_lo
	v_mov_b32_e32 v24, v1
.LBB51_43:                              ;   in Loop: Header=BB51_3 Depth=1
	s_or_b32 exec_lo, exec_lo, s0
	v_mul_lo_u32 v2, v24, s28
	v_mul_lo_u32 v28, v23, s29
	v_mad_u64_u32 v[36:37], null, v23, s28, 0
	v_mul_lo_u32 v38, v23, s13
	s_mov_b32 s0, exec_lo
	v_add3_u32 v2, v37, v28, v2
	v_mul_lo_u32 v28, v24, s12
	v_sub_co_u32 v24, vcc_lo, v15, v36
	v_sub_co_ci_u32_e64 v2, null, v16, v2, vcc_lo
	v_add_co_u32 v36, vcc_lo, v3, v24
	v_mad_u64_u32 v[23:24], null, v23, s12, 0
	v_add_co_ci_u32_e64 v2, null, v4, v2, vcc_lo
	v_mul_lo_u32 v39, v36, s15
	v_mad_u64_u32 v[36:37], null, v36, s14, 0
	v_mul_lo_u32 v2, v2, s14
	v_add3_u32 v24, v24, v38, v28
	v_lshlrev_b64 v[23:24], 3, v[23:24]
	v_add3_u32 v37, v37, v39, v2
	v_or_b32_e32 v2, s35, v34
	v_add_co_u32 v23, vcc_lo, s2, v23
	v_lshlrev_b64 v[36:37], 3, v[36:37]
	v_add_co_ci_u32_e64 v24, null, s3, v24, vcc_lo
	v_add_co_u32 v23, vcc_lo, v23, v36
	v_add_co_ci_u32_e64 v24, null, v24, v37, vcc_lo
	global_store_dwordx2 v[23:24], v[13:14], off
                                        ; implicit-def: $vgpr23_vgpr24
	v_cmpx_ne_u64_e32 0, v[1:2]
	s_xor_b32 s53, exec_lo, s0
	s_cbranch_execz .LBB51_45
; %bb.44:                               ;   in Loop: Header=BB51_3 Depth=1
	s_ashr_i32 s54, s35, 31
	v_add_co_u32 v24, vcc_lo, v32, v30
	s_add_u32 s56, s34, s54
	s_mov_b32 s55, s54
	s_addc_u32 s57, s35, s54
	v_add_co_ci_u32_e64 v28, null, v34, v30, vcc_lo
	s_xor_b64 s[56:57], s[56:57], s[54:55]
	v_cvt_f32_u32_e32 v2, s56
	v_cvt_f32_u32_e32 v23, s57
	s_sub_u32 s62, 0, s56
	s_subb_u32 s63, 0, s57
	v_xor_b32_e32 v28, v28, v30
	v_fmac_f32_e32 v2, 0x4f800000, v23
	v_rcp_f32_e32 v2, v2
	v_mul_f32_e32 v2, 0x5f7ffffc, v2
	v_mul_f32_e32 v23, 0x2f800000, v2
	v_trunc_f32_e32 v23, v23
	v_fmac_f32_e32 v2, 0xcf800000, v23
	v_cvt_u32_f32_e32 v23, v23
	v_cvt_u32_f32_e32 v2, v2
	v_readfirstlane_b32 s0, v23
	v_readfirstlane_b32 s55, v2
	s_mul_i32 s64, s62, s0
	v_xor_b32_e32 v2, v24, v30
	s_mul_hi_u32 s66, s62, s55
	s_mul_i32 s65, s63, s55
	s_add_i32 s64, s66, s64
	s_mul_i32 s67, s62, s55
	s_add_i32 s64, s64, s65
	s_mul_hi_u32 s66, s55, s67
	s_mul_i32 s69, s55, s64
	s_mul_hi_u32 s68, s0, s67
	s_mul_i32 s65, s0, s67
	s_mul_hi_u32 s67, s55, s64
	s_add_u32 s66, s66, s69
	s_addc_u32 s67, 0, s67
	s_mul_hi_u32 s70, s0, s64
	s_add_u32 s65, s66, s65
	s_mul_i32 s64, s0, s64
	s_addc_u32 s65, s67, s68
	s_addc_u32 s66, s70, 0
	s_add_u32 s64, s65, s64
	s_addc_u32 s65, 0, s66
	s_add_u32 s55, s55, s64
	s_cselect_b32 s64, -1, 0
	s_mul_hi_u32 s66, s62, s55
	s_cmp_lg_u32 s64, 0
	s_mul_i32 s64, s62, s55
	s_addc_u32 s0, s0, s65
	s_mul_i32 s63, s63, s55
	s_mul_i32 s62, s62, s0
	s_mul_hi_u32 s65, s55, s64
	s_add_i32 s62, s66, s62
	s_mul_hi_u32 s66, s0, s64
	s_add_i32 s62, s62, s63
	s_mul_i32 s63, s0, s64
	s_mul_i32 s68, s55, s62
	s_mul_hi_u32 s67, s55, s62
	s_add_u32 s65, s65, s68
	s_addc_u32 s67, 0, s67
	s_mul_hi_u32 s64, s0, s62
	s_add_u32 s63, s65, s63
	s_mul_i32 s62, s0, s62
	s_addc_u32 s63, s67, s66
	s_addc_u32 s64, s64, 0
	s_add_u32 s62, s63, s62
	s_addc_u32 s63, 0, s64
	s_add_u32 s55, s55, s62
	s_cselect_b32 s62, -1, 0
	v_mul_hi_u32 v32, v2, s55
	s_cmp_lg_u32 s62, 0
	v_mad_u64_u32 v[36:37], null, v28, s55, 0
	s_addc_u32 s0, s0, s63
	v_mad_u64_u32 v[23:24], null, v2, s0, 0
	v_mad_u64_u32 v[38:39], null, v28, s0, 0
	v_add_co_u32 v23, vcc_lo, v32, v23
	v_add_co_ci_u32_e64 v24, null, 0, v24, vcc_lo
	v_add_co_u32 v23, vcc_lo, v23, v36
	v_add_co_ci_u32_e32 v23, vcc_lo, v24, v37, vcc_lo
	v_add_co_ci_u32_e32 v24, vcc_lo, 0, v39, vcc_lo
	v_add_co_u32 v32, vcc_lo, v23, v38
	v_add_co_ci_u32_e64 v34, null, 0, v24, vcc_lo
	v_mul_lo_u32 v36, s57, v32
	v_mad_u64_u32 v[23:24], null, s56, v32, 0
	v_mul_lo_u32 v37, s56, v34
	v_sub_co_u32 v2, vcc_lo, v2, v23
	v_add3_u32 v24, v24, v37, v36
	v_sub_nc_u32_e32 v36, v28, v24
	v_sub_co_ci_u32_e64 v24, null, v28, v24, vcc_lo
	v_subrev_co_ci_u32_e64 v23, null, s57, v36, vcc_lo
	v_add_co_u32 v36, s0, v32, 2
	v_add_co_ci_u32_e64 v37, null, 0, v34, s0
	v_sub_co_u32 v38, s0, v2, s56
	v_subrev_co_ci_u32_e64 v23, null, 0, v23, s0
	v_cmp_le_u32_e32 vcc_lo, s56, v38
	v_cndmask_b32_e64 v28, 0, -1, vcc_lo
	v_cmp_le_u32_e32 vcc_lo, s57, v23
	v_cndmask_b32_e64 v38, 0, -1, vcc_lo
	;; [unrolled: 2-line block ×4, first 2 shown]
	v_cmp_eq_u32_e32 vcc_lo, s57, v23
	v_cndmask_b32_e32 v23, v38, v28, vcc_lo
	v_add_co_u32 v28, vcc_lo, v32, 1
	v_add_co_ci_u32_e64 v38, null, 0, v34, vcc_lo
	v_cmp_eq_u32_e32 vcc_lo, s57, v24
	v_xor_b32_e32 v24, s54, v30
	v_cndmask_b32_e32 v2, v39, v2, vcc_lo
	v_cmp_ne_u32_e32 vcc_lo, 0, v23
	v_cmp_ne_u32_e64 s0, 0, v2
	v_cndmask_b32_e32 v2, v28, v36, vcc_lo
	v_cndmask_b32_e32 v23, v38, v37, vcc_lo
	v_cndmask_b32_e64 v2, v32, v2, s0
	v_cndmask_b32_e64 v23, v34, v23, s0
                                        ; implicit-def: $vgpr32
	v_xor_b32_e32 v2, v2, v24
	v_xor_b32_e32 v28, v23, v24
	v_sub_co_u32 v23, vcc_lo, v2, v24
	v_sub_co_ci_u32_e64 v24, null, v28, v24, vcc_lo
.LBB51_45:                              ;   in Loop: Header=BB51_3 Depth=1
	s_or_saveexec_b32 s0, s53
	v_cvt_f32_u32_e32 v28, s34
	s_xor_b32 exec_lo, exec_lo, s0
	s_cbranch_execz .LBB51_47
; %bb.46:                               ;   in Loop: Header=BB51_3 Depth=1
	v_rcp_iflag_f32_e32 v2, v28
	s_sub_i32 s53, 0, s34
	v_mul_f32_e32 v2, 0x4f7ffffe, v2
	v_cvt_u32_f32_e32 v2, v2
	v_mul_lo_u32 v23, s53, v2
	v_mul_hi_u32 v23, v2, v23
	v_add_nc_u32_e32 v2, v2, v23
	v_mul_hi_u32 v2, v32, v2
	v_mul_lo_u32 v23, v2, s34
	v_add_nc_u32_e32 v24, 1, v2
	v_sub_nc_u32_e32 v23, v32, v23
	v_subrev_nc_u32_e32 v30, s34, v23
	v_cmp_le_u32_e32 vcc_lo, s34, v23
	v_cndmask_b32_e32 v23, v23, v30, vcc_lo
	v_cndmask_b32_e32 v2, v2, v24, vcc_lo
	v_cmp_le_u32_e32 vcc_lo, s34, v23
	v_add_nc_u32_e32 v24, 1, v2
	v_cndmask_b32_e32 v23, v2, v24, vcc_lo
	v_mov_b32_e32 v24, v1
.LBB51_47:                              ;   in Loop: Header=BB51_3 Depth=1
	s_or_b32 exec_lo, exec_lo, s0
	v_mul_lo_u32 v2, v24, s34
	v_mul_lo_u32 v30, v23, s35
	v_mad_u64_u32 v[36:37], null, v23, s34, 0
	v_mul_lo_u32 v32, v23, s17
	s_mov_b32 s0, exec_lo
	v_add3_u32 v2, v37, v30, v2
	v_sub_co_u32 v17, vcc_lo, v17, v36
	v_mul_lo_u32 v30, v24, s16
	v_sub_co_ci_u32_e64 v2, null, v18, v2, vcc_lo
	v_add_co_u32 v24, vcc_lo, v3, v17
	v_mad_u64_u32 v[17:18], null, v23, s16, 0
	v_add_co_ci_u32_e64 v2, null, v4, v2, vcc_lo
	v_mul_lo_u32 v34, v24, s19
	v_mad_u64_u32 v[23:24], null, v24, s18, 0
	v_mul_lo_u32 v2, v2, s18
	v_add3_u32 v18, v18, v32, v30
	v_lshlrev_b64 v[17:18], 3, v[17:18]
	v_add3_u32 v24, v24, v34, v2
	v_or_b32_e32 v2, s35, v35
	v_add_co_u32 v17, vcc_lo, s30, v17
	v_lshlrev_b64 v[23:24], 3, v[23:24]
	v_add_co_ci_u32_e64 v18, null, s31, v18, vcc_lo
	v_add_co_u32 v17, vcc_lo, v17, v23
	v_add_co_ci_u32_e64 v18, null, v18, v24, vcc_lo
	global_store_dwordx2 v[17:18], v[21:22], off
                                        ; implicit-def: $vgpr17_vgpr18
	v_cmpx_ne_u64_e32 0, v[1:2]
	s_xor_b32 s53, exec_lo, s0
	s_cbranch_execz .LBB51_49
; %bb.48:                               ;   in Loop: Header=BB51_3 Depth=1
	s_ashr_i32 s54, s35, 31
	v_add_co_u32 v18, vcc_lo, v33, v31
	s_add_u32 s56, s34, s54
	s_mov_b32 s55, s54
	s_addc_u32 s57, s35, s54
	v_add_co_ci_u32_e64 v21, null, v35, v31, vcc_lo
	s_xor_b64 s[56:57], s[56:57], s[54:55]
	v_cvt_f32_u32_e32 v2, s56
	v_cvt_f32_u32_e32 v17, s57
	s_sub_u32 s62, 0, s56
	s_subb_u32 s63, 0, s57
	v_xor_b32_e32 v30, v21, v31
	v_fmac_f32_e32 v2, 0x4f800000, v17
	v_rcp_f32_e32 v2, v2
	v_mul_f32_e32 v2, 0x5f7ffffc, v2
	v_mul_f32_e32 v17, 0x2f800000, v2
	v_trunc_f32_e32 v17, v17
	v_fmac_f32_e32 v2, 0xcf800000, v17
	v_cvt_u32_f32_e32 v17, v17
	v_cvt_u32_f32_e32 v2, v2
	v_readfirstlane_b32 s0, v17
	v_readfirstlane_b32 s55, v2
	s_mul_i32 s64, s62, s0
	v_xor_b32_e32 v2, v18, v31
	s_mul_hi_u32 s66, s62, s55
	s_mul_i32 s65, s63, s55
	s_add_i32 s64, s66, s64
	s_mul_i32 s67, s62, s55
	s_add_i32 s64, s64, s65
	s_mul_hi_u32 s66, s55, s67
	s_mul_i32 s69, s55, s64
	s_mul_hi_u32 s68, s0, s67
	s_mul_i32 s65, s0, s67
	s_mul_hi_u32 s67, s55, s64
	s_add_u32 s66, s66, s69
	s_addc_u32 s67, 0, s67
	s_mul_hi_u32 s70, s0, s64
	s_add_u32 s65, s66, s65
	s_mul_i32 s64, s0, s64
	s_addc_u32 s65, s67, s68
	s_addc_u32 s66, s70, 0
	s_add_u32 s64, s65, s64
	s_addc_u32 s65, 0, s66
	s_add_u32 s55, s55, s64
	s_cselect_b32 s64, -1, 0
	s_mul_hi_u32 s66, s62, s55
	s_cmp_lg_u32 s64, 0
	s_mul_i32 s64, s62, s55
	s_addc_u32 s0, s0, s65
	s_mul_i32 s63, s63, s55
	s_mul_i32 s62, s62, s0
	s_mul_hi_u32 s65, s55, s64
	s_add_i32 s62, s66, s62
	s_mul_hi_u32 s66, s0, s64
	s_add_i32 s62, s62, s63
	s_mul_i32 s63, s0, s64
	s_mul_i32 s68, s55, s62
	s_mul_hi_u32 s67, s55, s62
	s_add_u32 s65, s65, s68
	s_addc_u32 s67, 0, s67
	s_mul_hi_u32 s64, s0, s62
	s_add_u32 s63, s65, s63
	s_mul_i32 s62, s0, s62
	s_addc_u32 s63, s67, s66
	s_addc_u32 s64, s64, 0
	s_add_u32 s62, s63, s62
	s_addc_u32 s63, 0, s64
	s_add_u32 s55, s55, s62
	s_cselect_b32 s62, -1, 0
	v_mul_hi_u32 v32, v2, s55
	s_cmp_lg_u32 s62, 0
	v_mad_u64_u32 v[21:22], null, v30, s55, 0
	s_addc_u32 s0, s0, s63
	v_mad_u64_u32 v[17:18], null, v2, s0, 0
	v_mad_u64_u32 v[23:24], null, v30, s0, 0
	v_add_co_u32 v17, vcc_lo, v32, v17
	v_add_co_ci_u32_e64 v18, null, 0, v18, vcc_lo
	v_add_co_u32 v17, vcc_lo, v17, v21
	v_add_co_ci_u32_e32 v17, vcc_lo, v18, v22, vcc_lo
	v_add_co_ci_u32_e32 v18, vcc_lo, 0, v24, vcc_lo
	v_add_co_u32 v21, vcc_lo, v17, v23
	v_add_co_ci_u32_e64 v22, null, 0, v18, vcc_lo
	v_mul_lo_u32 v23, s57, v21
	v_mad_u64_u32 v[17:18], null, s56, v21, 0
	v_mul_lo_u32 v24, s56, v22
	v_sub_co_u32 v2, vcc_lo, v2, v17
	v_add3_u32 v18, v18, v24, v23
	v_sub_nc_u32_e32 v23, v30, v18
	v_sub_co_ci_u32_e64 v18, null, v30, v18, vcc_lo
	v_subrev_co_ci_u32_e64 v17, null, s57, v23, vcc_lo
	v_add_co_u32 v23, s0, v21, 2
	v_add_co_ci_u32_e64 v24, null, 0, v22, s0
	v_sub_co_u32 v32, s0, v2, s56
	v_subrev_co_ci_u32_e64 v17, null, 0, v17, s0
	v_cmp_le_u32_e32 vcc_lo, s56, v32
	v_cndmask_b32_e64 v30, 0, -1, vcc_lo
	v_cmp_le_u32_e32 vcc_lo, s57, v17
	v_cndmask_b32_e64 v32, 0, -1, vcc_lo
	v_cmp_le_u32_e32 vcc_lo, s56, v2
	v_cndmask_b32_e64 v2, 0, -1, vcc_lo
	v_cmp_le_u32_e32 vcc_lo, s57, v18
	v_cndmask_b32_e64 v33, 0, -1, vcc_lo
	v_cmp_eq_u32_e32 vcc_lo, s57, v17
	v_cndmask_b32_e32 v17, v32, v30, vcc_lo
	v_add_co_u32 v30, vcc_lo, v21, 1
	v_add_co_ci_u32_e64 v32, null, 0, v22, vcc_lo
	v_cmp_eq_u32_e32 vcc_lo, s57, v18
	v_xor_b32_e32 v18, s54, v31
	v_cndmask_b32_e32 v2, v33, v2, vcc_lo
	v_cmp_ne_u32_e32 vcc_lo, 0, v17
                                        ; implicit-def: $vgpr33
	v_cmp_ne_u32_e64 s0, 0, v2
	v_cndmask_b32_e32 v2, v30, v23, vcc_lo
	v_cndmask_b32_e32 v17, v32, v24, vcc_lo
	v_cndmask_b32_e64 v2, v21, v2, s0
	v_cndmask_b32_e64 v17, v22, v17, s0
	v_xor_b32_e32 v2, v2, v18
	v_xor_b32_e32 v21, v17, v18
	v_sub_co_u32 v17, vcc_lo, v2, v18
	v_sub_co_ci_u32_e64 v18, null, v21, v18, vcc_lo
.LBB51_49:                              ;   in Loop: Header=BB51_3 Depth=1
	s_andn2_saveexec_b32 s0, s53
	s_cbranch_execz .LBB51_51
; %bb.50:                               ;   in Loop: Header=BB51_3 Depth=1
	v_rcp_iflag_f32_e32 v2, v28
	s_sub_i32 s53, 0, s34
	v_mul_f32_e32 v2, 0x4f7ffffe, v2
	v_cvt_u32_f32_e32 v2, v2
	v_mul_lo_u32 v17, s53, v2
	v_mul_hi_u32 v17, v2, v17
	v_add_nc_u32_e32 v2, v2, v17
	v_mul_hi_u32 v2, v33, v2
	v_mul_lo_u32 v17, v2, s34
	v_add_nc_u32_e32 v18, 1, v2
	v_sub_nc_u32_e32 v17, v33, v17
	v_subrev_nc_u32_e32 v21, s34, v17
	v_cmp_le_u32_e32 vcc_lo, s34, v17
	v_cndmask_b32_e32 v17, v17, v21, vcc_lo
	v_cndmask_b32_e32 v2, v2, v18, vcc_lo
	v_cmp_le_u32_e32 vcc_lo, s34, v17
	v_add_nc_u32_e32 v18, 1, v2
	v_cndmask_b32_e32 v17, v2, v18, vcc_lo
	v_mov_b32_e32 v18, v1
.LBB51_51:                              ;   in Loop: Header=BB51_3 Depth=1
	s_or_b32 exec_lo, exec_lo, s0
	v_mul_lo_u32 v2, v18, s34
	v_mul_lo_u32 v23, v17, s35
	v_mad_u64_u32 v[21:22], null, v17, s34, 0
	s_mov_b32 s0, exec_lo
	v_add3_u32 v2, v22, v23, v2
	v_sub_co_u32 v9, vcc_lo, v9, v21
	v_mul_lo_u32 v22, v18, s16
	v_mul_lo_u32 v21, v17, s17
	v_sub_co_ci_u32_e64 v2, null, v10, v2, vcc_lo
	v_add_co_u32 v18, vcc_lo, v3, v9
	v_mad_u64_u32 v[9:10], null, v17, s16, 0
	v_add_co_ci_u32_e64 v2, null, v4, v2, vcc_lo
	v_mul_lo_u32 v23, v18, s19
	v_mad_u64_u32 v[17:18], null, v18, s18, 0
	v_mul_lo_u32 v2, v2, s18
	v_add3_u32 v10, v10, v21, v22
	v_lshlrev_b64 v[9:10], 3, v[9:10]
	v_add3_u32 v18, v18, v23, v2
	v_or_b32_e32 v2, s35, v27
	v_add_co_u32 v9, vcc_lo, s30, v9
	v_lshlrev_b64 v[17:18], 3, v[17:18]
	v_add_co_ci_u32_e64 v10, null, s31, v10, vcc_lo
	v_add_co_u32 v9, vcc_lo, v9, v17
	v_add_co_ci_u32_e64 v10, null, v10, v18, vcc_lo
	global_store_dwordx2 v[9:10], v[19:20], off
                                        ; implicit-def: $vgpr9_vgpr10
	v_cmpx_ne_u64_e32 0, v[1:2]
	s_xor_b32 s53, exec_lo, s0
	s_cbranch_execz .LBB51_53
; %bb.52:                               ;   in Loop: Header=BB51_3 Depth=1
	s_ashr_i32 s54, s35, 31
	v_add_co_u32 v10, vcc_lo, v26, v25
	s_add_u32 s56, s34, s54
	s_mov_b32 s55, s54
	s_addc_u32 s57, s35, s54
	v_add_co_ci_u32_e64 v17, null, v27, v25, vcc_lo
	s_xor_b64 s[56:57], s[56:57], s[54:55]
                                        ; implicit-def: $vgpr28
                                        ; implicit-def: $vgpr26
	v_cvt_f32_u32_e32 v2, s56
	v_cvt_f32_u32_e32 v9, s57
	s_sub_u32 s62, 0, s56
	s_subb_u32 s63, 0, s57
	v_xor_b32_e32 v21, v17, v25
	v_fmac_f32_e32 v2, 0x4f800000, v9
	v_rcp_f32_e32 v2, v2
	v_mul_f32_e32 v2, 0x5f7ffffc, v2
	v_mul_f32_e32 v9, 0x2f800000, v2
	v_trunc_f32_e32 v9, v9
	v_fmac_f32_e32 v2, 0xcf800000, v9
	v_cvt_u32_f32_e32 v9, v9
	v_cvt_u32_f32_e32 v2, v2
	v_readfirstlane_b32 s0, v9
	v_readfirstlane_b32 s55, v2
	s_mul_i32 s64, s62, s0
	v_xor_b32_e32 v2, v10, v25
	s_mul_hi_u32 s66, s62, s55
	s_mul_i32 s65, s63, s55
	s_add_i32 s64, s66, s64
	s_mul_i32 s67, s62, s55
	s_add_i32 s64, s64, s65
	s_mul_hi_u32 s66, s55, s67
	s_mul_i32 s69, s55, s64
	s_mul_hi_u32 s68, s0, s67
	s_mul_i32 s65, s0, s67
	s_mul_hi_u32 s67, s55, s64
	s_add_u32 s66, s66, s69
	s_addc_u32 s67, 0, s67
	s_mul_hi_u32 s70, s0, s64
	s_add_u32 s65, s66, s65
	s_mul_i32 s64, s0, s64
	s_addc_u32 s65, s67, s68
	s_addc_u32 s66, s70, 0
	s_add_u32 s64, s65, s64
	s_addc_u32 s65, 0, s66
	s_add_u32 s55, s55, s64
	s_cselect_b32 s64, -1, 0
	s_mul_hi_u32 s66, s62, s55
	s_cmp_lg_u32 s64, 0
	s_mul_i32 s64, s62, s55
	s_addc_u32 s0, s0, s65
	s_mul_i32 s63, s63, s55
	s_mul_i32 s62, s62, s0
	s_mul_hi_u32 s65, s55, s64
	s_add_i32 s62, s66, s62
	s_mul_hi_u32 s66, s0, s64
	s_add_i32 s62, s62, s63
	s_mul_i32 s63, s0, s64
	s_mul_i32 s68, s55, s62
	s_mul_hi_u32 s67, s55, s62
	s_add_u32 s65, s65, s68
	s_addc_u32 s67, 0, s67
	s_mul_hi_u32 s64, s0, s62
	s_add_u32 s63, s65, s63
	s_mul_i32 s62, s0, s62
	s_addc_u32 s63, s67, s66
	s_addc_u32 s64, s64, 0
	s_add_u32 s62, s63, s62
	s_addc_u32 s63, 0, s64
	s_add_u32 s55, s55, s62
	s_cselect_b32 s62, -1, 0
	v_mul_hi_u32 v22, v2, s55
	s_cmp_lg_u32 s62, 0
	v_mad_u64_u32 v[17:18], null, v21, s55, 0
	s_addc_u32 s0, s0, s63
	v_mad_u64_u32 v[9:10], null, v2, s0, 0
	v_mad_u64_u32 v[19:20], null, v21, s0, 0
	v_add_co_u32 v9, vcc_lo, v22, v9
	v_add_co_ci_u32_e64 v10, null, 0, v10, vcc_lo
	v_add_co_u32 v9, vcc_lo, v9, v17
	v_add_co_ci_u32_e32 v9, vcc_lo, v10, v18, vcc_lo
	v_add_co_ci_u32_e32 v10, vcc_lo, 0, v20, vcc_lo
	v_add_co_u32 v17, vcc_lo, v9, v19
	v_add_co_ci_u32_e64 v18, null, 0, v10, vcc_lo
	v_mul_lo_u32 v19, s57, v17
	v_mad_u64_u32 v[9:10], null, s56, v17, 0
	v_mul_lo_u32 v20, s56, v18
	v_sub_co_u32 v2, vcc_lo, v2, v9
	v_add3_u32 v10, v10, v20, v19
	v_sub_nc_u32_e32 v19, v21, v10
	v_sub_co_ci_u32_e64 v10, null, v21, v10, vcc_lo
	v_subrev_co_ci_u32_e64 v9, null, s57, v19, vcc_lo
	v_add_co_u32 v19, s0, v17, 2
	v_add_co_ci_u32_e64 v20, null, 0, v18, s0
	v_sub_co_u32 v22, s0, v2, s56
	v_subrev_co_ci_u32_e64 v9, null, 0, v9, s0
	v_cmp_le_u32_e32 vcc_lo, s56, v22
	v_cndmask_b32_e64 v21, 0, -1, vcc_lo
	v_cmp_le_u32_e32 vcc_lo, s57, v9
	v_cndmask_b32_e64 v22, 0, -1, vcc_lo
	;; [unrolled: 2-line block ×4, first 2 shown]
	v_cmp_eq_u32_e32 vcc_lo, s57, v9
	v_cndmask_b32_e32 v9, v22, v21, vcc_lo
	v_add_co_u32 v21, vcc_lo, v17, 1
	v_add_co_ci_u32_e64 v22, null, 0, v18, vcc_lo
	v_cmp_eq_u32_e32 vcc_lo, s57, v10
	v_xor_b32_e32 v10, s54, v25
	v_cndmask_b32_e32 v2, v23, v2, vcc_lo
	v_cmp_ne_u32_e32 vcc_lo, 0, v9
	v_cmp_ne_u32_e64 s0, 0, v2
	v_cndmask_b32_e32 v2, v21, v19, vcc_lo
	v_cndmask_b32_e32 v9, v22, v20, vcc_lo
	v_cndmask_b32_e64 v2, v17, v2, s0
	v_cndmask_b32_e64 v9, v18, v9, s0
	v_xor_b32_e32 v2, v2, v10
	v_xor_b32_e32 v17, v9, v10
	v_sub_co_u32 v9, vcc_lo, v2, v10
	v_sub_co_ci_u32_e64 v10, null, v17, v10, vcc_lo
.LBB51_53:                              ;   in Loop: Header=BB51_3 Depth=1
	s_andn2_saveexec_b32 s0, s53
	s_cbranch_execz .LBB51_55
; %bb.54:                               ;   in Loop: Header=BB51_3 Depth=1
	v_rcp_iflag_f32_e32 v2, v28
	s_sub_i32 s53, 0, s34
	v_mul_f32_e32 v2, 0x4f7ffffe, v2
	v_cvt_u32_f32_e32 v2, v2
	v_mul_lo_u32 v9, s53, v2
	v_mul_hi_u32 v9, v2, v9
	v_add_nc_u32_e32 v2, v2, v9
	v_mul_hi_u32 v2, v26, v2
	v_mul_lo_u32 v9, v2, s34
	v_add_nc_u32_e32 v10, 1, v2
	v_sub_nc_u32_e32 v9, v26, v9
	v_subrev_nc_u32_e32 v17, s34, v9
	v_cmp_le_u32_e32 vcc_lo, s34, v9
	v_cndmask_b32_e32 v9, v9, v17, vcc_lo
	v_cndmask_b32_e32 v2, v2, v10, vcc_lo
	v_cmp_le_u32_e32 vcc_lo, s34, v9
	v_add_nc_u32_e32 v10, 1, v2
	v_cndmask_b32_e32 v9, v2, v10, vcc_lo
	v_mov_b32_e32 v10, v1
.LBB51_55:                              ;   in Loop: Header=BB51_3 Depth=1
	s_or_b32 exec_lo, exec_lo, s0
	v_mul_lo_u32 v2, v10, s34
	v_mul_lo_u32 v19, v9, s35
	v_mad_u64_u32 v[17:18], null, v9, s34, 0
	v_mul_f64 v[5:6], v[5:6], v[13:14]
	s_mov_b32 s0, exec_lo
	v_add3_u32 v2, v18, v19, v2
	v_mul_lo_u32 v18, v10, s16
	v_sub_co_u32 v10, vcc_lo, v15, v17
	v_mul_lo_u32 v17, v9, s17
	v_sub_co_ci_u32_e64 v2, null, v16, v2, vcc_lo
	v_add_co_u32 v15, vcc_lo, v3, v10
	v_mad_u64_u32 v[9:10], null, v9, s16, 0
	v_add_co_ci_u32_e64 v2, null, v4, v2, vcc_lo
	v_mul_lo_u32 v19, v15, s19
	v_mad_u64_u32 v[15:16], null, v15, s18, 0
	v_mul_lo_u32 v2, v2, s18
	v_add3_u32 v10, v10, v17, v18
	v_lshlrev_b64 v[9:10], 3, v[9:10]
	v_add3_u32 v16, v16, v19, v2
	v_or_b32_e32 v2, s43, v4
	v_add_co_u32 v9, vcc_lo, s30, v9
	v_lshlrev_b64 v[13:14], 3, v[15:16]
	v_add_co_ci_u32_e64 v10, null, s31, v10, vcc_lo
	v_add_co_u32 v9, vcc_lo, v9, v13
	v_add_co_ci_u32_e64 v10, null, v10, v14, vcc_lo
	global_store_dwordx2 v[9:10], v[5:6], off
                                        ; implicit-def: $vgpr5_vgpr6
	v_cmpx_ne_u64_e32 0, v[1:2]
	s_xor_b32 s53, exec_lo, s0
	s_cbranch_execz .LBB51_57
; %bb.56:                               ;   in Loop: Header=BB51_3 Depth=1
	s_ashr_i32 s54, s43, 31
	v_add_co_u32 v6, vcc_lo, v3, v29
	s_add_u32 s56, s42, s54
	s_mov_b32 s55, s54
	s_addc_u32 s57, s43, s54
	v_add_co_ci_u32_e64 v9, null, v4, v29, vcc_lo
	s_xor_b64 s[56:57], s[56:57], s[54:55]
	v_cvt_f32_u32_e32 v2, s56
	v_cvt_f32_u32_e32 v5, s57
	s_sub_u32 s62, 0, s56
	s_subb_u32 s63, 0, s57
	v_xor_b32_e32 v15, v9, v29
	v_fmac_f32_e32 v2, 0x4f800000, v5
	v_rcp_f32_e32 v2, v2
	v_mul_f32_e32 v2, 0x5f7ffffc, v2
	v_mul_f32_e32 v5, 0x2f800000, v2
	v_trunc_f32_e32 v5, v5
	v_fmac_f32_e32 v2, 0xcf800000, v5
	v_cvt_u32_f32_e32 v5, v5
	v_cvt_u32_f32_e32 v2, v2
	v_readfirstlane_b32 s0, v5
	v_readfirstlane_b32 s55, v2
	s_mul_i32 s64, s62, s0
	v_xor_b32_e32 v2, v6, v29
	s_mul_hi_u32 s66, s62, s55
	s_mul_i32 s65, s63, s55
	s_add_i32 s64, s66, s64
	s_mul_i32 s67, s62, s55
	s_add_i32 s64, s64, s65
	s_mul_hi_u32 s66, s55, s67
	s_mul_i32 s69, s55, s64
	s_mul_hi_u32 s68, s0, s67
	s_mul_i32 s65, s0, s67
	s_mul_hi_u32 s67, s55, s64
	s_add_u32 s66, s66, s69
	s_addc_u32 s67, 0, s67
	s_mul_hi_u32 s70, s0, s64
	s_add_u32 s65, s66, s65
	s_mul_i32 s64, s0, s64
	s_addc_u32 s65, s67, s68
	s_addc_u32 s66, s70, 0
	s_add_u32 s64, s65, s64
	s_addc_u32 s65, 0, s66
	s_add_u32 s55, s55, s64
	s_cselect_b32 s64, -1, 0
	s_mul_hi_u32 s66, s62, s55
	s_cmp_lg_u32 s64, 0
	s_mul_i32 s64, s62, s55
	s_addc_u32 s0, s0, s65
	s_mul_i32 s63, s63, s55
	s_mul_i32 s62, s62, s0
	s_mul_hi_u32 s65, s55, s64
	s_add_i32 s62, s66, s62
	s_mul_hi_u32 s66, s0, s64
	s_add_i32 s62, s62, s63
	s_mul_i32 s63, s0, s64
	s_mul_i32 s68, s55, s62
	s_mul_hi_u32 s67, s55, s62
	s_add_u32 s65, s65, s68
	s_addc_u32 s67, 0, s67
	s_mul_hi_u32 s64, s0, s62
	s_add_u32 s63, s65, s63
	s_mul_i32 s62, s0, s62
	s_addc_u32 s63, s67, s66
	s_addc_u32 s64, s64, 0
	s_add_u32 s62, s63, s62
	s_addc_u32 s63, 0, s64
	s_add_u32 s55, s55, s62
	s_cselect_b32 s62, -1, 0
	v_mul_hi_u32 v16, v2, s55
	s_cmp_lg_u32 s62, 0
	v_mad_u64_u32 v[9:10], null, v15, s55, 0
	s_addc_u32 s0, s0, s63
	v_mad_u64_u32 v[5:6], null, v2, s0, 0
	v_mad_u64_u32 v[13:14], null, v15, s0, 0
	v_add_co_u32 v5, vcc_lo, v16, v5
	v_add_co_ci_u32_e64 v6, null, 0, v6, vcc_lo
	v_add_co_u32 v5, vcc_lo, v5, v9
	v_add_co_ci_u32_e32 v5, vcc_lo, v6, v10, vcc_lo
	v_add_co_ci_u32_e32 v6, vcc_lo, 0, v14, vcc_lo
	v_add_co_u32 v9, vcc_lo, v5, v13
	v_add_co_ci_u32_e64 v10, null, 0, v6, vcc_lo
	v_mul_lo_u32 v13, s57, v9
	v_mad_u64_u32 v[5:6], null, s56, v9, 0
	v_mul_lo_u32 v14, s56, v10
	v_sub_co_u32 v2, vcc_lo, v2, v5
	v_add3_u32 v6, v6, v14, v13
	v_sub_nc_u32_e32 v13, v15, v6
	v_sub_co_ci_u32_e64 v6, null, v15, v6, vcc_lo
	v_subrev_co_ci_u32_e64 v5, null, s57, v13, vcc_lo
	v_add_co_u32 v13, s0, v9, 2
	v_add_co_ci_u32_e64 v14, null, 0, v10, s0
	v_sub_co_u32 v16, s0, v2, s56
	v_subrev_co_ci_u32_e64 v5, null, 0, v5, s0
	v_cmp_le_u32_e32 vcc_lo, s56, v16
	v_cndmask_b32_e64 v15, 0, -1, vcc_lo
	v_cmp_le_u32_e32 vcc_lo, s57, v5
	v_cndmask_b32_e64 v16, 0, -1, vcc_lo
	;; [unrolled: 2-line block ×4, first 2 shown]
	v_cmp_eq_u32_e32 vcc_lo, s57, v5
	v_cndmask_b32_e32 v5, v16, v15, vcc_lo
	v_add_co_u32 v15, vcc_lo, v9, 1
	v_add_co_ci_u32_e64 v16, null, 0, v10, vcc_lo
	v_cmp_eq_u32_e32 vcc_lo, s57, v6
	v_xor_b32_e32 v6, s54, v29
	v_cndmask_b32_e32 v2, v17, v2, vcc_lo
	v_cmp_ne_u32_e32 vcc_lo, 0, v5
	v_cmp_ne_u32_e64 s0, 0, v2
	v_cndmask_b32_e32 v2, v15, v13, vcc_lo
	v_cndmask_b32_e32 v5, v16, v14, vcc_lo
	v_cndmask_b32_e64 v2, v9, v2, s0
	v_cndmask_b32_e64 v5, v10, v5, s0
	v_xor_b32_e32 v2, v2, v6
	v_xor_b32_e32 v9, v5, v6
	v_sub_co_u32 v5, vcc_lo, v2, v6
	v_sub_co_ci_u32_e64 v6, null, v9, v6, vcc_lo
.LBB51_57:                              ;   in Loop: Header=BB51_3 Depth=1
	s_andn2_saveexec_b32 s0, s53
	s_cbranch_execz .LBB51_2
; %bb.58:                               ;   in Loop: Header=BB51_3 Depth=1
	v_cvt_f32_u32_e32 v2, s42
	s_sub_i32 s53, 0, s42
	v_rcp_iflag_f32_e32 v2, v2
	v_mul_f32_e32 v2, 0x4f7ffffe, v2
	v_cvt_u32_f32_e32 v2, v2
	v_mul_lo_u32 v5, s53, v2
	v_mul_hi_u32 v5, v2, v5
	v_add_nc_u32_e32 v2, v2, v5
	v_mul_hi_u32 v2, v3, v2
	v_mul_lo_u32 v5, v2, s42
	v_add_nc_u32_e32 v6, 1, v2
	v_sub_nc_u32_e32 v5, v3, v5
	v_subrev_nc_u32_e32 v9, s42, v5
	v_cmp_le_u32_e32 vcc_lo, s42, v5
	v_cndmask_b32_e32 v5, v5, v9, vcc_lo
	v_cndmask_b32_e32 v2, v2, v6, vcc_lo
	v_cmp_le_u32_e32 vcc_lo, s42, v5
	v_add_nc_u32_e32 v6, 1, v2
	v_cndmask_b32_e32 v5, v2, v6, vcc_lo
	v_mov_b32_e32 v6, v1
	s_branch .LBB51_2
.LBB51_59:
	s_endpgm
	.section	.rodata,"a",@progbits
	.p2align	6, 0x0
	.amdhsa_kernel _ZN2at6native12_GLOBAL__N_16kernel17gru_cell_backwardIddlLi2EEEvNS_4cuda6detail10TensorInfoIT_T1_EES9_S9_S9_S9_S8_S8_
		.amdhsa_group_segment_fixed_size 0
		.amdhsa_private_segment_fixed_size 0
		.amdhsa_kernarg_size 2352
		.amdhsa_user_sgpr_count 6
		.amdhsa_user_sgpr_private_segment_buffer 1
		.amdhsa_user_sgpr_dispatch_ptr 0
		.amdhsa_user_sgpr_queue_ptr 0
		.amdhsa_user_sgpr_kernarg_segment_ptr 1
		.amdhsa_user_sgpr_dispatch_id 0
		.amdhsa_user_sgpr_flat_scratch_init 0
		.amdhsa_user_sgpr_private_segment_size 0
		.amdhsa_wavefront_size32 1
		.amdhsa_uses_dynamic_stack 0
		.amdhsa_system_sgpr_private_segment_wavefront_offset 0
		.amdhsa_system_sgpr_workgroup_id_x 1
		.amdhsa_system_sgpr_workgroup_id_y 0
		.amdhsa_system_sgpr_workgroup_id_z 0
		.amdhsa_system_sgpr_workgroup_info 0
		.amdhsa_system_vgpr_workitem_id 0
		.amdhsa_next_free_vgpr 44
		.amdhsa_next_free_sgpr 71
		.amdhsa_reserve_vcc 1
		.amdhsa_reserve_flat_scratch 0
		.amdhsa_float_round_mode_32 0
		.amdhsa_float_round_mode_16_64 0
		.amdhsa_float_denorm_mode_32 3
		.amdhsa_float_denorm_mode_16_64 3
		.amdhsa_dx10_clamp 1
		.amdhsa_ieee_mode 1
		.amdhsa_fp16_overflow 0
		.amdhsa_workgroup_processor_mode 1
		.amdhsa_memory_ordered 1
		.amdhsa_forward_progress 1
		.amdhsa_shared_vgpr_count 0
		.amdhsa_exception_fp_ieee_invalid_op 0
		.amdhsa_exception_fp_denorm_src 0
		.amdhsa_exception_fp_ieee_div_zero 0
		.amdhsa_exception_fp_ieee_overflow 0
		.amdhsa_exception_fp_ieee_underflow 0
		.amdhsa_exception_fp_ieee_inexact 0
		.amdhsa_exception_int_div_zero 0
	.end_amdhsa_kernel
	.section	.text._ZN2at6native12_GLOBAL__N_16kernel17gru_cell_backwardIddlLi2EEEvNS_4cuda6detail10TensorInfoIT_T1_EES9_S9_S9_S9_S8_S8_,"axG",@progbits,_ZN2at6native12_GLOBAL__N_16kernel17gru_cell_backwardIddlLi2EEEvNS_4cuda6detail10TensorInfoIT_T1_EES9_S9_S9_S9_S8_S8_,comdat
.Lfunc_end51:
	.size	_ZN2at6native12_GLOBAL__N_16kernel17gru_cell_backwardIddlLi2EEEvNS_4cuda6detail10TensorInfoIT_T1_EES9_S9_S9_S9_S8_S8_, .Lfunc_end51-_ZN2at6native12_GLOBAL__N_16kernel17gru_cell_backwardIddlLi2EEEvNS_4cuda6detail10TensorInfoIT_T1_EES9_S9_S9_S9_S8_S8_
                                        ; -- End function
	.set _ZN2at6native12_GLOBAL__N_16kernel17gru_cell_backwardIddlLi2EEEvNS_4cuda6detail10TensorInfoIT_T1_EES9_S9_S9_S9_S8_S8_.num_vgpr, 44
	.set _ZN2at6native12_GLOBAL__N_16kernel17gru_cell_backwardIddlLi2EEEvNS_4cuda6detail10TensorInfoIT_T1_EES9_S9_S9_S9_S8_S8_.num_agpr, 0
	.set _ZN2at6native12_GLOBAL__N_16kernel17gru_cell_backwardIddlLi2EEEvNS_4cuda6detail10TensorInfoIT_T1_EES9_S9_S9_S9_S8_S8_.numbered_sgpr, 71
	.set _ZN2at6native12_GLOBAL__N_16kernel17gru_cell_backwardIddlLi2EEEvNS_4cuda6detail10TensorInfoIT_T1_EES9_S9_S9_S9_S8_S8_.num_named_barrier, 0
	.set _ZN2at6native12_GLOBAL__N_16kernel17gru_cell_backwardIddlLi2EEEvNS_4cuda6detail10TensorInfoIT_T1_EES9_S9_S9_S9_S8_S8_.private_seg_size, 0
	.set _ZN2at6native12_GLOBAL__N_16kernel17gru_cell_backwardIddlLi2EEEvNS_4cuda6detail10TensorInfoIT_T1_EES9_S9_S9_S9_S8_S8_.uses_vcc, 1
	.set _ZN2at6native12_GLOBAL__N_16kernel17gru_cell_backwardIddlLi2EEEvNS_4cuda6detail10TensorInfoIT_T1_EES9_S9_S9_S9_S8_S8_.uses_flat_scratch, 0
	.set _ZN2at6native12_GLOBAL__N_16kernel17gru_cell_backwardIddlLi2EEEvNS_4cuda6detail10TensorInfoIT_T1_EES9_S9_S9_S9_S8_S8_.has_dyn_sized_stack, 0
	.set _ZN2at6native12_GLOBAL__N_16kernel17gru_cell_backwardIddlLi2EEEvNS_4cuda6detail10TensorInfoIT_T1_EES9_S9_S9_S9_S8_S8_.has_recursion, 0
	.set _ZN2at6native12_GLOBAL__N_16kernel17gru_cell_backwardIddlLi2EEEvNS_4cuda6detail10TensorInfoIT_T1_EES9_S9_S9_S9_S8_S8_.has_indirect_call, 0
	.section	.AMDGPU.csdata,"",@progbits
; Kernel info:
; codeLenInByte = 13824
; TotalNumSgprs: 73
; NumVgprs: 44
; ScratchSize: 0
; MemoryBound: 0
; FloatMode: 240
; IeeeMode: 1
; LDSByteSize: 0 bytes/workgroup (compile time only)
; SGPRBlocks: 0
; VGPRBlocks: 5
; NumSGPRsForWavesPerEU: 73
; NumVGPRsForWavesPerEU: 44
; Occupancy: 16
; WaveLimiterHint : 1
; COMPUTE_PGM_RSRC2:SCRATCH_EN: 0
; COMPUTE_PGM_RSRC2:USER_SGPR: 6
; COMPUTE_PGM_RSRC2:TRAP_HANDLER: 0
; COMPUTE_PGM_RSRC2:TGID_X_EN: 1
; COMPUTE_PGM_RSRC2:TGID_Y_EN: 0
; COMPUTE_PGM_RSRC2:TGID_Z_EN: 0
; COMPUTE_PGM_RSRC2:TIDIG_COMP_CNT: 0
	.section	.text._ZN2at6native12_GLOBAL__N_16kernel17gru_cell_backwardIffiLi1EEEvNS_4cuda6detail10TensorInfoIT_T1_EES9_S9_S9_S9_S8_S8_,"axG",@progbits,_ZN2at6native12_GLOBAL__N_16kernel17gru_cell_backwardIffiLi1EEEvNS_4cuda6detail10TensorInfoIT_T1_EES9_S9_S9_S9_S8_S8_,comdat
	.globl	_ZN2at6native12_GLOBAL__N_16kernel17gru_cell_backwardIffiLi1EEEvNS_4cuda6detail10TensorInfoIT_T1_EES9_S9_S9_S9_S8_S8_ ; -- Begin function _ZN2at6native12_GLOBAL__N_16kernel17gru_cell_backwardIffiLi1EEEvNS_4cuda6detail10TensorInfoIT_T1_EES9_S9_S9_S9_S8_S8_
	.p2align	8
	.type	_ZN2at6native12_GLOBAL__N_16kernel17gru_cell_backwardIffiLi1EEEvNS_4cuda6detail10TensorInfoIT_T1_EES9_S9_S9_S9_S8_S8_,@function
_ZN2at6native12_GLOBAL__N_16kernel17gru_cell_backwardIffiLi1EEEvNS_4cuda6detail10TensorInfoIT_T1_EES9_S9_S9_S9_S8_S8_: ; @_ZN2at6native12_GLOBAL__N_16kernel17gru_cell_backwardIffiLi1EEEvNS_4cuda6detail10TensorInfoIT_T1_EES9_S9_S9_S9_S8_S8_
; %bb.0:
	s_clause 0x1
	s_load_dword s2, s[4:5], 0x44c
	s_load_dwordx2 s[0:1], s[4:5], 0x438
	s_add_u32 s8, s4, 0x440
	s_addc_u32 s9, s5, 0
	s_waitcnt lgkmcnt(0)
	s_and_b32 s18, s2, 0xffff
	s_mov_b32 s2, exec_lo
	v_mad_u64_u32 v[0:1], null, s6, s18, v[0:1]
	v_cmpx_gt_i32_e64 s1, v0
	s_cbranch_execz .LBB52_3
; %bb.1:
	s_abs_i32 s14, s0
	s_clause 0x3
	s_load_dwordx2 s[2:3], s[4:5], 0x1b0
	s_load_dword s21, s[4:5], 0x21c
	s_load_dwordx2 s[6:7], s[4:5], 0x288
	s_load_dword s22, s[4:5], 0x2f4
	s_load_dword s19, s[8:9], 0x0
	v_cvt_f32_u32_e32 v1, s14
	s_sub_i32 s12, 0, s14
	s_clause 0x3
	s_load_dwordx2 s[8:9], s[4:5], 0x0
	s_load_dword s15, s[4:5], 0x6c
	s_load_dwordx2 s[10:11], s[4:5], 0xd8
	s_load_dword s16, s[4:5], 0x144
	s_mov_b32 s17, 0
	s_lshl_b32 s20, s0, 1
	v_rcp_iflag_f32_e32 v1, v1
	v_mul_f32_e32 v1, 0x4f7ffffe, v1
	s_waitcnt lgkmcnt(0)
	v_mul_lo_u32 v3, v0, s22
	s_mul_i32 s18, s19, s18
	v_cvt_u32_f32_e32 v2, v1
	s_lshl_b32 s19, s0, 2
	s_mul_i32 s22, s18, s22
	v_mul_lo_u32 v1, s12, v2
	s_clause 0x1
	s_load_dwordx2 s[12:13], s[4:5], 0x360
	s_load_dword s4, s[4:5], 0x3cc
	s_ashr_i32 s5, s0, 31
	v_mul_hi_u32 v4, v2, v1
	v_mul_lo_u32 v1, v0, s21
	s_mul_i32 s21, s18, s21
	v_add_nc_u32_e32 v5, v2, v4
.LBB52_2:                               ; =>This Inner Loop Header: Depth=1
	v_sub_nc_u32_e32 v4, 0, v0
	v_ashrrev_i32_e32 v6, 31, v0
	v_ashrrev_i32_e32 v2, 31, v1
	v_max_i32_e32 v4, v0, v4
	v_xor_b32_e32 v16, s5, v6
	v_lshlrev_b64 v[6:7], 2, v[1:2]
	v_mul_hi_u32 v2, v4, v5
	v_lshlrev_b32_e32 v8, 2, v16
	v_add_co_u32 v6, vcc_lo, s2, v6
	v_add_co_ci_u32_e64 v7, null, s3, v7, vcc_lo
	global_load_dword v21, v[6:7], off
	v_mul_lo_u32 v6, v2, s14
	v_add_nc_u32_e32 v7, 1, v2
	v_sub_nc_u32_e32 v4, v4, v6
	v_subrev_nc_u32_e32 v6, s14, v4
	v_cmp_le_u32_e32 vcc_lo, s14, v4
	v_cndmask_b32_e32 v2, v2, v7, vcc_lo
	v_cndmask_b32_e32 v4, v4, v6, vcc_lo
	v_add_nc_u32_e32 v6, 1, v2
	v_cmp_le_u32_e32 vcc_lo, s14, v4
	v_cndmask_b32_e32 v2, v2, v6, vcc_lo
	v_xor_b32_e32 v2, v2, v16
	v_lshlrev_b32_e32 v4, 2, v2
	v_sub_nc_u32_e32 v17, v2, v16
	v_lshlrev_b32_e32 v2, 1, v2
	v_sub_nc_u32_e32 v4, v4, v8
	v_mad_u64_u32 v[6:7], null, s19, v17, v[0:1]
	v_or_b32_e32 v7, 1, v4
	v_or_b32_e32 v10, 2, v4
	;; [unrolled: 1-line block ×3, first 2 shown]
	v_add_nc_u32_e32 v4, 4, v4
	s_waitcnt lgkmcnt(0)
	v_mul_lo_u32 v6, v6, s4
	v_mad_u64_u32 v[8:9], null, s0, v7, v[0:1]
	v_mad_u64_u32 v[9:10], null, s0, v10, v[0:1]
	;; [unrolled: 1-line block ×4, first 2 shown]
	v_mul_lo_u32 v8, v8, s4
	v_ashrrev_i32_e32 v7, 31, v6
	v_mul_lo_u32 v12, v9, s4
	v_ashrrev_i32_e32 v4, 31, v3
	v_mul_lo_u32 v10, v10, s4
	v_add_nc_u32_e32 v1, s21, v1
	v_mul_lo_u32 v14, v11, s4
	v_lshlrev_b64 v[6:7], 2, v[6:7]
	v_ashrrev_i32_e32 v9, 31, v8
	v_ashrrev_i32_e32 v13, 31, v12
	;; [unrolled: 1-line block ×3, first 2 shown]
	v_add_co_u32 v6, vcc_lo, s12, v6
	v_lshlrev_b64 v[8:9], 2, v[8:9]
	v_ashrrev_i32_e32 v15, 31, v14
	v_add_co_ci_u32_e64 v7, null, s13, v7, vcc_lo
	v_lshlrev_b64 v[12:13], 2, v[12:13]
	v_lshlrev_b64 v[10:11], 2, v[10:11]
	;; [unrolled: 1-line block ×3, first 2 shown]
	global_load_dword v22, v[6:7], off
	v_add_co_u32 v6, vcc_lo, s12, v8
	v_add_co_ci_u32_e64 v7, null, s13, v9, vcc_lo
	v_add_co_u32 v8, vcc_lo, s12, v12
	v_add_co_ci_u32_e64 v9, null, s13, v13, vcc_lo
	;; [unrolled: 2-line block ×4, first 2 shown]
	s_clause 0x3
	global_load_dword v23, v[6:7], off
	global_load_dword v24, v[8:9], off
	;; [unrolled: 1-line block ×4, first 2 shown]
	v_lshlrev_b64 v[6:7], 2, v[3:4]
	v_lshlrev_b32_e32 v4, 1, v16
	v_mad_u64_u32 v[8:9], null, s20, v17, v[0:1]
	v_add_nc_u32_e32 v3, s22, v3
	v_sub_nc_u32_e32 v2, v2, v4
	v_add_co_u32 v6, vcc_lo, s6, v6
	v_add_co_ci_u32_e64 v7, null, s7, v7, vcc_lo
	v_or_b32_e32 v4, 1, v2
	v_add_nc_u32_e32 v2, 2, v2
	v_mul_lo_u32 v9, v8, s15
	v_mul_lo_u32 v11, v8, s16
	v_mad_u64_u32 v[13:14], null, s0, v4, v[0:1]
	v_mad_u64_u32 v[14:15], null, s0, v2, v[0:1]
	v_add_nc_u32_e32 v0, s18, v0
	v_ashrrev_i32_e32 v10, 31, v9
	v_ashrrev_i32_e32 v12, 31, v11
	v_mul_lo_u32 v8, v13, s15
	v_mul_lo_u32 v13, v13, s16
	;; [unrolled: 1-line block ×4, first 2 shown]
	v_lshlrev_b64 v[19:20], 2, v[9:10]
	v_cmp_le_i32_e32 vcc_lo, s1, v0
	v_lshlrev_b64 v[10:11], 2, v[11:12]
	v_ashrrev_i32_e32 v9, 31, v8
	v_ashrrev_i32_e32 v14, 31, v13
	;; [unrolled: 1-line block ×4, first 2 shown]
	s_or_b32 s17, vcc_lo, s17
	v_lshlrev_b64 v[8:9], 2, v[8:9]
	v_add_co_u32 v19, vcc_lo, s8, v19
	v_lshlrev_b64 v[15:16], 2, v[15:16]
	v_add_co_ci_u32_e64 v20, null, s9, v20, vcc_lo
	v_add_co_u32 v10, vcc_lo, s10, v10
	v_lshlrev_b64 v[12:13], 2, v[13:14]
	v_add_co_ci_u32_e64 v11, null, s11, v11, vcc_lo
	v_lshlrev_b64 v[17:18], 2, v[17:18]
	v_add_co_u32 v8, vcc_lo, s8, v8
	v_add_co_ci_u32_e64 v9, null, s9, v9, vcc_lo
	v_add_co_u32 v14, vcc_lo, s8, v15
	v_add_co_ci_u32_e64 v15, null, s9, v16, vcc_lo
	;; [unrolled: 2-line block ×4, first 2 shown]
	s_waitcnt vmcnt(4)
	v_sub_f32_e32 v2, 1.0, v22
	s_waitcnt vmcnt(3)
	v_sub_f32_e32 v4, 1.0, v23
	s_waitcnt vmcnt(1)
	v_sub_f32_e32 v18, v25, v24
	v_fma_f32 v24, -v24, v24, 1.0
	v_mul_f32_e32 v25, v23, v21
	v_mul_f32_e32 v27, v4, v21
	;; [unrolled: 1-line block ×5, first 2 shown]
	s_waitcnt vmcnt(0)
	v_mul_f32_e32 v18, v26, v21
	v_mul_f32_e32 v4, v23, v4
	;; [unrolled: 1-line block ×5, first 2 shown]
	global_store_dword v[19:20], v2, off
	global_store_dword v[8:9], v4, off
	;; [unrolled: 1-line block ×7, first 2 shown]
	s_andn2_b32 exec_lo, exec_lo, s17
	s_cbranch_execnz .LBB52_2
.LBB52_3:
	s_endpgm
	.section	.rodata,"a",@progbits
	.p2align	6, 0x0
	.amdhsa_kernel _ZN2at6native12_GLOBAL__N_16kernel17gru_cell_backwardIffiLi1EEEvNS_4cuda6detail10TensorInfoIT_T1_EES9_S9_S9_S9_S8_S8_
		.amdhsa_group_segment_fixed_size 0
		.amdhsa_private_segment_fixed_size 0
		.amdhsa_kernarg_size 1344
		.amdhsa_user_sgpr_count 6
		.amdhsa_user_sgpr_private_segment_buffer 1
		.amdhsa_user_sgpr_dispatch_ptr 0
		.amdhsa_user_sgpr_queue_ptr 0
		.amdhsa_user_sgpr_kernarg_segment_ptr 1
		.amdhsa_user_sgpr_dispatch_id 0
		.amdhsa_user_sgpr_flat_scratch_init 0
		.amdhsa_user_sgpr_private_segment_size 0
		.amdhsa_wavefront_size32 1
		.amdhsa_uses_dynamic_stack 0
		.amdhsa_system_sgpr_private_segment_wavefront_offset 0
		.amdhsa_system_sgpr_workgroup_id_x 1
		.amdhsa_system_sgpr_workgroup_id_y 0
		.amdhsa_system_sgpr_workgroup_id_z 0
		.amdhsa_system_sgpr_workgroup_info 0
		.amdhsa_system_vgpr_workitem_id 0
		.amdhsa_next_free_vgpr 28
		.amdhsa_next_free_sgpr 23
		.amdhsa_reserve_vcc 1
		.amdhsa_reserve_flat_scratch 0
		.amdhsa_float_round_mode_32 0
		.amdhsa_float_round_mode_16_64 0
		.amdhsa_float_denorm_mode_32 3
		.amdhsa_float_denorm_mode_16_64 3
		.amdhsa_dx10_clamp 1
		.amdhsa_ieee_mode 1
		.amdhsa_fp16_overflow 0
		.amdhsa_workgroup_processor_mode 1
		.amdhsa_memory_ordered 1
		.amdhsa_forward_progress 1
		.amdhsa_shared_vgpr_count 0
		.amdhsa_exception_fp_ieee_invalid_op 0
		.amdhsa_exception_fp_denorm_src 0
		.amdhsa_exception_fp_ieee_div_zero 0
		.amdhsa_exception_fp_ieee_overflow 0
		.amdhsa_exception_fp_ieee_underflow 0
		.amdhsa_exception_fp_ieee_inexact 0
		.amdhsa_exception_int_div_zero 0
	.end_amdhsa_kernel
	.section	.text._ZN2at6native12_GLOBAL__N_16kernel17gru_cell_backwardIffiLi1EEEvNS_4cuda6detail10TensorInfoIT_T1_EES9_S9_S9_S9_S8_S8_,"axG",@progbits,_ZN2at6native12_GLOBAL__N_16kernel17gru_cell_backwardIffiLi1EEEvNS_4cuda6detail10TensorInfoIT_T1_EES9_S9_S9_S9_S8_S8_,comdat
.Lfunc_end52:
	.size	_ZN2at6native12_GLOBAL__N_16kernel17gru_cell_backwardIffiLi1EEEvNS_4cuda6detail10TensorInfoIT_T1_EES9_S9_S9_S9_S8_S8_, .Lfunc_end52-_ZN2at6native12_GLOBAL__N_16kernel17gru_cell_backwardIffiLi1EEEvNS_4cuda6detail10TensorInfoIT_T1_EES9_S9_S9_S9_S8_S8_
                                        ; -- End function
	.set _ZN2at6native12_GLOBAL__N_16kernel17gru_cell_backwardIffiLi1EEEvNS_4cuda6detail10TensorInfoIT_T1_EES9_S9_S9_S9_S8_S8_.num_vgpr, 28
	.set _ZN2at6native12_GLOBAL__N_16kernel17gru_cell_backwardIffiLi1EEEvNS_4cuda6detail10TensorInfoIT_T1_EES9_S9_S9_S9_S8_S8_.num_agpr, 0
	.set _ZN2at6native12_GLOBAL__N_16kernel17gru_cell_backwardIffiLi1EEEvNS_4cuda6detail10TensorInfoIT_T1_EES9_S9_S9_S9_S8_S8_.numbered_sgpr, 23
	.set _ZN2at6native12_GLOBAL__N_16kernel17gru_cell_backwardIffiLi1EEEvNS_4cuda6detail10TensorInfoIT_T1_EES9_S9_S9_S9_S8_S8_.num_named_barrier, 0
	.set _ZN2at6native12_GLOBAL__N_16kernel17gru_cell_backwardIffiLi1EEEvNS_4cuda6detail10TensorInfoIT_T1_EES9_S9_S9_S9_S8_S8_.private_seg_size, 0
	.set _ZN2at6native12_GLOBAL__N_16kernel17gru_cell_backwardIffiLi1EEEvNS_4cuda6detail10TensorInfoIT_T1_EES9_S9_S9_S9_S8_S8_.uses_vcc, 1
	.set _ZN2at6native12_GLOBAL__N_16kernel17gru_cell_backwardIffiLi1EEEvNS_4cuda6detail10TensorInfoIT_T1_EES9_S9_S9_S9_S8_S8_.uses_flat_scratch, 0
	.set _ZN2at6native12_GLOBAL__N_16kernel17gru_cell_backwardIffiLi1EEEvNS_4cuda6detail10TensorInfoIT_T1_EES9_S9_S9_S9_S8_S8_.has_dyn_sized_stack, 0
	.set _ZN2at6native12_GLOBAL__N_16kernel17gru_cell_backwardIffiLi1EEEvNS_4cuda6detail10TensorInfoIT_T1_EES9_S9_S9_S9_S8_S8_.has_recursion, 0
	.set _ZN2at6native12_GLOBAL__N_16kernel17gru_cell_backwardIffiLi1EEEvNS_4cuda6detail10TensorInfoIT_T1_EES9_S9_S9_S9_S8_S8_.has_indirect_call, 0
	.section	.AMDGPU.csdata,"",@progbits
; Kernel info:
; codeLenInByte = 1124
; TotalNumSgprs: 25
; NumVgprs: 28
; ScratchSize: 0
; MemoryBound: 0
; FloatMode: 240
; IeeeMode: 1
; LDSByteSize: 0 bytes/workgroup (compile time only)
; SGPRBlocks: 0
; VGPRBlocks: 3
; NumSGPRsForWavesPerEU: 25
; NumVGPRsForWavesPerEU: 28
; Occupancy: 16
; WaveLimiterHint : 1
; COMPUTE_PGM_RSRC2:SCRATCH_EN: 0
; COMPUTE_PGM_RSRC2:USER_SGPR: 6
; COMPUTE_PGM_RSRC2:TRAP_HANDLER: 0
; COMPUTE_PGM_RSRC2:TGID_X_EN: 1
; COMPUTE_PGM_RSRC2:TGID_Y_EN: 0
; COMPUTE_PGM_RSRC2:TGID_Z_EN: 0
; COMPUTE_PGM_RSRC2:TIDIG_COMP_CNT: 0
	.section	.text._ZN2at6native12_GLOBAL__N_16kernel17gru_cell_backwardIffiLi2EEEvNS_4cuda6detail10TensorInfoIT_T1_EES9_S9_S9_S9_S8_S8_,"axG",@progbits,_ZN2at6native12_GLOBAL__N_16kernel17gru_cell_backwardIffiLi2EEEvNS_4cuda6detail10TensorInfoIT_T1_EES9_S9_S9_S9_S8_S8_,comdat
	.globl	_ZN2at6native12_GLOBAL__N_16kernel17gru_cell_backwardIffiLi2EEEvNS_4cuda6detail10TensorInfoIT_T1_EES9_S9_S9_S9_S8_S8_ ; -- Begin function _ZN2at6native12_GLOBAL__N_16kernel17gru_cell_backwardIffiLi2EEEvNS_4cuda6detail10TensorInfoIT_T1_EES9_S9_S9_S9_S8_S8_
	.p2align	8
	.type	_ZN2at6native12_GLOBAL__N_16kernel17gru_cell_backwardIffiLi2EEEvNS_4cuda6detail10TensorInfoIT_T1_EES9_S9_S9_S9_S8_S8_,@function
_ZN2at6native12_GLOBAL__N_16kernel17gru_cell_backwardIffiLi2EEEvNS_4cuda6detail10TensorInfoIT_T1_EES9_S9_S9_S9_S8_S8_: ; @_ZN2at6native12_GLOBAL__N_16kernel17gru_cell_backwardIffiLi2EEEvNS_4cuda6detail10TensorInfoIT_T1_EES9_S9_S9_S9_S8_S8_
; %bb.0:
	s_clause 0x1
	s_load_dword s2, s[4:5], 0x44c
	s_load_dwordx2 s[8:9], s[4:5], 0x438
	s_add_u32 s0, s4, 0x440
	s_addc_u32 s1, s5, 0
	s_mov_b32 s3, exec_lo
	s_waitcnt lgkmcnt(0)
	s_and_b32 s2, s2, 0xffff
	v_mad_u64_u32 v[0:1], null, s6, s2, v[0:1]
	v_cmpx_gt_i32_e64 s9, v0
	s_cbranch_execz .LBB53_3
; %bb.1:
	s_clause 0x2
	s_load_dword s3, s[4:5], 0x36c
	s_load_dword s26, s[4:5], 0xc
	;; [unrolled: 1-line block ×4, first 2 shown]
	s_clause 0x3
	s_load_dword s28, s[4:5], 0xe4
	s_load_dwordx2 s[6:7], s[4:5], 0x144
	s_load_dwordx2 s[10:11], s[4:5], 0x1b0
	s_load_dword s0, s[4:5], 0x294
	s_abs_i32 s27, s8
	s_clause 0x7
	s_load_dwordx2 s[12:13], s[4:5], 0x0
	s_load_dwordx2 s[14:15], s[4:5], 0x6c
	;; [unrolled: 1-line block ×8, first 2 shown]
	v_cvt_f32_u32_e32 v1, s27
	s_sub_i32 s1, 0, s27
	s_ashr_i32 s36, s8, 31
	s_mov_b32 s37, 0
	s_lshl_b32 s43, s8, 2
	v_rcp_iflag_f32_e32 v1, v1
	s_lshl_b32 s44, s8, 1
	s_waitcnt lgkmcnt(0)
	s_abs_i32 s29, s3
	s_abs_i32 s33, s26
	v_cvt_f32_u32_e32 v2, s29
	s_abs_i32 s30, s45
	s_abs_i32 s34, s28
	v_cvt_f32_u32_e32 v3, s30
	v_cvt_f32_u32_e32 v4, s33
	v_rcp_iflag_f32_e32 v2, v2
	s_abs_i32 s35, s0
	v_cvt_f32_u32_e32 v5, s34
	v_cvt_f32_u32_e32 v7, s35
	v_rcp_iflag_f32_e32 v3, v3
	v_rcp_iflag_f32_e32 v4, v4
	v_mul_f32_e32 v1, 0x4f7ffffe, v1
	v_rcp_iflag_f32_e32 v5, v5
	v_rcp_iflag_f32_e32 v7, v7
	s_mul_i32 s31, s31, s2
	v_mul_f32_e32 v2, 0x4f7ffffe, v2
	v_cvt_u32_f32_e32 v1, v1
	s_sub_i32 s2, 0, s30
	s_ashr_i32 s38, s3, 31
	v_mul_f32_e32 v3, 0x4f7ffffe, v3
	v_cvt_u32_f32_e32 v2, v2
	v_mul_f32_e32 v4, 0x4f7ffffe, v4
	v_mul_lo_u32 v6, s1, v1
	s_sub_i32 s1, 0, s29
	v_mul_f32_e32 v5, 0x4f7ffffe, v5
	v_mul_f32_e32 v7, 0x4f7ffffe, v7
	v_mul_lo_u32 v8, s1, v2
	v_cvt_u32_f32_e32 v3, v3
	v_cvt_u32_f32_e32 v4, v4
	;; [unrolled: 1-line block ×4, first 2 shown]
	s_sub_i32 s1, 0, s33
	v_mul_lo_u32 v9, s2, v3
	s_sub_i32 s2, 0, s34
	v_mul_lo_u32 v10, s1, v4
	s_sub_i32 s1, 0, s35
	v_mul_hi_u32 v6, v1, v6
	v_mul_lo_u32 v11, s2, v5
	v_mul_hi_u32 v8, v2, v8
	v_mul_lo_u32 v12, s1, v7
	v_mul_hi_u32 v9, v3, v9
	s_ashr_i32 s39, s45, 31
	s_ashr_i32 s40, s26, 31
	;; [unrolled: 1-line block ×3, first 2 shown]
	v_add_nc_u32_e32 v1, v1, v6
	v_mul_hi_u32 v6, v4, v10
	v_mul_hi_u32 v10, v5, v11
	v_add_nc_u32_e32 v2, v2, v8
	v_mul_hi_u32 v8, v7, v12
	v_add_nc_u32_e32 v3, v3, v9
	s_ashr_i32 s42, s0, 31
	s_sub_i32 s45, 0, s45
	s_sub_i32 s46, 0, s0
	v_add_nc_u32_e32 v4, v4, v6
	v_add_nc_u32_e32 v5, v5, v10
	;; [unrolled: 1-line block ×3, first 2 shown]
.LBB53_2:                               ; =>This Inner Loop Header: Depth=1
	v_sub_nc_u32_e32 v7, 0, v0
	v_ashrrev_i32_e32 v8, 31, v0
	v_max_i32_e32 v7, v0, v7
	v_xor_b32_e32 v9, s36, v8
	v_xor_b32_e32 v10, s39, v8
	v_xor_b32_e32 v8, s42, v8
	v_mul_hi_u32 v11, v7, v1
	v_mul_hi_u32 v12, v7, v3
	v_lshlrev_b32_e32 v13, 2, v9
	v_mul_lo_u32 v14, v11, s27
	v_mul_lo_u32 v15, v12, s30
	v_add_nc_u32_e32 v16, 1, v11
	v_add_nc_u32_e32 v17, 1, v12
	v_sub_nc_u32_e32 v14, v7, v14
	v_sub_nc_u32_e32 v15, v7, v15
	v_subrev_nc_u32_e32 v18, s27, v14
	v_cmp_le_u32_e32 vcc_lo, s27, v14
	v_cmp_le_u32_e64 s0, s30, v15
	v_cndmask_b32_e32 v11, v11, v16, vcc_lo
	v_subrev_nc_u32_e32 v16, s30, v15
	v_cndmask_b32_e32 v14, v14, v18, vcc_lo
	v_cndmask_b32_e64 v12, v12, v17, s0
	v_add_nc_u32_e32 v17, 1, v11
	v_cndmask_b32_e64 v15, v15, v16, s0
	v_cmp_le_u32_e32 vcc_lo, s27, v14
	v_add_nc_u32_e32 v16, 1, v12
	v_cndmask_b32_e32 v11, v11, v17, vcc_lo
	v_cmp_le_u32_e32 vcc_lo, s30, v15
	v_xor_b32_e32 v21, v11, v9
	v_cndmask_b32_e32 v12, v12, v16, vcc_lo
	v_sub_nc_u32_e32 v22, v21, v9
	v_xor_b32_e32 v11, v12, v10
	v_lshlrev_b32_e32 v12, 2, v21
	v_lshlrev_b32_e32 v9, 1, v9
	v_mul_lo_u32 v15, s43, v22
	v_sub_nc_u32_e32 v14, v11, v10
	v_sub_nc_u32_e32 v12, v12, v13
	v_mad_u64_u32 v[10:11], null, s45, v14, v[0:1]
	v_or_b32_e32 v11, 1, v12
	v_add_nc_u32_e32 v17, v0, v15
	v_or_b32_e32 v13, 2, v12
	v_or_b32_e32 v16, 3, v12
	v_add_nc_u32_e32 v12, 4, v12
	v_mul_lo_u32 v18, s8, v11
	v_mul_lo_u32 v10, v10, s19
	v_ashrrev_i32_e32 v17, 31, v17
	v_mul_lo_u32 v13, s8, v13
	v_mul_lo_u32 v16, s8, v16
	v_mul_lo_u32 v12, s8, v12
	v_add_nc_u32_e32 v19, v0, v18
	v_mad_u64_u32 v[10:11], null, v14, s18, v[10:11]
	v_add3_u32 v11, v17, v15, v0
	v_xor_b32_e32 v14, s38, v17
	v_ashrrev_i32_e32 v19, 31, v19
	v_add_nc_u32_e32 v20, v0, v13
	v_add_nc_u32_e32 v23, v0, v16
	v_xor_b32_e32 v17, v11, v17
	v_ashrrev_i32_e32 v11, 31, v10
	v_add3_u32 v27, v19, v18, v0
	v_add_nc_u32_e32 v24, v0, v12
	v_ashrrev_i32_e32 v20, 31, v20
	v_mul_hi_u32 v25, v17, v2
	v_lshlrev_b64 v[10:11], 2, v[10:11]
	v_ashrrev_i32_e32 v23, 31, v23
	v_xor_b32_e32 v26, s38, v19
	v_xor_b32_e32 v19, v27, v19
	v_ashrrev_i32_e32 v24, 31, v24
	v_add3_u32 v29, v20, v13, v0
	v_add_co_u32 v10, vcc_lo, s10, v10
	v_mul_lo_u32 v27, v25, s29
	v_add3_u32 v31, v23, v16, v0
	v_add_co_ci_u32_e64 v11, null, s11, v11, vcc_lo
	v_xor_b32_e32 v28, s38, v20
	v_xor_b32_e32 v30, s38, v23
	v_add3_u32 v33, v24, v12, v0
	v_xor_b32_e32 v20, v29, v20
	v_xor_b32_e32 v23, v31, v23
	v_mul_hi_u32 v31, v19, v2
	global_load_dword v10, v[10:11], off
	v_sub_nc_u32_e32 v11, v17, v27
	v_xor_b32_e32 v32, s38, v24
	v_xor_b32_e32 v24, v33, v24
	v_mul_hi_u32 v33, v20, v2
	v_add_nc_u32_e32 v29, 1, v25
	v_subrev_nc_u32_e32 v42, s29, v11
	v_cmp_le_u32_e32 vcc_lo, s29, v11
	v_mul_lo_u32 v17, v31, s29
	v_mul_hi_u32 v34, v23, v2
	v_mul_hi_u32 v35, v24, v2
	v_add_nc_u32_e32 v27, 1, v31
	v_cndmask_b32_e32 v25, v25, v29, vcc_lo
	v_cndmask_b32_e32 v11, v11, v42, vcc_lo
	v_mul_lo_u32 v36, v33, s29
	v_add_nc_u32_e32 v37, 1, v33
	v_sub_nc_u32_e32 v17, v19, v17
	v_add_nc_u32_e32 v29, 1, v25
	v_cmp_le_u32_e32 vcc_lo, s29, v11
	v_mul_lo_u32 v38, v34, s29
	v_mul_lo_u32 v40, v35, s29
	v_add_nc_u32_e32 v39, 1, v34
	v_sub_nc_u32_e32 v19, v20, v36
	v_cndmask_b32_e32 v11, v25, v29, vcc_lo
	v_cmp_le_u32_e32 vcc_lo, s29, v17
	v_subrev_nc_u32_e32 v25, s29, v17
	v_add_nc_u32_e32 v41, 1, v35
	v_sub_nc_u32_e32 v20, v23, v38
	v_sub_nc_u32_e32 v23, v24, v40
	v_cndmask_b32_e32 v24, v31, v27, vcc_lo
	v_cmp_le_u32_e64 s0, s29, v19
	v_subrev_nc_u32_e32 v29, s29, v19
	v_cndmask_b32_e32 v17, v17, v25, vcc_lo
	v_cmp_le_u32_e64 s1, s29, v20
	v_cmp_le_u32_e64 s2, s29, v23
	v_cndmask_b32_e64 v27, v33, v37, s0
	v_subrev_nc_u32_e32 v33, s29, v20
	v_xor_b32_e32 v11, v11, v14
	v_add_nc_u32_e32 v25, 1, v24
	v_cndmask_b32_e64 v19, v19, v29, s0
	v_cmp_le_u32_e32 vcc_lo, s29, v17
	v_cndmask_b32_e64 v31, v34, v39, s1
	v_cndmask_b32_e64 v34, v35, v41, s2
	v_subrev_nc_u32_e32 v35, s29, v23
	v_add_nc_u32_e32 v29, 1, v27
	v_cndmask_b32_e64 v20, v20, v33, s1
	v_sub_nc_u32_e32 v14, v11, v14
	v_cndmask_b32_e32 v11, v24, v25, vcc_lo
	v_cmp_le_u32_e32 vcc_lo, s29, v19
	v_add_nc_u32_e32 v33, 1, v31
	v_cndmask_b32_e64 v23, v23, v35, s2
	v_add_nc_u32_e32 v35, 1, v34
	v_xor_b32_e32 v11, v11, v26
	v_cndmask_b32_e32 v17, v27, v29, vcc_lo
	v_cmp_le_u32_e32 vcc_lo, s29, v20
	v_sub_nc_u32_e32 v24, v11, v26
	v_xor_b32_e32 v17, v17, v28
	v_cndmask_b32_e32 v19, v31, v33, vcc_lo
	v_cmp_le_u32_e32 vcc_lo, s29, v23
	v_mul_lo_u32 v23, v14, s3
	v_sub_nc_u32_e32 v25, v17, v28
	v_xor_b32_e32 v19, v19, v30
	v_cndmask_b32_e32 v20, v34, v35, vcc_lo
	v_mul_lo_u32 v17, v25, s3
	v_sub_nc_u32_e32 v19, v19, v30
	v_xor_b32_e32 v20, v20, v32
	v_sub_nc_u32_e32 v11, v15, v23
	v_mul_lo_u32 v15, v24, s3
	v_sub_nc_u32_e32 v26, v20, v32
	v_mul_lo_u32 v20, v19, s3
	v_add_nc_u32_e32 v11, v0, v11
	v_sub_nc_u32_e32 v13, v13, v17
	v_mul_lo_u32 v23, v26, s3
	v_sub_nc_u32_e32 v15, v18, v15
	v_mul_lo_u32 v11, v11, s5
	v_add_nc_u32_e32 v17, v0, v13
	v_sub_nc_u32_e32 v16, v16, v20
	v_add_nc_u32_e32 v15, v0, v15
	v_sub_nc_u32_e32 v12, v12, v23
	v_add_nc_u32_e32 v16, v0, v16
	v_mul_lo_u32 v13, v15, s5
	v_add_nc_u32_e32 v18, v0, v12
	v_mad_u64_u32 v[11:12], null, v14, s4, v[11:12]
	v_mul_lo_u32 v14, v17, s5
	v_mul_lo_u32 v15, v16, s5
	v_mul_lo_u32 v16, v18, s5
	v_ashrrev_i32_e32 v12, 31, v11
	v_mad_u64_u32 v[17:18], null, v24, s4, v[13:14]
	v_mad_u64_u32 v[13:14], null, v25, s4, v[14:15]
	;; [unrolled: 1-line block ×3, first 2 shown]
	v_lshlrev_b64 v[11:12], 2, v[11:12]
	v_mad_u64_u32 v[15:16], null, v26, s4, v[16:17]
	v_ashrrev_i32_e32 v18, 31, v17
	v_ashrrev_i32_e32 v14, 31, v13
	;; [unrolled: 1-line block ×3, first 2 shown]
	v_add_co_u32 v11, vcc_lo, s24, v11
	v_lshlrev_b64 v[17:18], 2, v[17:18]
	v_ashrrev_i32_e32 v16, 31, v15
	v_add_co_ci_u32_e64 v12, null, s25, v12, vcc_lo
	v_lshlrev_b64 v[13:14], 2, v[13:14]
	v_lshlrev_b64 v[19:20], 2, v[19:20]
	v_lshlrev_b64 v[15:16], 2, v[15:16]
	global_load_dword v24, v[11:12], off
	v_add_co_u32 v11, vcc_lo, s24, v17
	v_add_co_ci_u32_e64 v12, null, s25, v18, vcc_lo
	v_add_co_u32 v13, vcc_lo, s24, v13
	v_add_co_ci_u32_e64 v14, null, s25, v14, vcc_lo
	;; [unrolled: 2-line block ×4, first 2 shown]
	s_clause 0x3
	global_load_dword v25, v[11:12], off
	global_load_dword v26, v[13:14], off
	;; [unrolled: 1-line block ×4, first 2 shown]
	v_mul_hi_u32 v11, v7, v6
	v_mul_lo_u32 v12, v11, s35
	v_add_nc_u32_e32 v13, 1, v11
	v_sub_nc_u32_e32 v7, v7, v12
	v_subrev_nc_u32_e32 v12, s35, v7
	v_cmp_le_u32_e32 vcc_lo, s35, v7
	v_cndmask_b32_e32 v11, v11, v13, vcc_lo
	v_cndmask_b32_e32 v7, v7, v12, vcc_lo
	v_mul_lo_u32 v13, s44, v22
	v_add_nc_u32_e32 v12, 1, v11
	v_cmp_le_u32_e32 vcc_lo, s35, v7
	v_cndmask_b32_e32 v7, v11, v12, vcc_lo
	v_lshlrev_b32_e32 v11, 1, v21
	v_xor_b32_e32 v7, v7, v8
	v_sub_nc_u32_e32 v9, v11, v9
	v_add_nc_u32_e32 v11, v0, v13
	v_sub_nc_u32_e32 v12, v7, v8
	v_mad_u64_u32 v[7:8], null, s46, v12, v[0:1]
	v_or_b32_e32 v8, 1, v9
	v_add_nc_u32_e32 v9, 2, v9
	v_mul_lo_u32 v14, s8, v8
	v_mul_lo_u32 v7, v7, s23
	;; [unrolled: 1-line block ×3, first 2 shown]
	v_ashrrev_i32_e32 v9, 31, v11
	v_add_nc_u32_e32 v11, v0, v14
	v_mad_u64_u32 v[7:8], null, v12, s22, v[7:8]
	v_add3_u32 v8, v9, v13, v0
	v_xor_b32_e32 v12, s40, v9
	v_add_nc_u32_e32 v16, v0, v15
	v_xor_b32_e32 v17, s41, v9
	v_ashrrev_i32_e32 v11, 31, v11
	v_xor_b32_e32 v9, v8, v9
	v_ashrrev_i32_e32 v8, 31, v7
	v_ashrrev_i32_e32 v16, 31, v16
	v_add3_u32 v20, v11, v14, v0
	v_mul_hi_u32 v18, v9, v4
	v_mul_hi_u32 v23, v9, v5
	v_add3_u32 v22, v16, v15, v0
	v_xor_b32_e32 v19, s40, v11
	v_xor_b32_e32 v29, s41, v11
	;; [unrolled: 1-line block ×5, first 2 shown]
	v_mul_lo_u32 v20, v18, s33
	v_xor_b32_e32 v16, v22, v16
	v_lshlrev_b64 v[7:8], 2, v[7:8]
	v_mul_lo_u32 v31, v23, s34
	v_mul_hi_u32 v33, v11, v4
	v_add_nc_u32_e32 v22, 1, v18
	v_mul_hi_u32 v34, v16, v4
	v_mul_hi_u32 v35, v11, v5
	v_sub_nc_u32_e32 v20, v9, v20
	v_add_co_u32 v7, vcc_lo, s20, v7
	v_add_co_ci_u32_e64 v8, null, s21, v8, vcc_lo
	v_sub_nc_u32_e32 v9, v9, v31
	v_subrev_nc_u32_e32 v44, s33, v20
	v_cmp_le_u32_e32 vcc_lo, s33, v20
	v_mul_lo_u32 v31, v33, s33
	v_mul_lo_u32 v38, v34, s33
	v_mul_hi_u32 v36, v16, v5
	v_add_nc_u32_e32 v32, 1, v23
	v_cndmask_b32_e32 v18, v18, v22, vcc_lo
	v_cmp_le_u32_e64 s0, s34, v9
	v_cndmask_b32_e32 v20, v20, v44, vcc_lo
	v_mul_lo_u32 v40, v35, s34
	v_sub_nc_u32_e32 v31, v11, v31
	v_sub_nc_u32_e32 v38, v16, v38
	v_cndmask_b32_e64 v22, v23, v32, s0
	v_subrev_nc_u32_e32 v23, s34, v9
	v_add_nc_u32_e32 v32, 1, v18
	v_cmp_le_u32_e32 vcc_lo, s33, v20
	v_mul_lo_u32 v42, v36, s34
	v_add_nc_u32_e32 v37, 1, v33
	v_add_nc_u32_e32 v39, 1, v34
	v_cndmask_b32_e64 v9, v9, v23, s0
	v_cndmask_b32_e32 v18, v18, v32, vcc_lo
	v_cmp_le_u32_e32 vcc_lo, s33, v31
	v_subrev_nc_u32_e32 v32, s33, v31
	v_cmp_le_u32_e64 s0, s33, v38
	v_add_nc_u32_e32 v23, 1, v22
	v_sub_nc_u32_e32 v11, v11, v40
	v_sub_nc_u32_e32 v16, v16, v42
	v_cndmask_b32_e32 v20, v33, v37, vcc_lo
	v_cndmask_b32_e64 v33, v34, v39, s0
	v_subrev_nc_u32_e32 v34, s33, v38
	v_cmp_le_u32_e64 s1, s34, v9
	v_cndmask_b32_e32 v31, v31, v32, vcc_lo
	v_add_nc_u32_e32 v41, 1, v35
	v_add_nc_u32_e32 v43, 1, v36
	v_cmp_le_u32_e64 s2, s34, v16
	v_cndmask_b32_e64 v9, v22, v23, s1
	v_cmp_le_u32_e64 s1, s34, v11
	v_subrev_nc_u32_e32 v23, s34, v11
	v_xor_b32_e32 v18, v18, v12
	v_add_nc_u32_e32 v32, 1, v20
	v_cndmask_b32_e64 v34, v38, v34, s0
	v_cmp_le_u32_e32 vcc_lo, s33, v31
	v_cndmask_b32_e64 v22, v35, v41, s1
	v_cndmask_b32_e64 v35, v36, v43, s2
	v_subrev_nc_u32_e32 v36, s34, v16
	v_add_nc_u32_e32 v37, 1, v33
	v_cndmask_b32_e64 v11, v11, v23, s1
	v_sub_nc_u32_e32 v12, v18, v12
	v_cndmask_b32_e32 v18, v20, v32, vcc_lo
	v_cmp_le_u32_e32 vcc_lo, s33, v34
	v_xor_b32_e32 v9, v9, v17
	v_add_nc_u32_e32 v23, 1, v22
	v_cndmask_b32_e64 v16, v16, v36, s2
	v_add_nc_u32_e32 v36, 1, v35
	v_cndmask_b32_e32 v20, v33, v37, vcc_lo
	v_cmp_le_u32_e32 vcc_lo, s34, v11
	v_sub_nc_u32_e32 v17, v9, v17
	v_xor_b32_e32 v18, v18, v19
	v_xor_b32_e32 v20, v20, v21
	v_cndmask_b32_e32 v9, v22, v23, vcc_lo
	v_cmp_le_u32_e32 vcc_lo, s34, v16
	v_mul_lo_u32 v16, v12, s26
	v_mul_lo_u32 v22, v17, s28
	v_sub_nc_u32_e32 v18, v18, v19
	v_xor_b32_e32 v9, v9, v29
	v_cndmask_b32_e32 v11, v35, v36, vcc_lo
	v_sub_nc_u32_e32 v20, v20, v21
	v_sub_nc_u32_e32 v23, v9, v29
	v_xor_b32_e32 v11, v11, v30
	v_sub_nc_u32_e32 v9, v13, v16
	v_mul_lo_u32 v16, v20, s26
	v_mul_lo_u32 v19, v23, s28
	v_sub_nc_u32_e32 v29, v11, v30
	v_sub_nc_u32_e32 v11, v13, v22
	v_mul_lo_u32 v13, v18, s26
	v_add_nc_u32_e32 v9, v0, v9
	v_mul_lo_u32 v21, v29, s28
	v_add_nc_u32_e32 v11, v0, v11
	v_sub_nc_u32_e32 v16, v15, v16
	v_mul_lo_u32 v9, v9, s15
	v_sub_nc_u32_e32 v13, v14, v13
	v_sub_nc_u32_e32 v14, v14, v19
	v_mul_lo_u32 v11, v11, s7
	v_sub_nc_u32_e32 v15, v15, v21
	v_add_nc_u32_e32 v16, v0, v16
	v_add_nc_u32_e32 v19, v0, v13
	s_waitcnt vmcnt(5)
	v_mad_u64_u32 v[12:13], null, v12, s14, v[9:10]
	v_add_nc_u32_e32 v21, v0, v14
	v_add_nc_u32_e32 v22, v0, v15
	v_mul_lo_u32 v9, v19, s15
	v_add_nc_u32_e32 v0, s31, v0
	v_mad_u64_u32 v[14:15], null, v17, s6, v[11:12]
	v_mul_lo_u32 v11, v16, s15
	v_mul_lo_u32 v16, v21, s7
	;; [unrolled: 1-line block ×3, first 2 shown]
	v_mad_u64_u32 v[18:19], null, v18, s14, v[9:10]
	v_ashrrev_i32_e32 v13, 31, v12
	v_ashrrev_i32_e32 v15, 31, v14
	v_cmp_le_i32_e32 vcc_lo, s9, v0
	v_mad_u64_u32 v[20:21], null, v20, s14, v[11:12]
	v_mad_u64_u32 v[22:23], null, v23, s6, v[16:17]
	;; [unrolled: 1-line block ×3, first 2 shown]
	v_ashrrev_i32_e32 v19, 31, v18
	v_lshlrev_b64 v[11:12], 2, v[12:13]
	v_ashrrev_i32_e32 v21, 31, v20
	v_lshlrev_b64 v[13:14], 2, v[14:15]
	;; [unrolled: 2-line block ×3, first 2 shown]
	v_ashrrev_i32_e32 v17, 31, v16
	s_or_b32 s37, vcc_lo, s37
	v_add_co_u32 v11, vcc_lo, s12, v11
	v_lshlrev_b64 v[20:21], 2, v[20:21]
	v_add_co_ci_u32_e64 v12, null, s13, v12, vcc_lo
	v_add_co_u32 v13, vcc_lo, s16, v13
	v_lshlrev_b64 v[22:23], 2, v[22:23]
	v_add_co_ci_u32_e64 v14, null, s17, v14, vcc_lo
	v_lshlrev_b64 v[15:16], 2, v[16:17]
	v_add_co_u32 v17, vcc_lo, s12, v18
	v_add_co_ci_u32_e64 v18, null, s13, v19, vcc_lo
	v_add_co_u32 v19, vcc_lo, s12, v20
	v_add_co_ci_u32_e64 v20, null, s13, v21, vcc_lo
	;; [unrolled: 2-line block ×4, first 2 shown]
	s_waitcnt vmcnt(4)
	v_sub_f32_e32 v9, 1.0, v24
	s_waitcnt vmcnt(3)
	v_sub_f32_e32 v23, 1.0, v25
	v_mul_f32_e32 v29, v25, v10
	s_waitcnt vmcnt(1)
	v_sub_f32_e32 v27, v27, v26
	v_fma_f32 v26, -v26, v26, 1.0
	v_mul_f32_e32 v30, v23, v10
	v_mul_f32_e32 v10, v27, v10
	;; [unrolled: 1-line block ×4, first 2 shown]
	s_waitcnt vmcnt(0)
	v_mul_f32_e32 v23, v28, v26
	v_mul_f32_e32 v10, v25, v10
	;; [unrolled: 1-line block ×5, first 2 shown]
	global_store_dword v[11:12], v9, off
	global_store_dword v[17:18], v10, off
	;; [unrolled: 1-line block ×7, first 2 shown]
	s_andn2_b32 exec_lo, exec_lo, s37
	s_cbranch_execnz .LBB53_2
.LBB53_3:
	s_endpgm
	.section	.rodata,"a",@progbits
	.p2align	6, 0x0
	.amdhsa_kernel _ZN2at6native12_GLOBAL__N_16kernel17gru_cell_backwardIffiLi2EEEvNS_4cuda6detail10TensorInfoIT_T1_EES9_S9_S9_S9_S8_S8_
		.amdhsa_group_segment_fixed_size 0
		.amdhsa_private_segment_fixed_size 0
		.amdhsa_kernarg_size 1344
		.amdhsa_user_sgpr_count 6
		.amdhsa_user_sgpr_private_segment_buffer 1
		.amdhsa_user_sgpr_dispatch_ptr 0
		.amdhsa_user_sgpr_queue_ptr 0
		.amdhsa_user_sgpr_kernarg_segment_ptr 1
		.amdhsa_user_sgpr_dispatch_id 0
		.amdhsa_user_sgpr_flat_scratch_init 0
		.amdhsa_user_sgpr_private_segment_size 0
		.amdhsa_wavefront_size32 1
		.amdhsa_uses_dynamic_stack 0
		.amdhsa_system_sgpr_private_segment_wavefront_offset 0
		.amdhsa_system_sgpr_workgroup_id_x 1
		.amdhsa_system_sgpr_workgroup_id_y 0
		.amdhsa_system_sgpr_workgroup_id_z 0
		.amdhsa_system_sgpr_workgroup_info 0
		.amdhsa_system_vgpr_workitem_id 0
		.amdhsa_next_free_vgpr 45
		.amdhsa_next_free_sgpr 47
		.amdhsa_reserve_vcc 1
		.amdhsa_reserve_flat_scratch 0
		.amdhsa_float_round_mode_32 0
		.amdhsa_float_round_mode_16_64 0
		.amdhsa_float_denorm_mode_32 3
		.amdhsa_float_denorm_mode_16_64 3
		.amdhsa_dx10_clamp 1
		.amdhsa_ieee_mode 1
		.amdhsa_fp16_overflow 0
		.amdhsa_workgroup_processor_mode 1
		.amdhsa_memory_ordered 1
		.amdhsa_forward_progress 1
		.amdhsa_shared_vgpr_count 0
		.amdhsa_exception_fp_ieee_invalid_op 0
		.amdhsa_exception_fp_denorm_src 0
		.amdhsa_exception_fp_ieee_div_zero 0
		.amdhsa_exception_fp_ieee_overflow 0
		.amdhsa_exception_fp_ieee_underflow 0
		.amdhsa_exception_fp_ieee_inexact 0
		.amdhsa_exception_int_div_zero 0
	.end_amdhsa_kernel
	.section	.text._ZN2at6native12_GLOBAL__N_16kernel17gru_cell_backwardIffiLi2EEEvNS_4cuda6detail10TensorInfoIT_T1_EES9_S9_S9_S9_S8_S8_,"axG",@progbits,_ZN2at6native12_GLOBAL__N_16kernel17gru_cell_backwardIffiLi2EEEvNS_4cuda6detail10TensorInfoIT_T1_EES9_S9_S9_S9_S8_S8_,comdat
.Lfunc_end53:
	.size	_ZN2at6native12_GLOBAL__N_16kernel17gru_cell_backwardIffiLi2EEEvNS_4cuda6detail10TensorInfoIT_T1_EES9_S9_S9_S9_S8_S8_, .Lfunc_end53-_ZN2at6native12_GLOBAL__N_16kernel17gru_cell_backwardIffiLi2EEEvNS_4cuda6detail10TensorInfoIT_T1_EES9_S9_S9_S9_S8_S8_
                                        ; -- End function
	.set _ZN2at6native12_GLOBAL__N_16kernel17gru_cell_backwardIffiLi2EEEvNS_4cuda6detail10TensorInfoIT_T1_EES9_S9_S9_S9_S8_S8_.num_vgpr, 45
	.set _ZN2at6native12_GLOBAL__N_16kernel17gru_cell_backwardIffiLi2EEEvNS_4cuda6detail10TensorInfoIT_T1_EES9_S9_S9_S9_S8_S8_.num_agpr, 0
	.set _ZN2at6native12_GLOBAL__N_16kernel17gru_cell_backwardIffiLi2EEEvNS_4cuda6detail10TensorInfoIT_T1_EES9_S9_S9_S9_S8_S8_.numbered_sgpr, 47
	.set _ZN2at6native12_GLOBAL__N_16kernel17gru_cell_backwardIffiLi2EEEvNS_4cuda6detail10TensorInfoIT_T1_EES9_S9_S9_S9_S8_S8_.num_named_barrier, 0
	.set _ZN2at6native12_GLOBAL__N_16kernel17gru_cell_backwardIffiLi2EEEvNS_4cuda6detail10TensorInfoIT_T1_EES9_S9_S9_S9_S8_S8_.private_seg_size, 0
	.set _ZN2at6native12_GLOBAL__N_16kernel17gru_cell_backwardIffiLi2EEEvNS_4cuda6detail10TensorInfoIT_T1_EES9_S9_S9_S9_S8_S8_.uses_vcc, 1
	.set _ZN2at6native12_GLOBAL__N_16kernel17gru_cell_backwardIffiLi2EEEvNS_4cuda6detail10TensorInfoIT_T1_EES9_S9_S9_S9_S8_S8_.uses_flat_scratch, 0
	.set _ZN2at6native12_GLOBAL__N_16kernel17gru_cell_backwardIffiLi2EEEvNS_4cuda6detail10TensorInfoIT_T1_EES9_S9_S9_S9_S8_S8_.has_dyn_sized_stack, 0
	.set _ZN2at6native12_GLOBAL__N_16kernel17gru_cell_backwardIffiLi2EEEvNS_4cuda6detail10TensorInfoIT_T1_EES9_S9_S9_S9_S8_S8_.has_recursion, 0
	.set _ZN2at6native12_GLOBAL__N_16kernel17gru_cell_backwardIffiLi2EEEvNS_4cuda6detail10TensorInfoIT_T1_EES9_S9_S9_S9_S8_S8_.has_indirect_call, 0
	.section	.AMDGPU.csdata,"",@progbits
; Kernel info:
; codeLenInByte = 2808
; TotalNumSgprs: 49
; NumVgprs: 45
; ScratchSize: 0
; MemoryBound: 0
; FloatMode: 240
; IeeeMode: 1
; LDSByteSize: 0 bytes/workgroup (compile time only)
; SGPRBlocks: 0
; VGPRBlocks: 5
; NumSGPRsForWavesPerEU: 49
; NumVGPRsForWavesPerEU: 45
; Occupancy: 16
; WaveLimiterHint : 1
; COMPUTE_PGM_RSRC2:SCRATCH_EN: 0
; COMPUTE_PGM_RSRC2:USER_SGPR: 6
; COMPUTE_PGM_RSRC2:TRAP_HANDLER: 0
; COMPUTE_PGM_RSRC2:TGID_X_EN: 1
; COMPUTE_PGM_RSRC2:TGID_Y_EN: 0
; COMPUTE_PGM_RSRC2:TGID_Z_EN: 0
; COMPUTE_PGM_RSRC2:TIDIG_COMP_CNT: 0
	.section	.text._ZN2at6native12_GLOBAL__N_16kernel17gru_cell_backwardIfflLi1EEEvNS_4cuda6detail10TensorInfoIT_T1_EES9_S9_S9_S9_S8_S8_,"axG",@progbits,_ZN2at6native12_GLOBAL__N_16kernel17gru_cell_backwardIfflLi1EEEvNS_4cuda6detail10TensorInfoIT_T1_EES9_S9_S9_S9_S8_S8_,comdat
	.globl	_ZN2at6native12_GLOBAL__N_16kernel17gru_cell_backwardIfflLi1EEEvNS_4cuda6detail10TensorInfoIT_T1_EES9_S9_S9_S9_S8_S8_ ; -- Begin function _ZN2at6native12_GLOBAL__N_16kernel17gru_cell_backwardIfflLi1EEEvNS_4cuda6detail10TensorInfoIT_T1_EES9_S9_S9_S9_S8_S8_
	.p2align	8
	.type	_ZN2at6native12_GLOBAL__N_16kernel17gru_cell_backwardIfflLi1EEEvNS_4cuda6detail10TensorInfoIT_T1_EES9_S9_S9_S9_S8_S8_,@function
_ZN2at6native12_GLOBAL__N_16kernel17gru_cell_backwardIfflLi1EEEvNS_4cuda6detail10TensorInfoIT_T1_EES9_S9_S9_S9_S8_S8_: ; @_ZN2at6native12_GLOBAL__N_16kernel17gru_cell_backwardIfflLi1EEEvNS_4cuda6detail10TensorInfoIT_T1_EES9_S9_S9_S9_S8_S8_
; %bb.0:
	s_clause 0x1
	s_load_dword s2, s[4:5], 0x83c
	s_load_dwordx4 s[8:11], s[4:5], 0x820
	v_mov_b32_e32 v1, 0
	s_add_u32 s0, s4, 0x830
	s_addc_u32 s1, s5, 0
	s_waitcnt lgkmcnt(0)
	s_and_b32 s22, s2, 0xffff
	s_mov_b32 s2, exec_lo
	v_mad_u64_u32 v[3:4], null, s6, s22, v[0:1]
	v_mov_b32_e32 v4, v1
	v_cmpx_gt_i64_e64 s[10:11], v[3:4]
	s_cbranch_execz .LBB54_7
; %bb.1:
	s_clause 0x1
	s_load_dwordx2 s[24:25], s[4:5], 0x410
	s_load_dwordx2 s[26:27], s[4:5], 0x5b0
	v_cvt_f32_u32_e32 v0, s8
	s_load_dword s0, s[0:1], 0x0
	s_clause 0x7
	s_load_dwordx2 s[28:29], s[4:5], 0x340
	s_load_dwordx2 s[34:35], s[4:5], 0x4e0
	;; [unrolled: 1-line block ×8, first 2 shown]
	s_mov_b32 s1, 0
	s_lshl_b64 s[18:19], s[8:9], 2
	v_rcp_iflag_f32_e32 v0, v0
	s_lshl_b64 s[20:21], s[8:9], 1
	v_mul_f32_e32 v0, 0x4f7ffffe, v0
	s_waitcnt lgkmcnt(0)
	v_mul_lo_u32 v2, 0, s24
	v_mul_lo_u32 v9, v3, s25
	v_mad_u64_u32 v[5:6], null, v3, s24, 0
	v_mul_lo_u32 v10, 0, s26
	v_mul_lo_u32 v11, v3, s27
	v_mad_u64_u32 v[7:8], null, v3, s26, 0
	v_cvt_u32_f32_e32 v0, v0
	s_mul_i32 s30, s0, s22
	v_add3_u32 v6, v6, v9, v2
	s_mul_i32 s0, s30, s25
	s_sub_i32 s25, 0, s8
	s_mul_hi_u32 s22, s30, s24
	v_mul_lo_u32 v2, s25, v0
	v_add3_u32 v8, v8, v11, v10
	v_lshlrev_b64 v[5:6], 2, v[5:6]
	s_add_i32 s23, s22, s0
	s_mul_i32 s22, s30, s24
	s_mul_i32 s0, s30, s27
	v_lshlrev_b64 v[7:8], 2, v[7:8]
	s_mul_hi_u32 s24, s30, s26
	v_mul_hi_u32 v2, v0, v2
	v_add_co_u32 v5, vcc_lo, s28, v5
	v_add_co_ci_u32_e64 v6, null, s29, v6, vcc_lo
	v_add_co_u32 v7, vcc_lo, s34, v7
	v_add_co_ci_u32_e64 v8, null, s35, v8, vcc_lo
	v_add_nc_u32_e32 v0, v0, v2
	s_add_i32 s25, s24, s0
	s_mul_i32 s24, s30, s26
	s_lshl_b64 s[22:23], s[22:23], 2
	s_lshl_b64 s[24:25], s[24:25], 2
	s_ashr_i32 s26, s9, 31
	s_branch .LBB54_3
.LBB54_2:                               ;   in Loop: Header=BB54_3 Depth=1
	s_or_b32 exec_lo, exec_lo, s0
	v_lshlrev_b64 v[11:12], 2, v[9:10]
	v_mad_u64_u32 v[13:14], null, s18, v9, v[3:4]
	v_mul_lo_u32 v17, s18, v10
	v_mul_lo_u32 v18, s19, v9
	v_or_b32_e32 v2, 1, v11
	v_mul_lo_u32 v23, s8, v12
	v_or_b32_e32 v19, 2, v11
	v_mul_lo_u32 v25, v13, s5
	v_mul_lo_u32 v20, s9, v2
	v_mad_u64_u32 v[15:16], null, s8, v2, v[3:4]
	v_add3_u32 v24, v18, v14, v17
	v_mul_lo_u32 v21, s9, v19
	v_mad_u64_u32 v[17:18], null, s8, v19, v[3:4]
	v_or_b32_e32 v2, 3, v11
	v_add3_u32 v16, v20, v16, v23
	v_mul_lo_u32 v26, v15, s5
	v_mad_u64_u32 v[14:15], null, v15, s4, 0
	v_mad_u64_u32 v[19:20], null, v13, s4, 0
	v_mul_lo_u32 v16, v16, s4
	v_add3_u32 v13, v21, v18, v23
	v_mul_lo_u32 v18, s9, v2
	v_mad_u64_u32 v[21:22], null, s8, v2, v[3:4]
	v_mul_lo_u32 v2, v24, s4
	v_mul_lo_u32 v24, v13, s4
	v_add_co_u32 v13, vcc_lo, v11, 4
	v_add3_u32 v15, v15, v26, v16
	v_add_co_ci_u32_e64 v16, null, 0, v12, vcc_lo
	v_mul_lo_u32 v26, v17, s5
	v_mad_u64_u32 v[11:12], null, v17, s4, 0
	v_add3_u32 v18, v18, v22, v23
	v_mul_lo_u32 v23, s8, v16
	v_mul_lo_u32 v27, s9, v13
	v_mad_u64_u32 v[16:17], null, s8, v13, v[3:4]
	v_add3_u32 v20, v20, v25, v2
	v_lshlrev_b64 v[13:14], 2, v[14:15]
	v_mul_lo_u32 v2, v18, s4
	v_mul_lo_u32 v15, v21, s5
	v_mad_u64_u32 v[21:22], null, v21, s4, 0
	v_add3_u32 v12, v12, v26, v24
	v_add3_u32 v17, v27, v17, v23
	v_mul_lo_u32 v23, v16, s5
	v_add_co_u32 v13, vcc_lo, s16, v13
	v_lshlrev_b64 v[11:12], 2, v[11:12]
	v_add3_u32 v22, v22, v15, v2
	v_mul_lo_u32 v2, v17, s4
	v_mad_u64_u32 v[15:16], null, v16, s4, 0
	v_add_co_ci_u32_e64 v14, null, s17, v14, vcc_lo
	v_add_co_u32 v11, vcc_lo, s16, v11
	v_lshlrev_b64 v[17:18], 2, v[21:22]
	v_add_co_ci_u32_e64 v12, null, s17, v12, vcc_lo
	v_add3_u32 v16, v16, v23, v2
	v_lshlrev_b64 v[19:20], 2, v[19:20]
	s_clause 0x1
	global_load_dword v21, v[13:14], off
	global_load_dword v22, v[11:12], off
	v_add_co_u32 v11, vcc_lo, s16, v17
	v_lshlrev_b64 v[13:14], 2, v[15:16]
	v_add_co_ci_u32_e64 v12, null, s17, v18, vcc_lo
	global_load_dword v2, v[5:6], off
	v_add_co_u32 v15, vcc_lo, s16, v19
	v_add_co_ci_u32_e64 v16, null, s17, v20, vcc_lo
	global_load_dword v23, v[11:12], off
	v_add_co_u32 v11, vcc_lo, s16, v13
	v_add_co_ci_u32_e64 v12, null, s17, v14, vcc_lo
	s_clause 0x1
	global_load_dword v24, v[15:16], off
	global_load_dword v25, v[11:12], off
	v_lshlrev_b64 v[13:14], 1, v[9:10]
	v_mad_u64_u32 v[11:12], null, s20, v9, v[3:4]
	v_mul_lo_u32 v15, s20, v10
	v_mul_lo_u32 v9, s21, v9
	v_add_co_u32 v5, vcc_lo, v5, s22
	v_or_b32_e32 v16, 1, v13
	v_add_co_ci_u32_e64 v6, null, s23, v6, vcc_lo
	v_add_co_u32 v18, vcc_lo, v13, 2
	v_mul_lo_u32 v17, s8, v14
	v_add_co_ci_u32_e64 v19, null, 0, v14, vcc_lo
	v_add3_u32 v20, v9, v12, v15
	v_mul_lo_u32 v28, s9, v16
	v_mad_u64_u32 v[13:14], null, s8, v16, v[3:4]
	v_mul_lo_u32 v26, v11, s7
	v_mad_u64_u32 v[9:10], null, v11, s6, 0
	v_mad_u64_u32 v[15:16], null, s8, v18, v[3:4]
	v_mul_lo_u32 v19, s8, v19
	v_mul_lo_u32 v29, s9, v18
	;; [unrolled: 1-line block ×3, first 2 shown]
	v_add3_u32 v28, v28, v14, v17
	v_mul_lo_u32 v27, v11, s15
	v_mad_u64_u32 v[11:12], null, v11, s14, 0
	v_mul_lo_u32 v31, v20, s14
	v_mul_lo_u32 v32, v13, s7
	v_mad_u64_u32 v[17:18], null, v13, s6, 0
	v_add3_u32 v29, v29, v16, v19
	v_add3_u32 v10, v10, v26, v30
	v_mul_lo_u32 v26, v28, s6
	v_mul_lo_u32 v33, v15, s7
	v_mad_u64_u32 v[19:20], null, v15, s6, 0
	v_mul_lo_u32 v34, v13, s15
	v_mad_u64_u32 v[13:14], null, v13, s14, 0
	v_add3_u32 v12, v12, v27, v31
	v_mul_lo_u32 v27, v29, s6
	v_mul_lo_u32 v28, v28, s14
	v_add3_u32 v18, v18, v32, v26
	v_mul_lo_u32 v35, v15, s15
	v_mad_u64_u32 v[15:16], null, v15, s14, 0
	v_mul_lo_u32 v29, v29, s14
	v_lshlrev_b64 v[9:10], 2, v[9:10]
	v_add3_u32 v20, v20, v33, v27
	v_add3_u32 v14, v14, v34, v28
	v_lshlrev_b64 v[11:12], 2, v[11:12]
	v_lshlrev_b64 v[17:18], 2, v[17:18]
	v_add_co_u32 v3, vcc_lo, v3, s30
	v_add3_u32 v16, v16, v35, v29
	v_add_co_u32 v9, s0, s2, v9
	v_lshlrev_b64 v[19:20], 2, v[19:20]
	v_add_co_ci_u32_e64 v10, null, s3, v10, s0
	v_add_co_u32 v11, s0, s12, v11
	v_lshlrev_b64 v[13:14], 2, v[13:14]
	v_add_co_ci_u32_e64 v12, null, s13, v12, s0
	v_lshlrev_b64 v[15:16], 2, v[15:16]
	v_add_co_u32 v17, s0, s2, v17
	v_add_co_ci_u32_e64 v4, null, 0, v4, vcc_lo
	v_add_co_ci_u32_e64 v18, null, s3, v18, s0
	v_add_co_u32 v19, s0, s2, v19
	v_add_co_ci_u32_e64 v20, null, s3, v20, s0
	v_add_co_u32 v13, s0, s12, v13
	;; [unrolled: 2-line block ×3, first 2 shown]
	v_cmp_le_i64_e32 vcc_lo, s[10:11], v[3:4]
	v_add_co_ci_u32_e64 v16, null, s13, v16, s0
	s_or_b32 s1, vcc_lo, s1
	s_waitcnt vmcnt(5)
	v_sub_f32_e32 v26, 1.0, v21
	s_waitcnt vmcnt(4)
	v_fma_f32 v27, -v22, v22, 1.0
	s_waitcnt vmcnt(3)
	v_mul_f32_e32 v28, v26, v2
	s_waitcnt vmcnt(2)
	v_sub_f32_e32 v22, v23, v22
	v_mul_f32_e32 v23, v27, v28
	v_mul_f32_e32 v22, v22, v2
	s_waitcnt vmcnt(1)
	v_sub_f32_e32 v27, 1.0, v24
	s_waitcnt vmcnt(0)
	v_mul_f32_e32 v25, v25, v23
	v_mul_f32_e32 v2, v21, v2
	;; [unrolled: 1-line block ×7, first 2 shown]
	global_store_dword v[9:10], v25, off
	global_store_dword v[17:18], v22, off
	;; [unrolled: 1-line block ×7, first 2 shown]
	v_add_co_u32 v7, s0, v7, s24
	v_add_co_ci_u32_e64 v8, null, s25, v8, s0
	s_andn2_b32 exec_lo, exec_lo, s1
	s_cbranch_execz .LBB54_7
.LBB54_3:                               ; =>This Inner Loop Header: Depth=1
	v_or_b32_e32 v2, s9, v4
                                        ; implicit-def: $vgpr9_vgpr10
	s_mov_b32 s0, exec_lo
	v_cmpx_ne_u64_e32 0, v[1:2]
	s_xor_b32 s31, exec_lo, s0
	s_cbranch_execz .LBB54_5
; %bb.4:                                ;   in Loop: Header=BB54_3 Depth=1
	s_add_u32 s28, s8, s26
	s_mov_b32 s27, s26
	s_addc_u32 s29, s9, s26
	v_ashrrev_i32_e32 v15, 31, v4
	s_xor_b64 s[28:29], s[28:29], s[26:27]
	v_cvt_f32_u32_e32 v2, s28
	v_cvt_f32_u32_e32 v9, s29
	s_sub_u32 s0, 0, s28
	s_subb_u32 s34, 0, s29
	v_add_co_u32 v10, vcc_lo, v3, v15
	v_fmac_f32_e32 v2, 0x4f800000, v9
	v_xor_b32_e32 v16, v10, v15
	v_rcp_f32_e32 v2, v2
	v_mul_f32_e32 v2, 0x5f7ffffc, v2
	v_mul_f32_e32 v9, 0x2f800000, v2
	v_trunc_f32_e32 v9, v9
	v_fmac_f32_e32 v2, 0xcf800000, v9
	v_cvt_u32_f32_e32 v9, v9
	v_cvt_u32_f32_e32 v2, v2
	v_readfirstlane_b32 s27, v9
	v_readfirstlane_b32 s33, v2
	s_mul_i32 s35, s0, s27
	v_add_co_ci_u32_e64 v2, null, v4, v15, vcc_lo
	s_mul_hi_u32 s37, s0, s33
	s_mul_i32 s36, s34, s33
	s_add_i32 s35, s37, s35
	s_mul_i32 s38, s0, s33
	s_add_i32 s35, s35, s36
	s_mul_hi_u32 s37, s33, s38
	s_mul_i32 s40, s33, s35
	s_mul_hi_u32 s39, s27, s38
	s_mul_i32 s36, s27, s38
	s_mul_hi_u32 s38, s33, s35
	s_add_u32 s37, s37, s40
	s_addc_u32 s38, 0, s38
	s_mul_hi_u32 s41, s27, s35
	s_add_u32 s36, s37, s36
	s_mul_i32 s35, s27, s35
	s_addc_u32 s36, s38, s39
	s_addc_u32 s37, s41, 0
	s_add_u32 s35, s36, s35
	s_addc_u32 s36, 0, s37
	s_add_u32 s33, s33, s35
	s_cselect_b32 s35, -1, 0
	s_mul_hi_u32 s37, s0, s33
	s_cmp_lg_u32 s35, 0
	s_mul_i32 s35, s0, s33
	s_addc_u32 s27, s27, s36
	s_mul_i32 s34, s34, s33
	s_mul_i32 s0, s0, s27
	s_mul_hi_u32 s36, s33, s35
	s_add_i32 s0, s37, s0
	s_mul_hi_u32 s37, s27, s35
	s_add_i32 s0, s0, s34
	s_mul_i32 s34, s27, s35
	s_mul_i32 s39, s33, s0
	s_mul_hi_u32 s38, s33, s0
	s_add_u32 s36, s36, s39
	s_addc_u32 s38, 0, s38
	s_mul_hi_u32 s35, s27, s0
	s_add_u32 s34, s36, s34
	s_mul_i32 s0, s27, s0
	s_addc_u32 s34, s38, s37
	s_addc_u32 s35, s35, 0
	s_add_u32 s0, s34, s0
	s_addc_u32 s34, 0, s35
	s_add_u32 s0, s33, s0
	s_cselect_b32 s33, -1, 0
	v_xor_b32_e32 v2, v2, v15
	s_cmp_lg_u32 s33, 0
	v_mul_hi_u32 v17, v16, s0
	s_addc_u32 s27, s27, s34
	v_mad_u64_u32 v[9:10], null, v16, s27, 0
	v_mad_u64_u32 v[11:12], null, v2, s0, 0
	;; [unrolled: 1-line block ×3, first 2 shown]
	v_add_co_u32 v9, vcc_lo, v17, v9
	v_add_co_ci_u32_e64 v10, null, 0, v10, vcc_lo
	v_add_co_u32 v9, vcc_lo, v9, v11
	v_add_co_ci_u32_e32 v9, vcc_lo, v10, v12, vcc_lo
	v_add_co_ci_u32_e32 v10, vcc_lo, 0, v14, vcc_lo
	v_add_co_u32 v11, vcc_lo, v9, v13
	v_add_co_ci_u32_e64 v12, null, 0, v10, vcc_lo
	v_mul_lo_u32 v13, s29, v11
	v_mad_u64_u32 v[9:10], null, s28, v11, 0
	v_mul_lo_u32 v14, s28, v12
	v_sub_co_u32 v9, vcc_lo, v16, v9
	v_add3_u32 v10, v10, v14, v13
	v_add_co_u32 v14, s0, v11, 2
	v_add_co_ci_u32_e64 v16, null, 0, v12, s0
	v_sub_nc_u32_e32 v13, v2, v10
	v_sub_co_u32 v17, s0, v9, s28
	v_sub_co_ci_u32_e64 v2, null, v2, v10, vcc_lo
	v_subrev_co_ci_u32_e64 v13, null, s29, v13, vcc_lo
	v_cmp_le_u32_e32 vcc_lo, s28, v17
	v_subrev_co_ci_u32_e64 v13, null, 0, v13, s0
	v_cndmask_b32_e64 v10, 0, -1, vcc_lo
	v_cmp_le_u32_e32 vcc_lo, s29, v13
	v_cndmask_b32_e64 v17, 0, -1, vcc_lo
	v_cmp_le_u32_e32 vcc_lo, s28, v9
	v_cndmask_b32_e64 v9, 0, -1, vcc_lo
	v_cmp_le_u32_e32 vcc_lo, s29, v2
	v_cndmask_b32_e64 v18, 0, -1, vcc_lo
	v_cmp_eq_u32_e32 vcc_lo, s29, v13
	v_cndmask_b32_e32 v10, v17, v10, vcc_lo
	v_add_co_u32 v13, vcc_lo, v11, 1
	v_add_co_ci_u32_e64 v17, null, 0, v12, vcc_lo
	v_cmp_eq_u32_e32 vcc_lo, s29, v2
	v_cndmask_b32_e32 v2, v18, v9, vcc_lo
	v_cmp_ne_u32_e32 vcc_lo, 0, v10
	v_xor_b32_e32 v10, s26, v15
	v_cmp_ne_u32_e64 s0, 0, v2
	v_cndmask_b32_e32 v2, v13, v14, vcc_lo
	v_cndmask_b32_e32 v9, v17, v16, vcc_lo
	v_cndmask_b32_e64 v2, v11, v2, s0
	v_cndmask_b32_e64 v9, v12, v9, s0
	v_xor_b32_e32 v2, v2, v10
	v_xor_b32_e32 v11, v9, v10
	v_sub_co_u32 v9, vcc_lo, v2, v10
	v_sub_co_ci_u32_e64 v10, null, v11, v10, vcc_lo
.LBB54_5:                               ;   in Loop: Header=BB54_3 Depth=1
	s_andn2_saveexec_b32 s0, s31
	s_cbranch_execz .LBB54_2
; %bb.6:                                ;   in Loop: Header=BB54_3 Depth=1
	v_mul_hi_u32 v2, v3, v0
	v_mul_lo_u32 v9, v2, s8
	v_add_nc_u32_e32 v10, 1, v2
	v_sub_nc_u32_e32 v9, v3, v9
	v_subrev_nc_u32_e32 v11, s8, v9
	v_cmp_le_u32_e32 vcc_lo, s8, v9
	v_cndmask_b32_e32 v9, v9, v11, vcc_lo
	v_cndmask_b32_e32 v2, v2, v10, vcc_lo
	v_cmp_le_u32_e32 vcc_lo, s8, v9
	v_add_nc_u32_e32 v10, 1, v2
	v_cndmask_b32_e32 v9, v2, v10, vcc_lo
	v_mov_b32_e32 v10, v1
	s_branch .LBB54_2
.LBB54_7:
	s_endpgm
	.section	.rodata,"a",@progbits
	.p2align	6, 0x0
	.amdhsa_kernel _ZN2at6native12_GLOBAL__N_16kernel17gru_cell_backwardIfflLi1EEEvNS_4cuda6detail10TensorInfoIT_T1_EES9_S9_S9_S9_S8_S8_
		.amdhsa_group_segment_fixed_size 0
		.amdhsa_private_segment_fixed_size 0
		.amdhsa_kernarg_size 2352
		.amdhsa_user_sgpr_count 6
		.amdhsa_user_sgpr_private_segment_buffer 1
		.amdhsa_user_sgpr_dispatch_ptr 0
		.amdhsa_user_sgpr_queue_ptr 0
		.amdhsa_user_sgpr_kernarg_segment_ptr 1
		.amdhsa_user_sgpr_dispatch_id 0
		.amdhsa_user_sgpr_flat_scratch_init 0
		.amdhsa_user_sgpr_private_segment_size 0
		.amdhsa_wavefront_size32 1
		.amdhsa_uses_dynamic_stack 0
		.amdhsa_system_sgpr_private_segment_wavefront_offset 0
		.amdhsa_system_sgpr_workgroup_id_x 1
		.amdhsa_system_sgpr_workgroup_id_y 0
		.amdhsa_system_sgpr_workgroup_id_z 0
		.amdhsa_system_sgpr_workgroup_info 0
		.amdhsa_system_vgpr_workitem_id 0
		.amdhsa_next_free_vgpr 36
		.amdhsa_next_free_sgpr 42
		.amdhsa_reserve_vcc 1
		.amdhsa_reserve_flat_scratch 0
		.amdhsa_float_round_mode_32 0
		.amdhsa_float_round_mode_16_64 0
		.amdhsa_float_denorm_mode_32 3
		.amdhsa_float_denorm_mode_16_64 3
		.amdhsa_dx10_clamp 1
		.amdhsa_ieee_mode 1
		.amdhsa_fp16_overflow 0
		.amdhsa_workgroup_processor_mode 1
		.amdhsa_memory_ordered 1
		.amdhsa_forward_progress 1
		.amdhsa_shared_vgpr_count 0
		.amdhsa_exception_fp_ieee_invalid_op 0
		.amdhsa_exception_fp_denorm_src 0
		.amdhsa_exception_fp_ieee_div_zero 0
		.amdhsa_exception_fp_ieee_overflow 0
		.amdhsa_exception_fp_ieee_underflow 0
		.amdhsa_exception_fp_ieee_inexact 0
		.amdhsa_exception_int_div_zero 0
	.end_amdhsa_kernel
	.section	.text._ZN2at6native12_GLOBAL__N_16kernel17gru_cell_backwardIfflLi1EEEvNS_4cuda6detail10TensorInfoIT_T1_EES9_S9_S9_S9_S8_S8_,"axG",@progbits,_ZN2at6native12_GLOBAL__N_16kernel17gru_cell_backwardIfflLi1EEEvNS_4cuda6detail10TensorInfoIT_T1_EES9_S9_S9_S9_S8_S8_,comdat
.Lfunc_end54:
	.size	_ZN2at6native12_GLOBAL__N_16kernel17gru_cell_backwardIfflLi1EEEvNS_4cuda6detail10TensorInfoIT_T1_EES9_S9_S9_S9_S8_S8_, .Lfunc_end54-_ZN2at6native12_GLOBAL__N_16kernel17gru_cell_backwardIfflLi1EEEvNS_4cuda6detail10TensorInfoIT_T1_EES9_S9_S9_S9_S8_S8_
                                        ; -- End function
	.set _ZN2at6native12_GLOBAL__N_16kernel17gru_cell_backwardIfflLi1EEEvNS_4cuda6detail10TensorInfoIT_T1_EES9_S9_S9_S9_S8_S8_.num_vgpr, 36
	.set _ZN2at6native12_GLOBAL__N_16kernel17gru_cell_backwardIfflLi1EEEvNS_4cuda6detail10TensorInfoIT_T1_EES9_S9_S9_S9_S8_S8_.num_agpr, 0
	.set _ZN2at6native12_GLOBAL__N_16kernel17gru_cell_backwardIfflLi1EEEvNS_4cuda6detail10TensorInfoIT_T1_EES9_S9_S9_S9_S8_S8_.numbered_sgpr, 42
	.set _ZN2at6native12_GLOBAL__N_16kernel17gru_cell_backwardIfflLi1EEEvNS_4cuda6detail10TensorInfoIT_T1_EES9_S9_S9_S9_S8_S8_.num_named_barrier, 0
	.set _ZN2at6native12_GLOBAL__N_16kernel17gru_cell_backwardIfflLi1EEEvNS_4cuda6detail10TensorInfoIT_T1_EES9_S9_S9_S9_S8_S8_.private_seg_size, 0
	.set _ZN2at6native12_GLOBAL__N_16kernel17gru_cell_backwardIfflLi1EEEvNS_4cuda6detail10TensorInfoIT_T1_EES9_S9_S9_S9_S8_S8_.uses_vcc, 1
	.set _ZN2at6native12_GLOBAL__N_16kernel17gru_cell_backwardIfflLi1EEEvNS_4cuda6detail10TensorInfoIT_T1_EES9_S9_S9_S9_S8_S8_.uses_flat_scratch, 0
	.set _ZN2at6native12_GLOBAL__N_16kernel17gru_cell_backwardIfflLi1EEEvNS_4cuda6detail10TensorInfoIT_T1_EES9_S9_S9_S9_S8_S8_.has_dyn_sized_stack, 0
	.set _ZN2at6native12_GLOBAL__N_16kernel17gru_cell_backwardIfflLi1EEEvNS_4cuda6detail10TensorInfoIT_T1_EES9_S9_S9_S9_S8_S8_.has_recursion, 0
	.set _ZN2at6native12_GLOBAL__N_16kernel17gru_cell_backwardIfflLi1EEEvNS_4cuda6detail10TensorInfoIT_T1_EES9_S9_S9_S9_S8_S8_.has_indirect_call, 0
	.section	.AMDGPU.csdata,"",@progbits
; Kernel info:
; codeLenInByte = 2296
; TotalNumSgprs: 44
; NumVgprs: 36
; ScratchSize: 0
; MemoryBound: 0
; FloatMode: 240
; IeeeMode: 1
; LDSByteSize: 0 bytes/workgroup (compile time only)
; SGPRBlocks: 0
; VGPRBlocks: 4
; NumSGPRsForWavesPerEU: 44
; NumVGPRsForWavesPerEU: 36
; Occupancy: 16
; WaveLimiterHint : 1
; COMPUTE_PGM_RSRC2:SCRATCH_EN: 0
; COMPUTE_PGM_RSRC2:USER_SGPR: 6
; COMPUTE_PGM_RSRC2:TRAP_HANDLER: 0
; COMPUTE_PGM_RSRC2:TGID_X_EN: 1
; COMPUTE_PGM_RSRC2:TGID_Y_EN: 0
; COMPUTE_PGM_RSRC2:TGID_Z_EN: 0
; COMPUTE_PGM_RSRC2:TIDIG_COMP_CNT: 0
	.section	.text._ZN2at6native12_GLOBAL__N_16kernel17gru_cell_backwardIfflLi2EEEvNS_4cuda6detail10TensorInfoIT_T1_EES9_S9_S9_S9_S8_S8_,"axG",@progbits,_ZN2at6native12_GLOBAL__N_16kernel17gru_cell_backwardIfflLi2EEEvNS_4cuda6detail10TensorInfoIT_T1_EES9_S9_S9_S9_S8_S8_,comdat
	.globl	_ZN2at6native12_GLOBAL__N_16kernel17gru_cell_backwardIfflLi2EEEvNS_4cuda6detail10TensorInfoIT_T1_EES9_S9_S9_S9_S8_S8_ ; -- Begin function _ZN2at6native12_GLOBAL__N_16kernel17gru_cell_backwardIfflLi2EEEvNS_4cuda6detail10TensorInfoIT_T1_EES9_S9_S9_S9_S8_S8_
	.p2align	8
	.type	_ZN2at6native12_GLOBAL__N_16kernel17gru_cell_backwardIfflLi2EEEvNS_4cuda6detail10TensorInfoIT_T1_EES9_S9_S9_S9_S8_S8_,@function
_ZN2at6native12_GLOBAL__N_16kernel17gru_cell_backwardIfflLi2EEEvNS_4cuda6detail10TensorInfoIT_T1_EES9_S9_S9_S9_S8_S8_: ; @_ZN2at6native12_GLOBAL__N_16kernel17gru_cell_backwardIfflLi2EEEvNS_4cuda6detail10TensorInfoIT_T1_EES9_S9_S9_S9_S8_S8_
; %bb.0:
	s_clause 0x1
	s_load_dword s2, s[4:5], 0x83c
	s_load_dwordx4 s[8:11], s[4:5], 0x820
	v_mov_b32_e32 v1, 0
	s_add_u32 s0, s4, 0x830
	s_addc_u32 s1, s5, 0
	s_waitcnt lgkmcnt(0)
	s_and_b32 s33, s2, 0xffff
	s_mov_b32 s2, exec_lo
	v_mad_u64_u32 v[3:4], null, s6, s33, v[0:1]
	v_mov_b32_e32 v4, v1
	v_cmpx_gt_i64_e64 s[10:11], v[3:4]
	s_cbranch_execz .LBB55_59
; %bb.1:
	v_cvt_f32_u32_e32 v0, s8
	s_clause 0x5
	s_load_dwordx2 s[2:3], s[4:5], 0x0
	s_load_dwordx2 s[28:29], s[4:5], 0x10
	s_load_dwordx4 s[12:15], s[4:5], 0xd0
	s_load_dwordx2 s[30:31], s[4:5], 0x1a0
	s_load_dwordx2 s[34:35], s[4:5], 0x1b0
	s_load_dwordx4 s[16:19], s[4:5], 0x270
	s_load_dword s0, s[0:1], 0x0
	s_clause 0x8
	s_load_dwordx2 s[36:37], s[4:5], 0x340
	s_load_dwordx2 s[38:39], s[4:5], 0x350
	s_load_dwordx4 s[20:23], s[4:5], 0x410
	s_load_dwordx2 s[40:41], s[4:5], 0x4e0
	s_load_dwordx2 s[42:43], s[4:5], 0x4f0
	s_load_dwordx4 s[24:27], s[4:5], 0x5b0
	;; [unrolled: 3-line block ×3, first 2 shown]
	s_lshl_b64 s[48:49], s[8:9], 2
	v_rcp_iflag_f32_e32 v0, v0
	s_lshl_b64 s[50:51], s[8:9], 1
	s_mov_b32 s1, 0
	v_mul_f32_e32 v0, 0x4f7ffffe, v0
	s_waitcnt lgkmcnt(0)
	s_mul_i32 s33, s0, s33
	s_sub_u32 s58, 0, s38
	v_cvt_u32_f32_e32 v0, v0
	s_subb_u32 s59, 0, s39
	s_sub_u32 s60, 0, s42
	s_subb_u32 s61, 0, s43
	s_ashr_i32 s52, s9, 31
	s_branch .LBB55_3
.LBB55_2:                               ;   in Loop: Header=BB55_3 Depth=1
	s_or_b32 exec_lo, exec_lo, s0
	v_mad_u64_u32 v[7:8], null, s60, v5, v[3:4]
	v_mul_lo_u32 v2, s60, v6
	v_mul_lo_u32 v9, s61, v5
	;; [unrolled: 1-line block ×4, first 2 shown]
	v_mad_u64_u32 v[5:6], null, v5, s24, 0
	v_add_co_u32 v3, vcc_lo, v3, s33
	v_add_co_ci_u32_e64 v4, null, 0, v4, vcc_lo
	v_add3_u32 v2, v9, v8, v2
	v_mul_lo_u32 v9, v7, s27
	v_mad_u64_u32 v[7:8], null, v7, s26, 0
	v_add3_u32 v6, v6, v11, v10
	v_mul_lo_u32 v2, v2, s26
	v_mul_f32_e32 v10, v15, v16
	v_lshlrev_b64 v[5:6], 2, v[5:6]
	v_add3_u32 v8, v8, v9, v2
	v_add_co_u32 v2, vcc_lo, s40, v5
	v_add_co_ci_u32_e64 v6, null, s41, v6, vcc_lo
	v_lshlrev_b64 v[7:8], 2, v[7:8]
	v_cmp_le_i64_e32 vcc_lo, s[10:11], v[3:4]
	v_add_co_u32 v5, s0, v2, v7
	v_add_co_ci_u32_e64 v6, null, v6, v8, s0
	s_or_b32 s1, vcc_lo, s1
	global_store_dword v[5:6], v10, off
	s_andn2_b32 exec_lo, exec_lo, s1
	s_cbranch_execz .LBB55_59
.LBB55_3:                               ; =>This Inner Loop Header: Depth=1
	v_or_b32_e32 v2, s9, v4
	v_ashrrev_i32_e32 v13, 31, v4
                                        ; implicit-def: $vgpr5_vgpr6
	s_mov_b32 s0, exec_lo
	v_cmpx_ne_u64_e32 0, v[1:2]
	s_xor_b32 s56, exec_lo, s0
	s_cbranch_execz .LBB55_5
; %bb.4:                                ;   in Loop: Header=BB55_3 Depth=1
	s_add_u32 s54, s8, s52
	s_mov_b32 s53, s52
	s_addc_u32 s55, s9, s52
	v_add_co_u32 v6, vcc_lo, v3, v13
	s_xor_b64 s[54:55], s[54:55], s[52:53]
	v_add_co_ci_u32_e64 v7, null, v4, v13, vcc_lo
	v_cvt_f32_u32_e32 v2, s54
	v_cvt_f32_u32_e32 v5, s55
	s_sub_u32 s57, 0, s54
	s_subb_u32 s62, 0, s55
	v_xor_b32_e32 v11, v7, v13
	v_fmac_f32_e32 v2, 0x4f800000, v5
	v_rcp_f32_e32 v2, v2
	v_mul_f32_e32 v2, 0x5f7ffffc, v2
	v_mul_f32_e32 v5, 0x2f800000, v2
	v_trunc_f32_e32 v5, v5
	v_fmac_f32_e32 v2, 0xcf800000, v5
	v_cvt_u32_f32_e32 v5, v5
	v_cvt_u32_f32_e32 v2, v2
	v_readfirstlane_b32 s0, v5
	v_readfirstlane_b32 s53, v2
	s_mul_i32 s63, s57, s0
	v_xor_b32_e32 v2, v6, v13
	s_mul_hi_u32 s65, s57, s53
	s_mul_i32 s64, s62, s53
	s_add_i32 s63, s65, s63
	s_mul_i32 s66, s57, s53
	s_add_i32 s63, s63, s64
	s_mul_hi_u32 s65, s53, s66
	s_mul_i32 s68, s53, s63
	s_mul_hi_u32 s67, s0, s66
	s_mul_i32 s64, s0, s66
	s_mul_hi_u32 s66, s53, s63
	s_add_u32 s65, s65, s68
	s_addc_u32 s66, 0, s66
	s_mul_hi_u32 s69, s0, s63
	s_add_u32 s64, s65, s64
	s_mul_i32 s63, s0, s63
	s_addc_u32 s64, s66, s67
	s_addc_u32 s65, s69, 0
	s_add_u32 s63, s64, s63
	s_addc_u32 s64, 0, s65
	s_add_u32 s53, s53, s63
	s_cselect_b32 s63, -1, 0
	s_mul_hi_u32 s65, s57, s53
	s_cmp_lg_u32 s63, 0
	s_mul_i32 s63, s57, s53
	s_addc_u32 s0, s0, s64
	s_mul_i32 s62, s62, s53
	s_mul_i32 s57, s57, s0
	s_mul_hi_u32 s64, s53, s63
	s_add_i32 s57, s65, s57
	s_mul_hi_u32 s65, s0, s63
	s_add_i32 s57, s57, s62
	s_mul_i32 s62, s0, s63
	s_mul_i32 s67, s53, s57
	s_mul_hi_u32 s66, s53, s57
	s_add_u32 s64, s64, s67
	s_addc_u32 s66, 0, s66
	s_mul_hi_u32 s63, s0, s57
	s_add_u32 s62, s64, s62
	s_mul_i32 s57, s0, s57
	s_addc_u32 s62, s66, s65
	s_addc_u32 s63, s63, 0
	s_add_u32 s57, s62, s57
	s_addc_u32 s62, 0, s63
	s_add_u32 s53, s53, s57
	s_cselect_b32 s57, -1, 0
	v_mul_hi_u32 v12, v2, s53
	s_cmp_lg_u32 s57, 0
	v_mad_u64_u32 v[7:8], null, v11, s53, 0
	s_addc_u32 s0, s0, s62
	v_mad_u64_u32 v[5:6], null, v2, s0, 0
	v_mad_u64_u32 v[9:10], null, v11, s0, 0
	v_add_co_u32 v5, vcc_lo, v12, v5
	v_add_co_ci_u32_e64 v6, null, 0, v6, vcc_lo
	v_add_co_u32 v5, vcc_lo, v5, v7
	v_add_co_ci_u32_e32 v5, vcc_lo, v6, v8, vcc_lo
	v_add_co_ci_u32_e32 v6, vcc_lo, 0, v10, vcc_lo
	v_add_co_u32 v7, vcc_lo, v5, v9
	v_add_co_ci_u32_e64 v8, null, 0, v6, vcc_lo
	v_mul_lo_u32 v9, s55, v7
	v_mad_u64_u32 v[5:6], null, s54, v7, 0
	v_mul_lo_u32 v10, s54, v8
	v_sub_co_u32 v2, vcc_lo, v2, v5
	v_add3_u32 v6, v6, v10, v9
	v_sub_nc_u32_e32 v9, v11, v6
	v_sub_co_ci_u32_e64 v6, null, v11, v6, vcc_lo
	v_subrev_co_ci_u32_e64 v5, null, s55, v9, vcc_lo
	v_add_co_u32 v9, s0, v7, 2
	v_add_co_ci_u32_e64 v10, null, 0, v8, s0
	v_sub_co_u32 v12, s0, v2, s54
	v_subrev_co_ci_u32_e64 v5, null, 0, v5, s0
	v_cmp_le_u32_e32 vcc_lo, s54, v12
	v_cndmask_b32_e64 v11, 0, -1, vcc_lo
	v_cmp_le_u32_e32 vcc_lo, s55, v5
	v_cndmask_b32_e64 v12, 0, -1, vcc_lo
	;; [unrolled: 2-line block ×4, first 2 shown]
	v_cmp_eq_u32_e32 vcc_lo, s55, v5
	v_cndmask_b32_e32 v5, v12, v11, vcc_lo
	v_add_co_u32 v11, vcc_lo, v7, 1
	v_add_co_ci_u32_e64 v12, null, 0, v8, vcc_lo
	v_cmp_eq_u32_e32 vcc_lo, s55, v6
	v_xor_b32_e32 v6, s52, v13
	v_cndmask_b32_e32 v2, v14, v2, vcc_lo
	v_cmp_ne_u32_e32 vcc_lo, 0, v5
	v_cmp_ne_u32_e64 s0, 0, v2
	v_cndmask_b32_e32 v2, v11, v9, vcc_lo
	v_cndmask_b32_e32 v5, v12, v10, vcc_lo
	v_cndmask_b32_e64 v2, v7, v2, s0
	v_cndmask_b32_e64 v5, v8, v5, s0
	v_xor_b32_e32 v2, v2, v6
	v_xor_b32_e32 v7, v5, v6
	v_sub_co_u32 v5, vcc_lo, v2, v6
	v_sub_co_ci_u32_e64 v6, null, v7, v6, vcc_lo
.LBB55_5:                               ;   in Loop: Header=BB55_3 Depth=1
	s_andn2_saveexec_b32 s0, s56
	s_cbranch_execz .LBB55_7
; %bb.6:                                ;   in Loop: Header=BB55_3 Depth=1
	s_sub_i32 s53, 0, s8
	v_mul_lo_u32 v2, s53, v0
	v_mul_hi_u32 v2, v0, v2
	v_add_nc_u32_e32 v2, v0, v2
	v_mul_hi_u32 v2, v3, v2
	v_mul_lo_u32 v5, v2, s8
	v_add_nc_u32_e32 v6, 1, v2
	v_sub_nc_u32_e32 v5, v3, v5
	v_subrev_nc_u32_e32 v7, s8, v5
	v_cmp_le_u32_e32 vcc_lo, s8, v5
	v_cndmask_b32_e32 v5, v5, v7, vcc_lo
	v_cndmask_b32_e32 v2, v2, v6, vcc_lo
	v_cmp_le_u32_e32 vcc_lo, s8, v5
	v_add_nc_u32_e32 v6, 1, v2
	v_cndmask_b32_e32 v5, v2, v6, vcc_lo
	v_mov_b32_e32 v6, v1
.LBB55_7:                               ;   in Loop: Header=BB55_3 Depth=1
	s_or_b32 exec_lo, exec_lo, s0
	v_mul_lo_u32 v2, s49, v5
	v_mul_lo_u32 v9, s48, v6
	v_mad_u64_u32 v[7:8], null, s48, v5, 0
	s_mov_b32 s0, exec_lo
	v_add3_u32 v8, v8, v9, v2
	v_add_co_u32 v11, vcc_lo, v3, v7
                                        ; implicit-def: $vgpr9_vgpr10
	v_add_co_ci_u32_e64 v12, null, v4, v8, vcc_lo
	v_or_b32_e32 v2, s47, v12
	v_cmpx_ne_u64_e32 0, v[1:2]
	s_xor_b32 s53, exec_lo, s0
	s_cbranch_execz .LBB55_9
; %bb.8:                                ;   in Loop: Header=BB55_3 Depth=1
	s_ashr_i32 s54, s47, 31
	v_ashrrev_i32_e32 v16, 31, v12
	s_add_u32 s56, s46, s54
	s_mov_b32 s55, s54
	s_addc_u32 s57, s47, s54
	s_xor_b64 s[56:57], s[56:57], s[54:55]
	v_add_co_u32 v10, vcc_lo, v11, v16
	v_cvt_f32_u32_e32 v2, s56
	v_cvt_f32_u32_e32 v9, s57
	s_sub_u32 s62, 0, s56
	s_subb_u32 s63, 0, s57
	v_add_co_ci_u32_e64 v11, null, v12, v16, vcc_lo
	v_fmac_f32_e32 v2, 0x4f800000, v9
	v_xor_b32_e32 v17, v11, v16
	v_rcp_f32_e32 v2, v2
	v_mul_f32_e32 v2, 0x5f7ffffc, v2
	v_mul_f32_e32 v9, 0x2f800000, v2
	v_trunc_f32_e32 v9, v9
	v_fmac_f32_e32 v2, 0xcf800000, v9
	v_cvt_u32_f32_e32 v9, v9
	v_cvt_u32_f32_e32 v2, v2
	v_readfirstlane_b32 s0, v9
	v_readfirstlane_b32 s55, v2
	s_mul_i32 s64, s62, s0
	v_xor_b32_e32 v2, v10, v16
	s_mul_hi_u32 s66, s62, s55
	s_mul_i32 s65, s63, s55
	s_add_i32 s64, s66, s64
	s_mul_i32 s67, s62, s55
	s_add_i32 s64, s64, s65
	s_mul_hi_u32 s66, s55, s67
	s_mul_i32 s69, s55, s64
	s_mul_hi_u32 s68, s0, s67
	s_mul_i32 s65, s0, s67
	s_mul_hi_u32 s67, s55, s64
	s_add_u32 s66, s66, s69
	s_addc_u32 s67, 0, s67
	s_mul_hi_u32 s70, s0, s64
	s_add_u32 s65, s66, s65
	s_mul_i32 s64, s0, s64
	s_addc_u32 s65, s67, s68
	s_addc_u32 s66, s70, 0
	s_add_u32 s64, s65, s64
	s_addc_u32 s65, 0, s66
	s_add_u32 s55, s55, s64
	s_cselect_b32 s64, -1, 0
	s_mul_hi_u32 s66, s62, s55
	s_cmp_lg_u32 s64, 0
	s_mul_i32 s64, s62, s55
	s_addc_u32 s0, s0, s65
	s_mul_i32 s63, s63, s55
	s_mul_i32 s62, s62, s0
	s_mul_hi_u32 s65, s55, s64
	s_add_i32 s62, s66, s62
	s_mul_hi_u32 s66, s0, s64
	s_add_i32 s62, s62, s63
	s_mul_i32 s63, s0, s64
	s_mul_i32 s68, s55, s62
	s_mul_hi_u32 s67, s55, s62
	s_add_u32 s65, s65, s68
	s_addc_u32 s67, 0, s67
	s_mul_hi_u32 s64, s0, s62
	s_add_u32 s63, s65, s63
	s_mul_i32 s62, s0, s62
	s_addc_u32 s63, s67, s66
	s_addc_u32 s64, s64, 0
	s_add_u32 s62, s63, s62
	s_addc_u32 s63, 0, s64
	s_add_u32 s55, s55, s62
	s_cselect_b32 s62, -1, 0
	v_mul_hi_u32 v18, v2, s55
	s_cmp_lg_u32 s62, 0
	v_mad_u64_u32 v[11:12], null, v17, s55, 0
	s_addc_u32 s0, s0, s63
	v_mad_u64_u32 v[9:10], null, v2, s0, 0
	v_mad_u64_u32 v[14:15], null, v17, s0, 0
	v_add_co_u32 v9, vcc_lo, v18, v9
	v_add_co_ci_u32_e64 v10, null, 0, v10, vcc_lo
	v_add_co_u32 v9, vcc_lo, v9, v11
	v_add_co_ci_u32_e32 v9, vcc_lo, v10, v12, vcc_lo
	v_add_co_ci_u32_e32 v10, vcc_lo, 0, v15, vcc_lo
	v_add_co_u32 v11, vcc_lo, v9, v14
	v_add_co_ci_u32_e64 v12, null, 0, v10, vcc_lo
	v_mul_lo_u32 v14, s57, v11
	v_mad_u64_u32 v[9:10], null, s56, v11, 0
	v_mul_lo_u32 v15, s56, v12
	v_sub_co_u32 v2, vcc_lo, v2, v9
	v_add3_u32 v10, v10, v15, v14
	v_sub_nc_u32_e32 v14, v17, v10
	v_sub_co_ci_u32_e64 v10, null, v17, v10, vcc_lo
	v_subrev_co_ci_u32_e64 v9, null, s57, v14, vcc_lo
	v_add_co_u32 v14, s0, v11, 2
	v_add_co_ci_u32_e64 v15, null, 0, v12, s0
	v_sub_co_u32 v18, s0, v2, s56
	v_subrev_co_ci_u32_e64 v9, null, 0, v9, s0
	v_cmp_le_u32_e32 vcc_lo, s56, v18
	v_cndmask_b32_e64 v17, 0, -1, vcc_lo
	v_cmp_le_u32_e32 vcc_lo, s57, v9
	v_cndmask_b32_e64 v18, 0, -1, vcc_lo
	;; [unrolled: 2-line block ×4, first 2 shown]
	v_cmp_eq_u32_e32 vcc_lo, s57, v9
	v_cndmask_b32_e32 v9, v18, v17, vcc_lo
	v_add_co_u32 v17, vcc_lo, v11, 1
	v_add_co_ci_u32_e64 v18, null, 0, v12, vcc_lo
	v_cmp_eq_u32_e32 vcc_lo, s57, v10
	v_xor_b32_e32 v10, s54, v16
	v_cndmask_b32_e32 v2, v19, v2, vcc_lo
	v_cmp_ne_u32_e32 vcc_lo, 0, v9
	v_cmp_ne_u32_e64 s0, 0, v2
	v_cndmask_b32_e32 v2, v17, v14, vcc_lo
	v_cndmask_b32_e32 v9, v18, v15, vcc_lo
	v_cndmask_b32_e64 v2, v11, v2, s0
	v_cndmask_b32_e64 v9, v12, v9, s0
	v_xor_b32_e32 v2, v2, v10
	v_xor_b32_e32 v11, v9, v10
	v_sub_co_u32 v9, vcc_lo, v2, v10
	v_sub_co_ci_u32_e64 v10, null, v11, v10, vcc_lo
                                        ; implicit-def: $vgpr11
.LBB55_9:                               ;   in Loop: Header=BB55_3 Depth=1
	s_or_saveexec_b32 s0, s53
	v_cvt_f32_u32_e32 v16, s46
	s_xor_b32 exec_lo, exec_lo, s0
	s_cbranch_execz .LBB55_11
; %bb.10:                               ;   in Loop: Header=BB55_3 Depth=1
	v_rcp_iflag_f32_e32 v2, v16
	s_sub_i32 s53, 0, s46
	v_mul_f32_e32 v2, 0x4f7ffffe, v2
	v_cvt_u32_f32_e32 v2, v2
	v_mul_lo_u32 v9, s53, v2
	v_mul_hi_u32 v9, v2, v9
	v_add_nc_u32_e32 v2, v2, v9
	v_mul_hi_u32 v2, v11, v2
	v_mul_lo_u32 v9, v2, s46
	v_add_nc_u32_e32 v10, 1, v2
	v_sub_nc_u32_e32 v9, v11, v9
	v_subrev_nc_u32_e32 v11, s46, v9
	v_cmp_le_u32_e32 vcc_lo, s46, v9
	v_cndmask_b32_e32 v9, v9, v11, vcc_lo
	v_cndmask_b32_e32 v2, v2, v10, vcc_lo
	v_cmp_le_u32_e32 vcc_lo, s46, v9
	v_add_nc_u32_e32 v10, 1, v2
	v_cndmask_b32_e32 v9, v2, v10, vcc_lo
	v_mov_b32_e32 v10, v1
.LBB55_11:                              ;   in Loop: Header=BB55_3 Depth=1
	s_or_b32 exec_lo, exec_lo, s0
	v_mul_lo_u32 v2, v10, s46
	v_mul_lo_u32 v14, v9, s47
	v_mad_u64_u32 v[11:12], null, v9, s46, 0
	s_mov_b32 s0, exec_lo
	v_add3_u32 v2, v12, v14, v2
	v_sub_co_u32 v7, vcc_lo, v7, v11
	v_mul_lo_u32 v12, v10, s4
	v_mul_lo_u32 v11, v9, s5
	v_sub_co_ci_u32_e64 v2, null, v8, v2, vcc_lo
	v_add_co_u32 v10, vcc_lo, v3, v7
	v_mad_u64_u32 v[7:8], null, v9, s4, 0
	v_add_co_ci_u32_e64 v2, null, v4, v2, vcc_lo
	v_mul_lo_u32 v14, v10, s7
	v_mad_u64_u32 v[9:10], null, v10, s6, 0
	v_mul_lo_u32 v2, v2, s6
	v_add3_u32 v8, v8, v11, v12
	v_lshlrev_b64 v[7:8], 2, v[7:8]
	v_add3_u32 v10, v10, v14, v2
	v_add_co_u32 v2, vcc_lo, s44, v7
	v_lshlrev_b64 v[9:10], 2, v[9:10]
	v_add_co_ci_u32_e64 v8, null, s45, v8, vcc_lo
	v_add_co_u32 v7, vcc_lo, v2, v9
	v_add_co_ci_u32_e64 v8, null, v8, v10, vcc_lo
	v_alignbit_b32 v2, v6, v5, 30
	global_load_dword v14, v[7:8], off
	v_lshlrev_b64 v[7:8], 2, v[5:6]
	v_mul_lo_u32 v2, s8, v2
	v_mul_lo_u32 v11, s9, v7
	v_mad_u64_u32 v[9:10], null, s8, v7, s[8:9]
	v_add3_u32 v10, v11, v10, v2
	v_add_co_u32 v15, vcc_lo, v3, v9
                                        ; implicit-def: $vgpr11_vgpr12
	v_add_co_ci_u32_e64 v17, null, v4, v10, vcc_lo
	v_or_b32_e32 v2, s47, v17
	v_cmpx_ne_u64_e32 0, v[1:2]
	s_xor_b32 s53, exec_lo, s0
	s_cbranch_execz .LBB55_13
; %bb.12:                               ;   in Loop: Header=BB55_3 Depth=1
	s_ashr_i32 s54, s47, 31
	v_ashrrev_i32_e32 v21, 31, v17
	s_add_u32 s56, s46, s54
	s_mov_b32 s55, s54
	s_addc_u32 s57, s47, s54
	s_xor_b64 s[56:57], s[56:57], s[54:55]
	v_add_co_u32 v12, vcc_lo, v15, v21
	v_cvt_f32_u32_e32 v2, s56
	v_cvt_f32_u32_e32 v11, s57
	s_sub_u32 s62, 0, s56
	s_subb_u32 s63, 0, s57
	v_add_co_ci_u32_e64 v15, null, v17, v21, vcc_lo
	v_fmac_f32_e32 v2, 0x4f800000, v11
	v_xor_b32_e32 v15, v15, v21
	v_rcp_f32_e32 v2, v2
	v_mul_f32_e32 v2, 0x5f7ffffc, v2
	v_mul_f32_e32 v11, 0x2f800000, v2
	v_trunc_f32_e32 v11, v11
	v_fmac_f32_e32 v2, 0xcf800000, v11
	v_cvt_u32_f32_e32 v11, v11
	v_cvt_u32_f32_e32 v2, v2
	v_readfirstlane_b32 s0, v11
	v_readfirstlane_b32 s55, v2
	s_mul_i32 s64, s62, s0
	v_xor_b32_e32 v2, v12, v21
	s_mul_hi_u32 s66, s62, s55
	s_mul_i32 s65, s63, s55
	s_add_i32 s64, s66, s64
	s_mul_i32 s67, s62, s55
	s_add_i32 s64, s64, s65
	s_mul_hi_u32 s66, s55, s67
	s_mul_i32 s69, s55, s64
	s_mul_hi_u32 s68, s0, s67
	s_mul_i32 s65, s0, s67
	s_mul_hi_u32 s67, s55, s64
	s_add_u32 s66, s66, s69
	s_addc_u32 s67, 0, s67
	s_mul_hi_u32 s70, s0, s64
	s_add_u32 s65, s66, s65
	s_mul_i32 s64, s0, s64
	s_addc_u32 s65, s67, s68
	s_addc_u32 s66, s70, 0
	s_add_u32 s64, s65, s64
	s_addc_u32 s65, 0, s66
	s_add_u32 s55, s55, s64
	s_cselect_b32 s64, -1, 0
	s_mul_hi_u32 s66, s62, s55
	s_cmp_lg_u32 s64, 0
	s_mul_i32 s64, s62, s55
	s_addc_u32 s0, s0, s65
	s_mul_i32 s63, s63, s55
	s_mul_i32 s62, s62, s0
	s_mul_hi_u32 s65, s55, s64
	s_add_i32 s62, s66, s62
	s_mul_hi_u32 s66, s0, s64
	s_add_i32 s62, s62, s63
	s_mul_i32 s63, s0, s64
	s_mul_i32 s68, s55, s62
	s_mul_hi_u32 s67, s55, s62
	s_add_u32 s65, s65, s68
	s_addc_u32 s67, 0, s67
	s_mul_hi_u32 s64, s0, s62
	s_add_u32 s63, s65, s63
	s_mul_i32 s62, s0, s62
	s_addc_u32 s63, s67, s66
	s_addc_u32 s64, s64, 0
	s_add_u32 s62, s63, s62
	s_addc_u32 s63, 0, s64
	s_add_u32 s55, s55, s62
	s_cselect_b32 s62, -1, 0
	v_mul_hi_u32 v22, v2, s55
	s_cmp_lg_u32 s62, 0
	v_mad_u64_u32 v[17:18], null, v15, s55, 0
	s_addc_u32 s0, s0, s63
	v_mad_u64_u32 v[11:12], null, v2, s0, 0
	v_mad_u64_u32 v[19:20], null, v15, s0, 0
	v_add_co_u32 v11, vcc_lo, v22, v11
	v_add_co_ci_u32_e64 v12, null, 0, v12, vcc_lo
	v_add_co_u32 v11, vcc_lo, v11, v17
	v_add_co_ci_u32_e32 v11, vcc_lo, v12, v18, vcc_lo
	v_add_co_ci_u32_e32 v12, vcc_lo, 0, v20, vcc_lo
	v_add_co_u32 v17, vcc_lo, v11, v19
	v_add_co_ci_u32_e64 v18, null, 0, v12, vcc_lo
	v_mul_lo_u32 v19, s57, v17
	v_mad_u64_u32 v[11:12], null, s56, v17, 0
	v_mul_lo_u32 v20, s56, v18
	v_sub_co_u32 v2, vcc_lo, v2, v11
	v_add3_u32 v12, v12, v20, v19
	v_sub_nc_u32_e32 v19, v15, v12
	v_sub_co_ci_u32_e64 v12, null, v15, v12, vcc_lo
	v_subrev_co_ci_u32_e64 v11, null, s57, v19, vcc_lo
	v_add_co_u32 v19, s0, v17, 2
	v_add_co_ci_u32_e64 v20, null, 0, v18, s0
	v_sub_co_u32 v22, s0, v2, s56
	v_subrev_co_ci_u32_e64 v11, null, 0, v11, s0
	v_cmp_le_u32_e32 vcc_lo, s56, v22
	v_cndmask_b32_e64 v15, 0, -1, vcc_lo
	v_cmp_le_u32_e32 vcc_lo, s57, v11
	v_cndmask_b32_e64 v22, 0, -1, vcc_lo
	;; [unrolled: 2-line block ×4, first 2 shown]
	v_cmp_eq_u32_e32 vcc_lo, s57, v11
	v_cndmask_b32_e32 v11, v22, v15, vcc_lo
	v_add_co_u32 v15, vcc_lo, v17, 1
	v_add_co_ci_u32_e64 v22, null, 0, v18, vcc_lo
	v_cmp_eq_u32_e32 vcc_lo, s57, v12
	v_xor_b32_e32 v12, s54, v21
	v_cndmask_b32_e32 v2, v23, v2, vcc_lo
	v_cmp_ne_u32_e32 vcc_lo, 0, v11
	v_cmp_ne_u32_e64 s0, 0, v2
	v_cndmask_b32_e32 v2, v15, v19, vcc_lo
	v_cndmask_b32_e32 v11, v22, v20, vcc_lo
	v_cndmask_b32_e64 v2, v17, v2, s0
	v_cndmask_b32_e64 v11, v18, v11, s0
	v_xor_b32_e32 v2, v2, v12
	v_xor_b32_e32 v15, v11, v12
	v_sub_co_u32 v11, vcc_lo, v2, v12
	v_sub_co_ci_u32_e64 v12, null, v15, v12, vcc_lo
                                        ; implicit-def: $vgpr15
.LBB55_13:                              ;   in Loop: Header=BB55_3 Depth=1
	s_andn2_saveexec_b32 s0, s53
	s_cbranch_execz .LBB55_15
; %bb.14:                               ;   in Loop: Header=BB55_3 Depth=1
	v_rcp_iflag_f32_e32 v2, v16
	s_sub_i32 s53, 0, s46
	v_mul_f32_e32 v2, 0x4f7ffffe, v2
	v_cvt_u32_f32_e32 v2, v2
	v_mul_lo_u32 v11, s53, v2
	v_mul_hi_u32 v11, v2, v11
	v_add_nc_u32_e32 v2, v2, v11
	v_mul_hi_u32 v2, v15, v2
	v_mul_lo_u32 v11, v2, s46
	v_add_nc_u32_e32 v12, 1, v2
	v_sub_nc_u32_e32 v11, v15, v11
	v_subrev_nc_u32_e32 v15, s46, v11
	v_cmp_le_u32_e32 vcc_lo, s46, v11
	v_cndmask_b32_e32 v11, v11, v15, vcc_lo
	v_cndmask_b32_e32 v2, v2, v12, vcc_lo
	v_cmp_le_u32_e32 vcc_lo, s46, v11
	v_add_nc_u32_e32 v12, 1, v2
	v_cndmask_b32_e32 v11, v2, v12, vcc_lo
	v_mov_b32_e32 v12, v1
.LBB55_15:                              ;   in Loop: Header=BB55_3 Depth=1
	s_or_b32 exec_lo, exec_lo, s0
	v_mul_lo_u32 v2, v12, s46
	v_mul_lo_u32 v15, v11, s47
	v_mad_u64_u32 v[17:18], null, v11, s46, 0
	s_mov_b32 s0, exec_lo
	v_add3_u32 v2, v18, v15, v2
	v_sub_co_u32 v9, vcc_lo, v9, v17
	v_mul_lo_u32 v15, v12, s4
	v_mul_lo_u32 v17, v11, s5
	v_sub_co_ci_u32_e64 v2, null, v10, v2, vcc_lo
	v_add_co_u32 v12, vcc_lo, v3, v9
	v_mad_u64_u32 v[9:10], null, v11, s4, 0
	v_add_co_ci_u32_e64 v2, null, v4, v2, vcc_lo
	v_mul_lo_u32 v18, v12, s7
	v_mad_u64_u32 v[11:12], null, v12, s6, 0
	v_mul_lo_u32 v2, v2, s6
	v_add3_u32 v10, v10, v17, v15
	v_lshlrev_b64 v[9:10], 2, v[9:10]
	v_add3_u32 v12, v12, v18, v2
	v_add_co_u32 v2, vcc_lo, s44, v9
	v_lshlrev_b64 v[11:12], 2, v[11:12]
	v_add_co_ci_u32_e64 v10, null, s45, v10, vcc_lo
	v_add_co_u32 v9, vcc_lo, v2, v11
	v_add_co_ci_u32_e64 v10, null, v10, v12, vcc_lo
	v_add_co_u32 v2, vcc_lo, v7, 2
	global_load_dword v15, v[9:10], off
	v_add_co_ci_u32_e64 v9, null, 0, v8, vcc_lo
	v_mul_lo_u32 v11, s9, v2
	v_mul_lo_u32 v12, s8, v9
	v_mad_u64_u32 v[9:10], null, s8, v2, 0
	v_add3_u32 v10, v10, v12, v11
	v_add_co_u32 v17, vcc_lo, v3, v9
                                        ; implicit-def: $vgpr11_vgpr12
	v_add_co_ci_u32_e64 v18, null, v4, v10, vcc_lo
	v_or_b32_e32 v2, s47, v18
	v_cmpx_ne_u64_e32 0, v[1:2]
	s_xor_b32 s53, exec_lo, s0
	s_cbranch_execz .LBB55_17
; %bb.16:                               ;   in Loop: Header=BB55_3 Depth=1
	s_ashr_i32 s54, s47, 31
	v_ashrrev_i32_e32 v21, 31, v18
	s_add_u32 s56, s46, s54
	s_mov_b32 s55, s54
	s_addc_u32 s57, s47, s54
	s_xor_b64 s[56:57], s[56:57], s[54:55]
	v_add_co_u32 v12, vcc_lo, v17, v21
	v_cvt_f32_u32_e32 v2, s56
	v_cvt_f32_u32_e32 v11, s57
	s_sub_u32 s62, 0, s56
	s_subb_u32 s63, 0, s57
	v_add_co_ci_u32_e64 v17, null, v18, v21, vcc_lo
	v_fmac_f32_e32 v2, 0x4f800000, v11
	v_xor_b32_e32 v22, v17, v21
	v_rcp_f32_e32 v2, v2
	v_mul_f32_e32 v2, 0x5f7ffffc, v2
	v_mul_f32_e32 v11, 0x2f800000, v2
	v_trunc_f32_e32 v11, v11
	v_fmac_f32_e32 v2, 0xcf800000, v11
	v_cvt_u32_f32_e32 v11, v11
	v_cvt_u32_f32_e32 v2, v2
	v_readfirstlane_b32 s0, v11
	v_readfirstlane_b32 s55, v2
	s_mul_i32 s64, s62, s0
	v_xor_b32_e32 v2, v12, v21
	s_mul_hi_u32 s66, s62, s55
	s_mul_i32 s65, s63, s55
	s_add_i32 s64, s66, s64
	s_mul_i32 s67, s62, s55
	s_add_i32 s64, s64, s65
	s_mul_hi_u32 s66, s55, s67
	s_mul_i32 s69, s55, s64
	s_mul_hi_u32 s68, s0, s67
	s_mul_i32 s65, s0, s67
	s_mul_hi_u32 s67, s55, s64
	s_add_u32 s66, s66, s69
	s_addc_u32 s67, 0, s67
	s_mul_hi_u32 s70, s0, s64
	s_add_u32 s65, s66, s65
	s_mul_i32 s64, s0, s64
	s_addc_u32 s65, s67, s68
	s_addc_u32 s66, s70, 0
	s_add_u32 s64, s65, s64
	s_addc_u32 s65, 0, s66
	s_add_u32 s55, s55, s64
	s_cselect_b32 s64, -1, 0
	s_mul_hi_u32 s66, s62, s55
	s_cmp_lg_u32 s64, 0
	s_mul_i32 s64, s62, s55
	s_addc_u32 s0, s0, s65
	s_mul_i32 s63, s63, s55
	s_mul_i32 s62, s62, s0
	s_mul_hi_u32 s65, s55, s64
	s_add_i32 s62, s66, s62
	s_mul_hi_u32 s66, s0, s64
	s_add_i32 s62, s62, s63
	s_mul_i32 s63, s0, s64
	s_mul_i32 s68, s55, s62
	s_mul_hi_u32 s67, s55, s62
	s_add_u32 s65, s65, s68
	s_addc_u32 s67, 0, s67
	s_mul_hi_u32 s64, s0, s62
	s_add_u32 s63, s65, s63
	s_mul_i32 s62, s0, s62
	s_addc_u32 s63, s67, s66
	s_addc_u32 s64, s64, 0
	s_add_u32 s62, s63, s62
	s_addc_u32 s63, 0, s64
	s_add_u32 s55, s55, s62
	s_cselect_b32 s62, -1, 0
	v_mul_hi_u32 v23, v2, s55
	s_cmp_lg_u32 s62, 0
	v_mad_u64_u32 v[17:18], null, v22, s55, 0
	s_addc_u32 s0, s0, s63
	v_mad_u64_u32 v[11:12], null, v2, s0, 0
	v_mad_u64_u32 v[19:20], null, v22, s0, 0
	v_add_co_u32 v11, vcc_lo, v23, v11
	v_add_co_ci_u32_e64 v12, null, 0, v12, vcc_lo
	v_add_co_u32 v11, vcc_lo, v11, v17
	v_add_co_ci_u32_e32 v11, vcc_lo, v12, v18, vcc_lo
	v_add_co_ci_u32_e32 v12, vcc_lo, 0, v20, vcc_lo
	v_add_co_u32 v17, vcc_lo, v11, v19
	v_add_co_ci_u32_e64 v18, null, 0, v12, vcc_lo
	v_mul_lo_u32 v19, s57, v17
	v_mad_u64_u32 v[11:12], null, s56, v17, 0
	v_mul_lo_u32 v20, s56, v18
	v_sub_co_u32 v2, vcc_lo, v2, v11
	v_add3_u32 v12, v12, v20, v19
	v_sub_nc_u32_e32 v19, v22, v12
	v_sub_co_ci_u32_e64 v12, null, v22, v12, vcc_lo
	v_subrev_co_ci_u32_e64 v11, null, s57, v19, vcc_lo
	v_add_co_u32 v19, s0, v17, 2
	v_add_co_ci_u32_e64 v20, null, 0, v18, s0
	v_sub_co_u32 v23, s0, v2, s56
	v_subrev_co_ci_u32_e64 v11, null, 0, v11, s0
	v_cmp_le_u32_e32 vcc_lo, s56, v23
	v_cndmask_b32_e64 v22, 0, -1, vcc_lo
	v_cmp_le_u32_e32 vcc_lo, s57, v11
	v_cndmask_b32_e64 v23, 0, -1, vcc_lo
	;; [unrolled: 2-line block ×4, first 2 shown]
	v_cmp_eq_u32_e32 vcc_lo, s57, v11
	v_cndmask_b32_e32 v11, v23, v22, vcc_lo
	v_add_co_u32 v22, vcc_lo, v17, 1
	v_add_co_ci_u32_e64 v23, null, 0, v18, vcc_lo
	v_cmp_eq_u32_e32 vcc_lo, s57, v12
	v_xor_b32_e32 v12, s54, v21
	v_cndmask_b32_e32 v2, v24, v2, vcc_lo
	v_cmp_ne_u32_e32 vcc_lo, 0, v11
	v_cmp_ne_u32_e64 s0, 0, v2
	v_cndmask_b32_e32 v2, v22, v19, vcc_lo
	v_cndmask_b32_e32 v11, v23, v20, vcc_lo
	v_cndmask_b32_e64 v2, v17, v2, s0
	v_cndmask_b32_e64 v11, v18, v11, s0
	v_xor_b32_e32 v2, v2, v12
	v_xor_b32_e32 v17, v11, v12
	v_sub_co_u32 v11, vcc_lo, v2, v12
	v_sub_co_ci_u32_e64 v12, null, v17, v12, vcc_lo
                                        ; implicit-def: $vgpr17
.LBB55_17:                              ;   in Loop: Header=BB55_3 Depth=1
	s_andn2_saveexec_b32 s0, s53
	s_cbranch_execz .LBB55_19
; %bb.18:                               ;   in Loop: Header=BB55_3 Depth=1
	v_rcp_iflag_f32_e32 v2, v16
	s_sub_i32 s53, 0, s46
	v_mul_f32_e32 v2, 0x4f7ffffe, v2
	v_cvt_u32_f32_e32 v2, v2
	v_mul_lo_u32 v11, s53, v2
	v_mul_hi_u32 v11, v2, v11
	v_add_nc_u32_e32 v2, v2, v11
	v_mul_hi_u32 v2, v17, v2
	v_mul_lo_u32 v11, v2, s46
	v_add_nc_u32_e32 v12, 1, v2
	v_sub_nc_u32_e32 v11, v17, v11
	v_subrev_nc_u32_e32 v17, s46, v11
	v_cmp_le_u32_e32 vcc_lo, s46, v11
	v_cndmask_b32_e32 v11, v11, v17, vcc_lo
	v_cndmask_b32_e32 v2, v2, v12, vcc_lo
	v_cmp_le_u32_e32 vcc_lo, s46, v11
	v_add_nc_u32_e32 v12, 1, v2
	v_cndmask_b32_e32 v11, v2, v12, vcc_lo
	v_mov_b32_e32 v12, v1
.LBB55_19:                              ;   in Loop: Header=BB55_3 Depth=1
	s_or_b32 exec_lo, exec_lo, s0
	v_mul_lo_u32 v2, v12, s46
	v_mul_lo_u32 v19, v11, s47
	v_mad_u64_u32 v[17:18], null, v11, s46, 0
	s_mov_b32 s0, exec_lo
	v_add3_u32 v2, v18, v19, v2
	v_sub_co_u32 v9, vcc_lo, v9, v17
	v_mul_lo_u32 v18, v12, s4
	v_mul_lo_u32 v17, v11, s5
	v_sub_co_ci_u32_e64 v2, null, v10, v2, vcc_lo
	v_add_co_u32 v12, vcc_lo, v3, v9
	v_mad_u64_u32 v[9:10], null, v11, s4, 0
	v_add_co_ci_u32_e64 v2, null, v4, v2, vcc_lo
	v_mul_lo_u32 v19, v12, s7
	v_mad_u64_u32 v[11:12], null, v12, s6, 0
	v_mul_lo_u32 v2, v2, s6
	v_add3_u32 v10, v10, v17, v18
	v_lshlrev_b64 v[9:10], 2, v[9:10]
	v_add3_u32 v12, v12, v19, v2
	v_add_co_u32 v2, vcc_lo, s44, v9
	v_lshlrev_b64 v[11:12], 2, v[11:12]
	v_add_co_ci_u32_e64 v10, null, s45, v10, vcc_lo
	v_add_co_u32 v9, vcc_lo, v2, v11
	v_add_co_ci_u32_e64 v10, null, v10, v12, vcc_lo
	v_add_co_u32 v2, vcc_lo, v7, 3
	global_load_dword v18, v[9:10], off
	v_add_co_ci_u32_e64 v9, null, 0, v8, vcc_lo
	v_mul_lo_u32 v11, s9, v2
	v_mul_lo_u32 v12, s8, v9
	v_mad_u64_u32 v[9:10], null, s8, v2, 0
	v_add3_u32 v10, v10, v12, v11
	v_add_co_u32 v17, vcc_lo, v3, v9
                                        ; implicit-def: $vgpr11_vgpr12
	v_add_co_ci_u32_e64 v19, null, v4, v10, vcc_lo
	v_or_b32_e32 v2, s47, v19
	v_cmpx_ne_u64_e32 0, v[1:2]
	s_xor_b32 s53, exec_lo, s0
	s_cbranch_execz .LBB55_21
; %bb.20:                               ;   in Loop: Header=BB55_3 Depth=1
	s_ashr_i32 s54, s47, 31
	v_ashrrev_i32_e32 v23, 31, v19
	s_add_u32 s56, s46, s54
	s_mov_b32 s55, s54
	s_addc_u32 s57, s47, s54
	s_xor_b64 s[56:57], s[56:57], s[54:55]
	v_add_co_u32 v12, vcc_lo, v17, v23
	v_cvt_f32_u32_e32 v2, s56
	v_cvt_f32_u32_e32 v11, s57
	s_sub_u32 s62, 0, s56
	s_subb_u32 s63, 0, s57
	v_add_co_ci_u32_e64 v17, null, v19, v23, vcc_lo
	v_fmac_f32_e32 v2, 0x4f800000, v11
	v_xor_b32_e32 v17, v17, v23
	v_rcp_f32_e32 v2, v2
	v_mul_f32_e32 v2, 0x5f7ffffc, v2
	v_mul_f32_e32 v11, 0x2f800000, v2
	v_trunc_f32_e32 v11, v11
	v_fmac_f32_e32 v2, 0xcf800000, v11
	v_cvt_u32_f32_e32 v11, v11
	v_cvt_u32_f32_e32 v2, v2
	v_readfirstlane_b32 s0, v11
	v_readfirstlane_b32 s55, v2
	s_mul_i32 s64, s62, s0
	v_xor_b32_e32 v2, v12, v23
	s_mul_hi_u32 s66, s62, s55
	s_mul_i32 s65, s63, s55
	s_add_i32 s64, s66, s64
	s_mul_i32 s67, s62, s55
	s_add_i32 s64, s64, s65
	s_mul_hi_u32 s66, s55, s67
	s_mul_i32 s69, s55, s64
	s_mul_hi_u32 s68, s0, s67
	s_mul_i32 s65, s0, s67
	s_mul_hi_u32 s67, s55, s64
	s_add_u32 s66, s66, s69
	s_addc_u32 s67, 0, s67
	s_mul_hi_u32 s70, s0, s64
	s_add_u32 s65, s66, s65
	s_mul_i32 s64, s0, s64
	s_addc_u32 s65, s67, s68
	s_addc_u32 s66, s70, 0
	s_add_u32 s64, s65, s64
	s_addc_u32 s65, 0, s66
	s_add_u32 s55, s55, s64
	s_cselect_b32 s64, -1, 0
	s_mul_hi_u32 s66, s62, s55
	s_cmp_lg_u32 s64, 0
	s_mul_i32 s64, s62, s55
	s_addc_u32 s0, s0, s65
	s_mul_i32 s63, s63, s55
	s_mul_i32 s62, s62, s0
	s_mul_hi_u32 s65, s55, s64
	s_add_i32 s62, s66, s62
	s_mul_hi_u32 s66, s0, s64
	s_add_i32 s62, s62, s63
	s_mul_i32 s63, s0, s64
	s_mul_i32 s68, s55, s62
	s_mul_hi_u32 s67, s55, s62
	s_add_u32 s65, s65, s68
	s_addc_u32 s67, 0, s67
	s_mul_hi_u32 s64, s0, s62
	s_add_u32 s63, s65, s63
	s_mul_i32 s62, s0, s62
	s_addc_u32 s63, s67, s66
	s_addc_u32 s64, s64, 0
	s_add_u32 s62, s63, s62
	s_addc_u32 s63, 0, s64
	s_add_u32 s55, s55, s62
	s_cselect_b32 s62, -1, 0
	v_mul_hi_u32 v24, v2, s55
	s_cmp_lg_u32 s62, 0
	v_mad_u64_u32 v[19:20], null, v17, s55, 0
	s_addc_u32 s0, s0, s63
	v_mad_u64_u32 v[11:12], null, v2, s0, 0
	v_mad_u64_u32 v[21:22], null, v17, s0, 0
	v_add_co_u32 v11, vcc_lo, v24, v11
	v_add_co_ci_u32_e64 v12, null, 0, v12, vcc_lo
	v_add_co_u32 v11, vcc_lo, v11, v19
	v_add_co_ci_u32_e32 v11, vcc_lo, v12, v20, vcc_lo
	v_add_co_ci_u32_e32 v12, vcc_lo, 0, v22, vcc_lo
	v_add_co_u32 v19, vcc_lo, v11, v21
	v_add_co_ci_u32_e64 v20, null, 0, v12, vcc_lo
	v_mul_lo_u32 v21, s57, v19
	v_mad_u64_u32 v[11:12], null, s56, v19, 0
	v_mul_lo_u32 v22, s56, v20
	v_sub_co_u32 v2, vcc_lo, v2, v11
	v_add3_u32 v12, v12, v22, v21
	v_sub_nc_u32_e32 v21, v17, v12
	v_sub_co_ci_u32_e64 v12, null, v17, v12, vcc_lo
	v_subrev_co_ci_u32_e64 v11, null, s57, v21, vcc_lo
	v_add_co_u32 v21, s0, v19, 2
	v_add_co_ci_u32_e64 v22, null, 0, v20, s0
	v_sub_co_u32 v24, s0, v2, s56
	v_subrev_co_ci_u32_e64 v11, null, 0, v11, s0
	v_cmp_le_u32_e32 vcc_lo, s56, v24
	v_cndmask_b32_e64 v17, 0, -1, vcc_lo
	v_cmp_le_u32_e32 vcc_lo, s57, v11
	v_cndmask_b32_e64 v24, 0, -1, vcc_lo
	;; [unrolled: 2-line block ×4, first 2 shown]
	v_cmp_eq_u32_e32 vcc_lo, s57, v11
	v_cndmask_b32_e32 v11, v24, v17, vcc_lo
	v_add_co_u32 v17, vcc_lo, v19, 1
	v_add_co_ci_u32_e64 v24, null, 0, v20, vcc_lo
	v_cmp_eq_u32_e32 vcc_lo, s57, v12
	v_xor_b32_e32 v12, s54, v23
	v_cndmask_b32_e32 v2, v25, v2, vcc_lo
	v_cmp_ne_u32_e32 vcc_lo, 0, v11
	v_cmp_ne_u32_e64 s0, 0, v2
	v_cndmask_b32_e32 v2, v17, v21, vcc_lo
	v_cndmask_b32_e32 v11, v24, v22, vcc_lo
	v_cndmask_b32_e64 v2, v19, v2, s0
	v_cndmask_b32_e64 v11, v20, v11, s0
	v_xor_b32_e32 v2, v2, v12
	v_xor_b32_e32 v17, v11, v12
	v_sub_co_u32 v11, vcc_lo, v2, v12
	v_sub_co_ci_u32_e64 v12, null, v17, v12, vcc_lo
                                        ; implicit-def: $vgpr17
.LBB55_21:                              ;   in Loop: Header=BB55_3 Depth=1
	s_andn2_saveexec_b32 s0, s53
	s_cbranch_execz .LBB55_23
; %bb.22:                               ;   in Loop: Header=BB55_3 Depth=1
	v_rcp_iflag_f32_e32 v2, v16
	s_sub_i32 s53, 0, s46
	v_mul_f32_e32 v2, 0x4f7ffffe, v2
	v_cvt_u32_f32_e32 v2, v2
	v_mul_lo_u32 v11, s53, v2
	v_mul_hi_u32 v11, v2, v11
	v_add_nc_u32_e32 v2, v2, v11
	v_mul_hi_u32 v2, v17, v2
	v_mul_lo_u32 v11, v2, s46
	v_add_nc_u32_e32 v12, 1, v2
	v_sub_nc_u32_e32 v11, v17, v11
	v_subrev_nc_u32_e32 v17, s46, v11
	v_cmp_le_u32_e32 vcc_lo, s46, v11
	v_cndmask_b32_e32 v11, v11, v17, vcc_lo
	v_cndmask_b32_e32 v2, v2, v12, vcc_lo
	v_cmp_le_u32_e32 vcc_lo, s46, v11
	v_add_nc_u32_e32 v12, 1, v2
	v_cndmask_b32_e32 v11, v2, v12, vcc_lo
	v_mov_b32_e32 v12, v1
.LBB55_23:                              ;   in Loop: Header=BB55_3 Depth=1
	s_or_b32 exec_lo, exec_lo, s0
	v_mul_lo_u32 v2, v12, s46
	v_mul_lo_u32 v17, v11, s47
	v_mad_u64_u32 v[19:20], null, v11, s46, 0
	s_mov_b32 s0, exec_lo
	v_add3_u32 v2, v20, v17, v2
	v_sub_co_u32 v9, vcc_lo, v9, v19
	v_mul_lo_u32 v17, v12, s4
	v_mul_lo_u32 v19, v11, s5
	v_sub_co_ci_u32_e64 v2, null, v10, v2, vcc_lo
	v_add_co_u32 v12, vcc_lo, v3, v9
	v_mad_u64_u32 v[9:10], null, v11, s4, 0
	v_add_co_ci_u32_e64 v2, null, v4, v2, vcc_lo
	v_mul_lo_u32 v20, v12, s7
	v_mad_u64_u32 v[11:12], null, v12, s6, 0
	v_mul_lo_u32 v2, v2, s6
	v_add3_u32 v10, v10, v19, v17
	v_lshlrev_b64 v[9:10], 2, v[9:10]
	v_add3_u32 v12, v12, v20, v2
	v_add_co_u32 v2, vcc_lo, s44, v9
	v_lshlrev_b64 v[11:12], 2, v[11:12]
	v_add_co_ci_u32_e64 v10, null, s45, v10, vcc_lo
	v_add_co_u32 v9, vcc_lo, v2, v11
	v_add_co_ci_u32_e64 v10, null, v10, v12, vcc_lo
	v_add_co_u32 v2, vcc_lo, v7, 4
	v_add_co_ci_u32_e64 v7, null, 0, v8, vcc_lo
	global_load_dword v19, v[9:10], off
	v_mul_lo_u32 v9, s9, v2
	v_mul_lo_u32 v10, s8, v7
	v_mad_u64_u32 v[7:8], null, s8, v2, 0
	v_add3_u32 v8, v8, v10, v9
	v_add_co_u32 v11, vcc_lo, v3, v7
                                        ; implicit-def: $vgpr9_vgpr10
	v_add_co_ci_u32_e64 v12, null, v4, v8, vcc_lo
	v_or_b32_e32 v2, s47, v12
	v_cmpx_ne_u64_e32 0, v[1:2]
	s_xor_b32 s53, exec_lo, s0
	s_cbranch_execz .LBB55_25
; %bb.24:                               ;   in Loop: Header=BB55_3 Depth=1
	s_ashr_i32 s54, s47, 31
	v_ashrrev_i32_e32 v20, 31, v12
	s_add_u32 s56, s46, s54
	s_mov_b32 s55, s54
	s_addc_u32 s57, s47, s54
	s_xor_b64 s[56:57], s[56:57], s[54:55]
	v_add_co_u32 v10, vcc_lo, v11, v20
	v_cvt_f32_u32_e32 v2, s56
	v_cvt_f32_u32_e32 v9, s57
	s_sub_u32 s62, 0, s56
	s_subb_u32 s63, 0, s57
	v_add_co_ci_u32_e64 v11, null, v12, v20, vcc_lo
	v_fmac_f32_e32 v2, 0x4f800000, v9
	v_xor_b32_e32 v21, v11, v20
	v_rcp_f32_e32 v2, v2
	v_mul_f32_e32 v2, 0x5f7ffffc, v2
	v_mul_f32_e32 v9, 0x2f800000, v2
	v_trunc_f32_e32 v9, v9
	v_fmac_f32_e32 v2, 0xcf800000, v9
	v_cvt_u32_f32_e32 v9, v9
	v_cvt_u32_f32_e32 v2, v2
	v_readfirstlane_b32 s0, v9
	v_readfirstlane_b32 s55, v2
	s_mul_i32 s64, s62, s0
	v_xor_b32_e32 v2, v10, v20
	s_mul_hi_u32 s66, s62, s55
	s_mul_i32 s65, s63, s55
	s_add_i32 s64, s66, s64
	s_mul_i32 s67, s62, s55
	s_add_i32 s64, s64, s65
	s_mul_hi_u32 s66, s55, s67
	s_mul_i32 s69, s55, s64
	s_mul_hi_u32 s68, s0, s67
	s_mul_i32 s65, s0, s67
	s_mul_hi_u32 s67, s55, s64
	s_add_u32 s66, s66, s69
	s_addc_u32 s67, 0, s67
	s_mul_hi_u32 s70, s0, s64
	s_add_u32 s65, s66, s65
	s_mul_i32 s64, s0, s64
	s_addc_u32 s65, s67, s68
	s_addc_u32 s66, s70, 0
	s_add_u32 s64, s65, s64
	s_addc_u32 s65, 0, s66
	s_add_u32 s55, s55, s64
	s_cselect_b32 s64, -1, 0
	s_mul_hi_u32 s66, s62, s55
	s_cmp_lg_u32 s64, 0
	s_mul_i32 s64, s62, s55
	s_addc_u32 s0, s0, s65
	s_mul_i32 s63, s63, s55
	s_mul_i32 s62, s62, s0
	s_mul_hi_u32 s65, s55, s64
	s_add_i32 s62, s66, s62
	s_mul_hi_u32 s66, s0, s64
	s_add_i32 s62, s62, s63
	s_mul_i32 s63, s0, s64
	s_mul_i32 s68, s55, s62
	s_mul_hi_u32 s67, s55, s62
	s_add_u32 s65, s65, s68
	s_addc_u32 s67, 0, s67
	s_mul_hi_u32 s64, s0, s62
	s_add_u32 s63, s65, s63
	s_mul_i32 s62, s0, s62
	s_addc_u32 s63, s67, s66
	s_addc_u32 s64, s64, 0
	s_add_u32 s62, s63, s62
	s_addc_u32 s63, 0, s64
	s_add_u32 s55, s55, s62
	s_cselect_b32 s62, -1, 0
	v_mul_hi_u32 v22, v2, s55
	s_cmp_lg_u32 s62, 0
	v_mad_u64_u32 v[11:12], null, v21, s55, 0
	s_addc_u32 s0, s0, s63
	v_mad_u64_u32 v[9:10], null, v2, s0, 0
	v_mad_u64_u32 v[16:17], null, v21, s0, 0
	v_add_co_u32 v9, vcc_lo, v22, v9
	v_add_co_ci_u32_e64 v10, null, 0, v10, vcc_lo
	v_add_co_u32 v9, vcc_lo, v9, v11
	v_add_co_ci_u32_e32 v9, vcc_lo, v10, v12, vcc_lo
	v_add_co_ci_u32_e32 v10, vcc_lo, 0, v17, vcc_lo
	v_add_co_u32 v11, vcc_lo, v9, v16
	v_add_co_ci_u32_e64 v12, null, 0, v10, vcc_lo
	v_mul_lo_u32 v16, s57, v11
	v_mad_u64_u32 v[9:10], null, s56, v11, 0
	v_mul_lo_u32 v17, s56, v12
	v_sub_co_u32 v2, vcc_lo, v2, v9
	v_add3_u32 v10, v10, v17, v16
	v_sub_nc_u32_e32 v16, v21, v10
	v_sub_co_ci_u32_e64 v10, null, v21, v10, vcc_lo
	v_subrev_co_ci_u32_e64 v9, null, s57, v16, vcc_lo
	v_add_co_u32 v16, s0, v11, 2
	v_add_co_ci_u32_e64 v17, null, 0, v12, s0
	v_sub_co_u32 v22, s0, v2, s56
	v_subrev_co_ci_u32_e64 v9, null, 0, v9, s0
	v_cmp_le_u32_e32 vcc_lo, s56, v22
	v_cndmask_b32_e64 v21, 0, -1, vcc_lo
	v_cmp_le_u32_e32 vcc_lo, s57, v9
	v_cndmask_b32_e64 v22, 0, -1, vcc_lo
	;; [unrolled: 2-line block ×4, first 2 shown]
	v_cmp_eq_u32_e32 vcc_lo, s57, v9
	v_cndmask_b32_e32 v9, v22, v21, vcc_lo
	v_add_co_u32 v21, vcc_lo, v11, 1
	v_add_co_ci_u32_e64 v22, null, 0, v12, vcc_lo
	v_cmp_eq_u32_e32 vcc_lo, s57, v10
	v_xor_b32_e32 v10, s54, v20
	v_cndmask_b32_e32 v2, v23, v2, vcc_lo
	v_cmp_ne_u32_e32 vcc_lo, 0, v9
	v_cmp_ne_u32_e64 s0, 0, v2
	v_cndmask_b32_e32 v2, v21, v16, vcc_lo
	v_cndmask_b32_e32 v9, v22, v17, vcc_lo
                                        ; implicit-def: $vgpr16
	v_cndmask_b32_e64 v2, v11, v2, s0
	v_cndmask_b32_e64 v9, v12, v9, s0
	v_xor_b32_e32 v2, v2, v10
	v_xor_b32_e32 v11, v9, v10
	v_sub_co_u32 v9, vcc_lo, v2, v10
	v_sub_co_ci_u32_e64 v10, null, v11, v10, vcc_lo
                                        ; implicit-def: $vgpr11
.LBB55_25:                              ;   in Loop: Header=BB55_3 Depth=1
	s_andn2_saveexec_b32 s0, s53
	s_cbranch_execz .LBB55_27
; %bb.26:                               ;   in Loop: Header=BB55_3 Depth=1
	v_rcp_iflag_f32_e32 v2, v16
	s_sub_i32 s53, 0, s46
	v_mul_f32_e32 v2, 0x4f7ffffe, v2
	v_cvt_u32_f32_e32 v2, v2
	v_mul_lo_u32 v9, s53, v2
	v_mul_hi_u32 v9, v2, v9
	v_add_nc_u32_e32 v2, v2, v9
	v_mul_hi_u32 v2, v11, v2
	v_mul_lo_u32 v9, v2, s46
	v_add_nc_u32_e32 v10, 1, v2
	v_sub_nc_u32_e32 v9, v11, v9
	v_subrev_nc_u32_e32 v11, s46, v9
	v_cmp_le_u32_e32 vcc_lo, s46, v9
	v_cndmask_b32_e32 v9, v9, v11, vcc_lo
	v_cndmask_b32_e32 v2, v2, v10, vcc_lo
	v_cmp_le_u32_e32 vcc_lo, s46, v9
	v_add_nc_u32_e32 v10, 1, v2
	v_cndmask_b32_e32 v9, v2, v10, vcc_lo
	v_mov_b32_e32 v10, v1
.LBB55_27:                              ;   in Loop: Header=BB55_3 Depth=1
	s_or_b32 exec_lo, exec_lo, s0
	v_mul_lo_u32 v2, v10, s46
	v_mul_lo_u32 v16, v9, s47
	v_mad_u64_u32 v[11:12], null, v9, s46, 0
	s_mov_b32 s0, exec_lo
	v_add3_u32 v2, v12, v16, v2
	v_sub_co_u32 v7, vcc_lo, v7, v11
	v_mul_lo_u32 v12, v10, s4
	v_mul_lo_u32 v11, v9, s5
	v_sub_co_ci_u32_e64 v2, null, v8, v2, vcc_lo
	v_add_co_u32 v10, vcc_lo, v3, v7
	v_mad_u64_u32 v[7:8], null, v9, s4, 0
	v_add_co_ci_u32_e64 v2, null, v4, v2, vcc_lo
	v_mul_lo_u32 v16, v10, s7
	v_mad_u64_u32 v[9:10], null, v10, s6, 0
	v_mul_lo_u32 v2, v2, s6
	v_add3_u32 v8, v8, v11, v12
	v_lshlrev_b64 v[7:8], 2, v[7:8]
	v_add3_u32 v10, v10, v16, v2
	v_add_co_u32 v2, vcc_lo, s44, v7
	v_lshlrev_b64 v[9:10], 2, v[9:10]
	v_add_co_ci_u32_e64 v8, null, s45, v8, vcc_lo
	v_add_co_u32 v7, vcc_lo, v2, v9
	v_add_co_ci_u32_e64 v8, null, v8, v10, vcc_lo
	v_or_b32_e32 v2, s39, v4
	global_load_dword v21, v[7:8], off
                                        ; implicit-def: $vgpr7_vgpr8
	v_cmpx_ne_u64_e32 0, v[1:2]
	s_xor_b32 s53, exec_lo, s0
	s_cbranch_execz .LBB55_29
; %bb.28:                               ;   in Loop: Header=BB55_3 Depth=1
	s_ashr_i32 s54, s39, 31
	v_add_co_u32 v8, vcc_lo, v3, v13
	s_add_u32 s56, s38, s54
	s_mov_b32 s55, s54
	s_addc_u32 s57, s39, s54
	v_add_co_ci_u32_e64 v9, null, v4, v13, vcc_lo
	s_xor_b64 s[56:57], s[56:57], s[54:55]
	v_cvt_f32_u32_e32 v2, s56
	v_cvt_f32_u32_e32 v7, s57
	s_sub_u32 s62, 0, s56
	s_subb_u32 s63, 0, s57
	v_xor_b32_e32 v16, v9, v13
	v_fmac_f32_e32 v2, 0x4f800000, v7
	v_rcp_f32_e32 v2, v2
	v_mul_f32_e32 v2, 0x5f7ffffc, v2
	v_mul_f32_e32 v7, 0x2f800000, v2
	v_trunc_f32_e32 v7, v7
	v_fmac_f32_e32 v2, 0xcf800000, v7
	v_cvt_u32_f32_e32 v7, v7
	v_cvt_u32_f32_e32 v2, v2
	v_readfirstlane_b32 s0, v7
	v_readfirstlane_b32 s55, v2
	s_mul_i32 s64, s62, s0
	v_xor_b32_e32 v2, v8, v13
	s_mul_hi_u32 s66, s62, s55
	s_mul_i32 s65, s63, s55
	s_add_i32 s64, s66, s64
	s_mul_i32 s67, s62, s55
	s_add_i32 s64, s64, s65
	s_mul_hi_u32 s66, s55, s67
	s_mul_i32 s69, s55, s64
	s_mul_hi_u32 s68, s0, s67
	s_mul_i32 s65, s0, s67
	s_mul_hi_u32 s67, s55, s64
	s_add_u32 s66, s66, s69
	s_addc_u32 s67, 0, s67
	s_mul_hi_u32 s70, s0, s64
	s_add_u32 s65, s66, s65
	s_mul_i32 s64, s0, s64
	s_addc_u32 s65, s67, s68
	s_addc_u32 s66, s70, 0
	s_add_u32 s64, s65, s64
	s_addc_u32 s65, 0, s66
	s_add_u32 s55, s55, s64
	s_cselect_b32 s64, -1, 0
	s_mul_hi_u32 s66, s62, s55
	s_cmp_lg_u32 s64, 0
	s_mul_i32 s64, s62, s55
	s_addc_u32 s0, s0, s65
	s_mul_i32 s63, s63, s55
	s_mul_i32 s62, s62, s0
	s_mul_hi_u32 s65, s55, s64
	s_add_i32 s62, s66, s62
	s_mul_hi_u32 s66, s0, s64
	s_add_i32 s62, s62, s63
	s_mul_i32 s63, s0, s64
	s_mul_i32 s68, s55, s62
	s_mul_hi_u32 s67, s55, s62
	s_add_u32 s65, s65, s68
	s_addc_u32 s67, 0, s67
	s_mul_hi_u32 s64, s0, s62
	s_add_u32 s63, s65, s63
	s_mul_i32 s62, s0, s62
	s_addc_u32 s63, s67, s66
	s_addc_u32 s64, s64, 0
	s_add_u32 s62, s63, s62
	s_addc_u32 s63, 0, s64
	s_add_u32 s55, s55, s62
	s_cselect_b32 s62, -1, 0
	v_mul_hi_u32 v17, v2, s55
	s_cmp_lg_u32 s62, 0
	v_mad_u64_u32 v[9:10], null, v16, s55, 0
	s_addc_u32 s0, s0, s63
	v_mad_u64_u32 v[7:8], null, v2, s0, 0
	v_mad_u64_u32 v[11:12], null, v16, s0, 0
	v_add_co_u32 v7, vcc_lo, v17, v7
	v_add_co_ci_u32_e64 v8, null, 0, v8, vcc_lo
	v_add_co_u32 v7, vcc_lo, v7, v9
	v_add_co_ci_u32_e32 v7, vcc_lo, v8, v10, vcc_lo
	v_add_co_ci_u32_e32 v8, vcc_lo, 0, v12, vcc_lo
	v_add_co_u32 v9, vcc_lo, v7, v11
	v_add_co_ci_u32_e64 v10, null, 0, v8, vcc_lo
	v_mul_lo_u32 v11, s57, v9
	v_mad_u64_u32 v[7:8], null, s56, v9, 0
	v_mul_lo_u32 v12, s56, v10
	v_sub_co_u32 v2, vcc_lo, v2, v7
	v_add3_u32 v8, v8, v12, v11
	v_sub_nc_u32_e32 v11, v16, v8
	v_sub_co_ci_u32_e64 v8, null, v16, v8, vcc_lo
	v_subrev_co_ci_u32_e64 v7, null, s57, v11, vcc_lo
	v_add_co_u32 v11, s0, v9, 2
	v_add_co_ci_u32_e64 v12, null, 0, v10, s0
	v_sub_co_u32 v17, s0, v2, s56
	v_subrev_co_ci_u32_e64 v7, null, 0, v7, s0
	v_cmp_le_u32_e32 vcc_lo, s56, v17
	v_cndmask_b32_e64 v16, 0, -1, vcc_lo
	v_cmp_le_u32_e32 vcc_lo, s57, v7
	v_cndmask_b32_e64 v17, 0, -1, vcc_lo
	;; [unrolled: 2-line block ×4, first 2 shown]
	v_cmp_eq_u32_e32 vcc_lo, s57, v7
	v_cndmask_b32_e32 v7, v17, v16, vcc_lo
	v_add_co_u32 v16, vcc_lo, v9, 1
	v_add_co_ci_u32_e64 v17, null, 0, v10, vcc_lo
	v_cmp_eq_u32_e32 vcc_lo, s57, v8
	v_xor_b32_e32 v8, s54, v13
	v_cndmask_b32_e32 v2, v20, v2, vcc_lo
	v_cmp_ne_u32_e32 vcc_lo, 0, v7
	v_cmp_ne_u32_e64 s0, 0, v2
	v_cndmask_b32_e32 v2, v16, v11, vcc_lo
	v_cndmask_b32_e32 v7, v17, v12, vcc_lo
	v_cndmask_b32_e64 v2, v9, v2, s0
	v_cndmask_b32_e64 v7, v10, v7, s0
	v_xor_b32_e32 v2, v2, v8
	v_xor_b32_e32 v9, v7, v8
	v_sub_co_u32 v7, vcc_lo, v2, v8
	v_sub_co_ci_u32_e64 v8, null, v9, v8, vcc_lo
.LBB55_29:                              ;   in Loop: Header=BB55_3 Depth=1
	s_andn2_saveexec_b32 s0, s53
	s_cbranch_execz .LBB55_31
; %bb.30:                               ;   in Loop: Header=BB55_3 Depth=1
	v_cvt_f32_u32_e32 v2, s38
	s_sub_i32 s53, 0, s38
	v_rcp_iflag_f32_e32 v2, v2
	v_mul_f32_e32 v2, 0x4f7ffffe, v2
	v_cvt_u32_f32_e32 v2, v2
	v_mul_lo_u32 v7, s53, v2
	v_mul_hi_u32 v7, v2, v7
	v_add_nc_u32_e32 v2, v2, v7
	v_mul_hi_u32 v2, v3, v2
	v_mul_lo_u32 v7, v2, s38
	v_add_nc_u32_e32 v8, 1, v2
	v_sub_nc_u32_e32 v7, v3, v7
	v_subrev_nc_u32_e32 v9, s38, v7
	v_cmp_le_u32_e32 vcc_lo, s38, v7
	v_cndmask_b32_e32 v7, v7, v9, vcc_lo
	v_cndmask_b32_e32 v2, v2, v8, vcc_lo
	v_cmp_le_u32_e32 vcc_lo, s38, v7
	v_add_nc_u32_e32 v8, 1, v2
	v_cndmask_b32_e32 v7, v2, v8, vcc_lo
	v_mov_b32_e32 v8, v1
.LBB55_31:                              ;   in Loop: Header=BB55_3 Depth=1
	s_or_b32 exec_lo, exec_lo, s0
	v_mad_u64_u32 v[9:10], null, s58, v7, v[3:4]
	v_mul_lo_u32 v2, s58, v8
	v_mul_lo_u32 v11, s59, v7
	;; [unrolled: 1-line block ×4, first 2 shown]
	v_mad_u64_u32 v[7:8], null, v7, s20, 0
	s_mov_b32 s0, exec_lo
	v_add3_u32 v2, v11, v10, v2
	v_mul_lo_u32 v11, v9, s23
	v_mad_u64_u32 v[9:10], null, v9, s22, 0
	v_add3_u32 v8, v8, v16, v12
	v_mul_lo_u32 v2, v2, s22
	v_lshlrev_b64 v[7:8], 2, v[7:8]
	v_add3_u32 v10, v10, v11, v2
                                        ; implicit-def: $vgpr11_vgpr12
	v_add_co_u32 v2, vcc_lo, s36, v7
	v_add_co_ci_u32_e64 v8, null, s37, v8, vcc_lo
	v_lshlrev_b64 v[9:10], 2, v[9:10]
	v_add_co_u32 v7, vcc_lo, v2, v9
	v_add_co_ci_u32_e64 v8, null, v8, v10, vcc_lo
	v_mul_lo_u32 v2, s51, v5
	v_mul_lo_u32 v9, s50, v6
	global_load_dword v16, v[7:8], off
	v_mad_u64_u32 v[7:8], null, s50, v5, 0
	v_add3_u32 v8, v8, v9, v2
	v_add_co_u32 v22, vcc_lo, v3, v7
	v_add_co_ci_u32_e64 v23, null, v4, v8, vcc_lo
	v_or_b32_e32 v2, s29, v23
	v_ashrrev_i32_e32 v20, 31, v23
	v_cmpx_ne_u64_e32 0, v[1:2]
	s_xor_b32 s53, exec_lo, s0
	s_cbranch_execz .LBB55_33
; %bb.32:                               ;   in Loop: Header=BB55_3 Depth=1
	s_ashr_i32 s54, s29, 31
	v_add_co_u32 v10, vcc_lo, v22, v20
	s_add_u32 s56, s28, s54
	s_mov_b32 s55, s54
	s_addc_u32 s57, s29, s54
	v_add_co_ci_u32_e64 v11, null, v23, v20, vcc_lo
	s_xor_b64 s[56:57], s[56:57], s[54:55]
	v_cvt_f32_u32_e32 v2, s56
	v_cvt_f32_u32_e32 v9, s57
	s_sub_u32 s62, 0, s56
	s_subb_u32 s63, 0, s57
	v_xor_b32_e32 v17, v11, v20
	v_fmac_f32_e32 v2, 0x4f800000, v9
	v_rcp_f32_e32 v2, v2
	v_mul_f32_e32 v2, 0x5f7ffffc, v2
	v_mul_f32_e32 v9, 0x2f800000, v2
	v_trunc_f32_e32 v9, v9
	v_fmac_f32_e32 v2, 0xcf800000, v9
	v_cvt_u32_f32_e32 v9, v9
	v_cvt_u32_f32_e32 v2, v2
	v_readfirstlane_b32 s0, v9
	v_readfirstlane_b32 s55, v2
	s_mul_i32 s64, s62, s0
	v_xor_b32_e32 v2, v10, v20
	s_mul_hi_u32 s66, s62, s55
	s_mul_i32 s65, s63, s55
	s_add_i32 s64, s66, s64
	s_mul_i32 s67, s62, s55
	s_add_i32 s64, s64, s65
	s_mul_hi_u32 s66, s55, s67
	s_mul_i32 s69, s55, s64
	s_mul_hi_u32 s68, s0, s67
	s_mul_i32 s65, s0, s67
	s_mul_hi_u32 s67, s55, s64
	s_add_u32 s66, s66, s69
	s_addc_u32 s67, 0, s67
	s_mul_hi_u32 s70, s0, s64
	s_add_u32 s65, s66, s65
	s_mul_i32 s64, s0, s64
	s_addc_u32 s65, s67, s68
	s_addc_u32 s66, s70, 0
	s_add_u32 s64, s65, s64
	s_addc_u32 s65, 0, s66
	s_add_u32 s55, s55, s64
	s_cselect_b32 s64, -1, 0
	s_mul_hi_u32 s66, s62, s55
	s_cmp_lg_u32 s64, 0
	s_mul_i32 s64, s62, s55
	s_addc_u32 s0, s0, s65
	s_mul_i32 s63, s63, s55
	s_mul_i32 s62, s62, s0
	s_mul_hi_u32 s65, s55, s64
	s_add_i32 s62, s66, s62
	s_mul_hi_u32 s66, s0, s64
	s_add_i32 s62, s62, s63
	s_mul_i32 s63, s0, s64
	s_mul_i32 s68, s55, s62
	s_mul_hi_u32 s67, s55, s62
	s_add_u32 s65, s65, s68
	s_addc_u32 s67, 0, s67
	s_mul_hi_u32 s64, s0, s62
	s_add_u32 s63, s65, s63
	s_mul_i32 s62, s0, s62
	s_addc_u32 s63, s67, s66
	s_addc_u32 s64, s64, 0
	s_add_u32 s62, s63, s62
	s_addc_u32 s63, 0, s64
	s_add_u32 s55, s55, s62
	s_cselect_b32 s62, -1, 0
	v_mul_hi_u32 v26, v2, s55
	s_cmp_lg_u32 s62, 0
	v_mad_u64_u32 v[11:12], null, v17, s55, 0
	s_addc_u32 s0, s0, s63
	v_mad_u64_u32 v[9:10], null, v2, s0, 0
	v_mad_u64_u32 v[24:25], null, v17, s0, 0
	v_add_co_u32 v9, vcc_lo, v26, v9
	v_add_co_ci_u32_e64 v10, null, 0, v10, vcc_lo
	v_add_co_u32 v9, vcc_lo, v9, v11
	v_add_co_ci_u32_e32 v9, vcc_lo, v10, v12, vcc_lo
	v_add_co_ci_u32_e32 v10, vcc_lo, 0, v25, vcc_lo
	v_add_co_u32 v11, vcc_lo, v9, v24
	v_add_co_ci_u32_e64 v12, null, 0, v10, vcc_lo
	v_mul_lo_u32 v24, s57, v11
	v_mad_u64_u32 v[9:10], null, s56, v11, 0
	v_mul_lo_u32 v25, s56, v12
	v_sub_co_u32 v2, vcc_lo, v2, v9
	v_add3_u32 v10, v10, v25, v24
	v_sub_nc_u32_e32 v24, v17, v10
	v_sub_co_ci_u32_e64 v10, null, v17, v10, vcc_lo
	v_subrev_co_ci_u32_e64 v9, null, s57, v24, vcc_lo
	v_add_co_u32 v24, s0, v11, 2
	v_add_co_ci_u32_e64 v25, null, 0, v12, s0
	v_sub_co_u32 v26, s0, v2, s56
	v_subrev_co_ci_u32_e64 v9, null, 0, v9, s0
	v_cmp_le_u32_e32 vcc_lo, s56, v26
	v_cndmask_b32_e64 v17, 0, -1, vcc_lo
	v_cmp_le_u32_e32 vcc_lo, s57, v9
	v_cndmask_b32_e64 v26, 0, -1, vcc_lo
	;; [unrolled: 2-line block ×4, first 2 shown]
	v_cmp_eq_u32_e32 vcc_lo, s57, v9
	v_cndmask_b32_e32 v9, v26, v17, vcc_lo
	v_add_co_u32 v17, vcc_lo, v11, 1
	v_add_co_ci_u32_e64 v26, null, 0, v12, vcc_lo
	v_cmp_eq_u32_e32 vcc_lo, s57, v10
	v_xor_b32_e32 v10, s54, v20
	v_cndmask_b32_e32 v2, v27, v2, vcc_lo
	v_cmp_ne_u32_e32 vcc_lo, 0, v9
	v_cmp_ne_u32_e64 s0, 0, v2
	v_cndmask_b32_e32 v2, v17, v24, vcc_lo
	v_cndmask_b32_e32 v9, v26, v25, vcc_lo
	v_cndmask_b32_e64 v2, v11, v2, s0
	v_cndmask_b32_e64 v9, v12, v9, s0
	v_xor_b32_e32 v2, v2, v10
	v_xor_b32_e32 v9, v9, v10
	v_sub_co_u32 v11, vcc_lo, v2, v10
	v_sub_co_ci_u32_e64 v12, null, v9, v10, vcc_lo
.LBB55_33:                              ;   in Loop: Header=BB55_3 Depth=1
	s_or_saveexec_b32 s0, s53
	v_cvt_f32_u32_e32 v29, s28
	s_xor_b32 exec_lo, exec_lo, s0
	s_cbranch_execz .LBB55_35
; %bb.34:                               ;   in Loop: Header=BB55_3 Depth=1
	v_rcp_iflag_f32_e32 v2, v29
	s_sub_i32 s53, 0, s28
	v_mov_b32_e32 v12, v1
	v_mul_f32_e32 v2, 0x4f7ffffe, v2
	v_cvt_u32_f32_e32 v2, v2
	v_mul_lo_u32 v9, s53, v2
	v_mul_hi_u32 v9, v2, v9
	v_add_nc_u32_e32 v2, v2, v9
	v_mul_hi_u32 v2, v22, v2
	v_mul_lo_u32 v9, v2, s28
	v_add_nc_u32_e32 v10, 1, v2
	v_sub_nc_u32_e32 v9, v22, v9
	v_subrev_nc_u32_e32 v11, s28, v9
	v_cmp_le_u32_e32 vcc_lo, s28, v9
	v_cndmask_b32_e32 v9, v9, v11, vcc_lo
	v_cndmask_b32_e32 v2, v2, v10, vcc_lo
	v_cmp_le_u32_e32 vcc_lo, s28, v9
	v_add_nc_u32_e32 v10, 1, v2
	v_cndmask_b32_e32 v11, v2, v10, vcc_lo
.LBB55_35:                              ;   in Loop: Header=BB55_3 Depth=1
	s_or_b32 exec_lo, exec_lo, s0
	v_mul_lo_u32 v2, v12, s28
	v_mul_lo_u32 v17, v11, s29
	v_mad_u64_u32 v[9:10], null, v11, s28, 0
	s_waitcnt vmcnt(4)
	v_sub_f32_e32 v26, 1.0, v15
	s_waitcnt vmcnt(3)
	v_fma_f32 v24, -v18, v18, 1.0
	v_mul_lo_u32 v28, v12, s12
	v_mul_lo_u32 v30, v11, s13
	v_mad_u64_u32 v[11:12], null, v11, s12, 0
	v_add3_u32 v2, v10, v17, v2
	s_waitcnt vmcnt(0)
	v_mul_f32_e32 v10, v26, v16
	v_sub_co_u32 v9, vcc_lo, v7, v9
	v_sub_f32_e32 v27, 1.0, v14
	v_sub_co_ci_u32_e64 v2, null, v8, v2, vcc_lo
	v_mul_f32_e32 v17, v24, v10
	v_add_co_u32 v24, vcc_lo, v3, v9
	v_add_co_ci_u32_e64 v2, null, v4, v2, vcc_lo
	v_lshlrev_b64 v[9:10], 1, v[5:6]
	v_alignbit_b32 v5, v6, v5, 31
	v_mul_lo_u32 v31, v24, s15
	v_mul_lo_u32 v2, v2, s14
	v_mad_u64_u32 v[24:25], null, v24, s14, 0
	v_mul_lo_u32 v32, s8, v5
	v_mul_lo_u32 v33, s9, v9
	v_mad_u64_u32 v[5:6], null, s8, v9, s[8:9]
	v_add3_u32 v12, v12, v30, v28
	v_mul_f32_e32 v21, v21, v17
	v_add3_u32 v25, v25, v31, v2
	s_mov_b32 s0, exec_lo
	v_lshlrev_b64 v[11:12], 2, v[11:12]
	v_add3_u32 v6, v33, v6, v32
	v_lshlrev_b64 v[30:31], 2, v[24:25]
	v_add_co_u32 v24, vcc_lo, v3, v5
	v_mul_f32_e32 v21, v27, v21
	v_add_co_ci_u32_e64 v25, null, v4, v6, vcc_lo
	v_add_co_u32 v11, vcc_lo, s2, v11
	v_add_co_ci_u32_e64 v12, null, s3, v12, vcc_lo
	v_mul_f32_e32 v27, v14, v21
	v_add_co_u32 v11, vcc_lo, v11, v30
	v_or_b32_e32 v2, s29, v25
	v_add_co_ci_u32_e64 v12, null, v12, v31, vcc_lo
	v_ashrrev_i32_e32 v21, 31, v25
	global_store_dword v[11:12], v27, off
                                        ; implicit-def: $vgpr11_vgpr12
	v_cmpx_ne_u64_e32 0, v[1:2]
	s_xor_b32 s53, exec_lo, s0
	s_cbranch_execz .LBB55_37
; %bb.36:                               ;   in Loop: Header=BB55_3 Depth=1
	s_ashr_i32 s54, s29, 31
	v_add_co_u32 v12, vcc_lo, v24, v21
	s_add_u32 s56, s28, s54
	s_mov_b32 s55, s54
	s_addc_u32 s57, s29, s54
	v_add_co_ci_u32_e64 v28, null, v25, v21, vcc_lo
	s_xor_b64 s[56:57], s[56:57], s[54:55]
	v_cvt_f32_u32_e32 v2, s56
	v_cvt_f32_u32_e32 v11, s57
	s_sub_u32 s62, 0, s56
	s_subb_u32 s63, 0, s57
	v_xor_b32_e32 v28, v28, v21
	v_fmac_f32_e32 v2, 0x4f800000, v11
	v_rcp_f32_e32 v2, v2
	v_mul_f32_e32 v2, 0x5f7ffffc, v2
	v_mul_f32_e32 v11, 0x2f800000, v2
	v_trunc_f32_e32 v11, v11
	v_fmac_f32_e32 v2, 0xcf800000, v11
	v_cvt_u32_f32_e32 v11, v11
	v_cvt_u32_f32_e32 v2, v2
	v_readfirstlane_b32 s0, v11
	v_readfirstlane_b32 s55, v2
	s_mul_i32 s64, s62, s0
	v_xor_b32_e32 v2, v12, v21
	s_mul_hi_u32 s66, s62, s55
	s_mul_i32 s65, s63, s55
	s_add_i32 s64, s66, s64
	s_mul_i32 s67, s62, s55
	s_add_i32 s64, s64, s65
	s_mul_hi_u32 s66, s55, s67
	s_mul_i32 s69, s55, s64
	s_mul_hi_u32 s68, s0, s67
	s_mul_i32 s65, s0, s67
	s_mul_hi_u32 s67, s55, s64
	s_add_u32 s66, s66, s69
	s_addc_u32 s67, 0, s67
	s_mul_hi_u32 s70, s0, s64
	s_add_u32 s65, s66, s65
	s_mul_i32 s64, s0, s64
	s_addc_u32 s65, s67, s68
	s_addc_u32 s66, s70, 0
	s_add_u32 s64, s65, s64
	s_addc_u32 s65, 0, s66
	s_add_u32 s55, s55, s64
	s_cselect_b32 s64, -1, 0
	s_mul_hi_u32 s66, s62, s55
	s_cmp_lg_u32 s64, 0
	s_mul_i32 s64, s62, s55
	s_addc_u32 s0, s0, s65
	s_mul_i32 s63, s63, s55
	s_mul_i32 s62, s62, s0
	s_mul_hi_u32 s65, s55, s64
	s_add_i32 s62, s66, s62
	s_mul_hi_u32 s66, s0, s64
	s_add_i32 s62, s62, s63
	s_mul_i32 s63, s0, s64
	s_mul_i32 s68, s55, s62
	s_mul_hi_u32 s67, s55, s62
	s_add_u32 s65, s65, s68
	s_addc_u32 s67, 0, s67
	s_mul_hi_u32 s64, s0, s62
	s_add_u32 s63, s65, s63
	s_mul_i32 s62, s0, s62
	s_addc_u32 s63, s67, s66
	s_addc_u32 s64, s64, 0
	s_add_u32 s62, s63, s62
	s_addc_u32 s63, 0, s64
	s_add_u32 s55, s55, s62
	s_cselect_b32 s62, -1, 0
	v_mul_hi_u32 v34, v2, s55
	s_cmp_lg_u32 s62, 0
	v_mad_u64_u32 v[30:31], null, v28, s55, 0
	s_addc_u32 s0, s0, s63
	v_mad_u64_u32 v[11:12], null, v2, s0, 0
	v_mad_u64_u32 v[32:33], null, v28, s0, 0
	v_add_co_u32 v11, vcc_lo, v34, v11
	v_add_co_ci_u32_e64 v12, null, 0, v12, vcc_lo
	v_add_co_u32 v11, vcc_lo, v11, v30
	v_add_co_ci_u32_e32 v11, vcc_lo, v12, v31, vcc_lo
	v_add_co_ci_u32_e32 v12, vcc_lo, 0, v33, vcc_lo
	v_add_co_u32 v30, vcc_lo, v11, v32
	v_add_co_ci_u32_e64 v31, null, 0, v12, vcc_lo
	v_mul_lo_u32 v32, s57, v30
	v_mad_u64_u32 v[11:12], null, s56, v30, 0
	v_mul_lo_u32 v33, s56, v31
	v_sub_co_u32 v2, vcc_lo, v2, v11
	v_add3_u32 v12, v12, v33, v32
	v_sub_nc_u32_e32 v32, v28, v12
	v_sub_co_ci_u32_e64 v12, null, v28, v12, vcc_lo
	v_subrev_co_ci_u32_e64 v11, null, s57, v32, vcc_lo
	v_add_co_u32 v32, s0, v30, 2
	v_add_co_ci_u32_e64 v33, null, 0, v31, s0
	v_sub_co_u32 v34, s0, v2, s56
	v_subrev_co_ci_u32_e64 v11, null, 0, v11, s0
	v_cmp_le_u32_e32 vcc_lo, s56, v34
	v_cndmask_b32_e64 v28, 0, -1, vcc_lo
	v_cmp_le_u32_e32 vcc_lo, s57, v11
	v_cndmask_b32_e64 v34, 0, -1, vcc_lo
	;; [unrolled: 2-line block ×4, first 2 shown]
	v_cmp_eq_u32_e32 vcc_lo, s57, v11
	v_cndmask_b32_e32 v11, v34, v28, vcc_lo
	v_add_co_u32 v28, vcc_lo, v30, 1
	v_add_co_ci_u32_e64 v34, null, 0, v31, vcc_lo
	v_cmp_eq_u32_e32 vcc_lo, s57, v12
	v_xor_b32_e32 v12, s54, v21
	v_cndmask_b32_e32 v2, v35, v2, vcc_lo
	v_cmp_ne_u32_e32 vcc_lo, 0, v11
	v_cmp_ne_u32_e64 s0, 0, v2
	v_cndmask_b32_e32 v2, v28, v32, vcc_lo
	v_cndmask_b32_e32 v11, v34, v33, vcc_lo
	v_cndmask_b32_e64 v2, v30, v2, s0
	v_cndmask_b32_e64 v11, v31, v11, s0
	v_xor_b32_e32 v2, v2, v12
	v_xor_b32_e32 v28, v11, v12
	v_sub_co_u32 v11, vcc_lo, v2, v12
	v_sub_co_ci_u32_e64 v12, null, v28, v12, vcc_lo
.LBB55_37:                              ;   in Loop: Header=BB55_3 Depth=1
	s_andn2_saveexec_b32 s0, s53
	s_cbranch_execz .LBB55_39
; %bb.38:                               ;   in Loop: Header=BB55_3 Depth=1
	v_rcp_iflag_f32_e32 v2, v29
	s_sub_i32 s53, 0, s28
	v_mul_f32_e32 v2, 0x4f7ffffe, v2
	v_cvt_u32_f32_e32 v2, v2
	v_mul_lo_u32 v11, s53, v2
	v_mul_hi_u32 v11, v2, v11
	v_add_nc_u32_e32 v2, v2, v11
	v_mul_hi_u32 v2, v24, v2
	v_mul_lo_u32 v11, v2, s28
	v_add_nc_u32_e32 v12, 1, v2
	v_sub_nc_u32_e32 v11, v24, v11
	v_subrev_nc_u32_e32 v28, s28, v11
	v_cmp_le_u32_e32 vcc_lo, s28, v11
	v_cndmask_b32_e32 v11, v11, v28, vcc_lo
	v_cndmask_b32_e32 v2, v2, v12, vcc_lo
	v_cmp_le_u32_e32 vcc_lo, s28, v11
	v_add_nc_u32_e32 v12, 1, v2
	v_cndmask_b32_e32 v11, v2, v12, vcc_lo
	v_mov_b32_e32 v12, v1
.LBB55_39:                              ;   in Loop: Header=BB55_3 Depth=1
	s_or_b32 exec_lo, exec_lo, s0
	v_mul_lo_u32 v2, v12, s28
	v_mul_lo_u32 v28, v11, s29
	v_mad_u64_u32 v[30:31], null, v11, s28, 0
	v_sub_f32_e32 v18, v19, v18
	s_mov_b32 s0, exec_lo
	v_add3_u32 v2, v31, v28, v2
	v_mul_lo_u32 v28, v12, s12
	v_sub_co_u32 v12, vcc_lo, v5, v30
	v_mul_lo_u32 v30, v11, s13
	v_sub_co_ci_u32_e64 v2, null, v6, v2, vcc_lo
	v_add_co_u32 v19, vcc_lo, v3, v12
	v_mad_u64_u32 v[11:12], null, v11, s12, 0
	v_add_co_ci_u32_e64 v2, null, v4, v2, vcc_lo
	v_add_co_u32 v9, vcc_lo, v9, 2
	v_add_co_ci_u32_e64 v10, null, 0, v10, vcc_lo
	v_mul_f32_e32 v31, v18, v16
	v_mul_lo_u32 v32, v19, s15
	v_mul_lo_u32 v2, v2, s14
	v_mad_u64_u32 v[18:19], null, v19, s14, 0
	v_mul_lo_u32 v33, s9, v9
	v_mul_lo_u32 v34, s8, v10
	v_mad_u64_u32 v[9:10], null, s8, v9, 0
	v_add3_u32 v12, v12, v30, v28
	v_mul_f32_e32 v26, v26, v31
	v_add3_u32 v19, v19, v32, v2
	v_lshlrev_b64 v[11:12], 2, v[11:12]
	v_add3_u32 v10, v10, v34, v33
	v_lshlrev_b64 v[30:31], 2, v[18:19]
	v_add_co_u32 v19, vcc_lo, v3, v9
	v_mul_f32_e32 v28, v15, v26
	v_add_co_ci_u32_e64 v26, null, v4, v10, vcc_lo
	v_add_co_u32 v11, vcc_lo, s2, v11
	v_add_co_ci_u32_e64 v12, null, s3, v12, vcc_lo
	v_or_b32_e32 v2, s29, v26
	v_add_co_u32 v11, vcc_lo, v11, v30
	v_add_co_ci_u32_e64 v12, null, v12, v31, vcc_lo
	v_ashrrev_i32_e32 v18, 31, v26
	global_store_dword v[11:12], v28, off
                                        ; implicit-def: $vgpr11_vgpr12
	v_cmpx_ne_u64_e32 0, v[1:2]
	s_xor_b32 s53, exec_lo, s0
	s_cbranch_execz .LBB55_41
; %bb.40:                               ;   in Loop: Header=BB55_3 Depth=1
	s_ashr_i32 s54, s29, 31
	v_add_co_u32 v12, vcc_lo, v19, v18
	s_add_u32 s56, s28, s54
	s_mov_b32 s55, s54
	s_addc_u32 s57, s29, s54
	v_add_co_ci_u32_e64 v29, null, v26, v18, vcc_lo
	s_xor_b64 s[56:57], s[56:57], s[54:55]
	v_cvt_f32_u32_e32 v2, s56
	v_cvt_f32_u32_e32 v11, s57
	s_sub_u32 s62, 0, s56
	s_subb_u32 s63, 0, s57
	v_xor_b32_e32 v33, v29, v18
	v_fmac_f32_e32 v2, 0x4f800000, v11
	v_rcp_f32_e32 v2, v2
	v_mul_f32_e32 v2, 0x5f7ffffc, v2
	v_mul_f32_e32 v11, 0x2f800000, v2
	v_trunc_f32_e32 v11, v11
	v_fmac_f32_e32 v2, 0xcf800000, v11
	v_cvt_u32_f32_e32 v11, v11
	v_cvt_u32_f32_e32 v2, v2
	v_readfirstlane_b32 s0, v11
	v_readfirstlane_b32 s55, v2
	s_mul_i32 s64, s62, s0
	v_xor_b32_e32 v2, v12, v18
	s_mul_hi_u32 s66, s62, s55
	s_mul_i32 s65, s63, s55
	s_add_i32 s64, s66, s64
	s_mul_i32 s67, s62, s55
	s_add_i32 s64, s64, s65
	s_mul_hi_u32 s66, s55, s67
	s_mul_i32 s69, s55, s64
	s_mul_hi_u32 s68, s0, s67
	s_mul_i32 s65, s0, s67
	s_mul_hi_u32 s67, s55, s64
	s_add_u32 s66, s66, s69
	s_addc_u32 s67, 0, s67
	s_mul_hi_u32 s70, s0, s64
	s_add_u32 s65, s66, s65
	s_mul_i32 s64, s0, s64
	s_addc_u32 s65, s67, s68
	s_addc_u32 s66, s70, 0
	s_add_u32 s64, s65, s64
	s_addc_u32 s65, 0, s66
	s_add_u32 s55, s55, s64
	s_cselect_b32 s64, -1, 0
	s_mul_hi_u32 s66, s62, s55
	s_cmp_lg_u32 s64, 0
	s_mul_i32 s64, s62, s55
	s_addc_u32 s0, s0, s65
	s_mul_i32 s63, s63, s55
	s_mul_i32 s62, s62, s0
	s_mul_hi_u32 s65, s55, s64
	s_add_i32 s62, s66, s62
	s_mul_hi_u32 s66, s0, s64
	s_add_i32 s62, s62, s63
	s_mul_i32 s63, s0, s64
	s_mul_i32 s68, s55, s62
	s_mul_hi_u32 s67, s55, s62
	s_add_u32 s65, s65, s68
	s_addc_u32 s67, 0, s67
	s_mul_hi_u32 s64, s0, s62
	s_add_u32 s63, s65, s63
	s_mul_i32 s62, s0, s62
	s_addc_u32 s63, s67, s66
	s_addc_u32 s64, s64, 0
	s_add_u32 s62, s63, s62
	s_addc_u32 s63, 0, s64
	s_add_u32 s55, s55, s62
	s_cselect_b32 s62, -1, 0
	v_mul_hi_u32 v34, v2, s55
	s_cmp_lg_u32 s62, 0
	v_mad_u64_u32 v[29:30], null, v33, s55, 0
	s_addc_u32 s0, s0, s63
	v_mad_u64_u32 v[11:12], null, v2, s0, 0
	v_mad_u64_u32 v[31:32], null, v33, s0, 0
	v_add_co_u32 v11, vcc_lo, v34, v11
	v_add_co_ci_u32_e64 v12, null, 0, v12, vcc_lo
	v_add_co_u32 v11, vcc_lo, v11, v29
	v_add_co_ci_u32_e32 v11, vcc_lo, v12, v30, vcc_lo
	v_add_co_ci_u32_e32 v12, vcc_lo, 0, v32, vcc_lo
	v_add_co_u32 v29, vcc_lo, v11, v31
	v_add_co_ci_u32_e64 v30, null, 0, v12, vcc_lo
	v_mul_lo_u32 v31, s57, v29
	v_mad_u64_u32 v[11:12], null, s56, v29, 0
	v_mul_lo_u32 v32, s56, v30
	v_sub_co_u32 v2, vcc_lo, v2, v11
	v_add3_u32 v12, v12, v32, v31
	v_sub_nc_u32_e32 v31, v33, v12
	v_sub_co_ci_u32_e64 v12, null, v33, v12, vcc_lo
	v_subrev_co_ci_u32_e64 v11, null, s57, v31, vcc_lo
	v_add_co_u32 v31, s0, v29, 2
	v_add_co_ci_u32_e64 v32, null, 0, v30, s0
	v_sub_co_u32 v34, s0, v2, s56
	v_subrev_co_ci_u32_e64 v11, null, 0, v11, s0
	v_cmp_le_u32_e32 vcc_lo, s56, v34
	v_cndmask_b32_e64 v33, 0, -1, vcc_lo
	v_cmp_le_u32_e32 vcc_lo, s57, v11
	v_cndmask_b32_e64 v34, 0, -1, vcc_lo
	;; [unrolled: 2-line block ×4, first 2 shown]
	v_cmp_eq_u32_e32 vcc_lo, s57, v11
	v_cndmask_b32_e32 v11, v34, v33, vcc_lo
	v_add_co_u32 v33, vcc_lo, v29, 1
	v_add_co_ci_u32_e64 v34, null, 0, v30, vcc_lo
	v_cmp_eq_u32_e32 vcc_lo, s57, v12
	v_xor_b32_e32 v12, s54, v18
	v_cndmask_b32_e32 v2, v35, v2, vcc_lo
	v_cmp_ne_u32_e32 vcc_lo, 0, v11
	v_cmp_ne_u32_e64 s0, 0, v2
	v_cndmask_b32_e32 v2, v33, v31, vcc_lo
	v_cndmask_b32_e32 v11, v34, v32, vcc_lo
	v_cndmask_b32_e64 v2, v29, v2, s0
	v_cndmask_b32_e64 v11, v30, v11, s0
	v_xor_b32_e32 v2, v2, v12
	v_xor_b32_e32 v29, v11, v12
	v_sub_co_u32 v11, vcc_lo, v2, v12
	v_sub_co_ci_u32_e64 v12, null, v29, v12, vcc_lo
                                        ; implicit-def: $vgpr29
.LBB55_41:                              ;   in Loop: Header=BB55_3 Depth=1
	s_andn2_saveexec_b32 s0, s53
	s_cbranch_execz .LBB55_43
; %bb.42:                               ;   in Loop: Header=BB55_3 Depth=1
	v_rcp_iflag_f32_e32 v2, v29
	s_sub_i32 s53, 0, s28
	v_mul_f32_e32 v2, 0x4f7ffffe, v2
	v_cvt_u32_f32_e32 v2, v2
	v_mul_lo_u32 v11, s53, v2
	v_mul_hi_u32 v11, v2, v11
	v_add_nc_u32_e32 v2, v2, v11
	v_mul_hi_u32 v2, v19, v2
	v_mul_lo_u32 v11, v2, s28
	v_add_nc_u32_e32 v12, 1, v2
	v_sub_nc_u32_e32 v11, v19, v11
	v_subrev_nc_u32_e32 v29, s28, v11
	v_cmp_le_u32_e32 vcc_lo, s28, v11
	v_cndmask_b32_e32 v11, v11, v29, vcc_lo
	v_cndmask_b32_e32 v2, v2, v12, vcc_lo
	v_cmp_le_u32_e32 vcc_lo, s28, v11
	v_add_nc_u32_e32 v12, 1, v2
	v_cndmask_b32_e32 v11, v2, v12, vcc_lo
	v_mov_b32_e32 v12, v1
.LBB55_43:                              ;   in Loop: Header=BB55_3 Depth=1
	s_or_b32 exec_lo, exec_lo, s0
	v_mul_lo_u32 v2, v12, s28
	v_mul_lo_u32 v31, v11, s29
	v_mad_u64_u32 v[29:30], null, v11, s28, 0
	v_mul_lo_u32 v32, v11, s13
	s_mov_b32 s0, exec_lo
	v_add3_u32 v2, v30, v31, v2
	v_mul_lo_u32 v31, v12, s12
	v_sub_co_u32 v12, vcc_lo, v9, v29
	v_sub_co_ci_u32_e64 v2, null, v10, v2, vcc_lo
	v_add_co_u32 v29, vcc_lo, v3, v12
	v_mad_u64_u32 v[11:12], null, v11, s12, 0
	v_add_co_ci_u32_e64 v2, null, v4, v2, vcc_lo
	v_mul_lo_u32 v33, v29, s15
	v_mad_u64_u32 v[29:30], null, v29, s14, 0
	v_mul_lo_u32 v2, v2, s14
	v_add3_u32 v12, v12, v32, v31
	v_lshlrev_b64 v[11:12], 2, v[11:12]
	v_add3_u32 v30, v30, v33, v2
	v_or_b32_e32 v2, s35, v23
	v_add_co_u32 v11, vcc_lo, s2, v11
	v_lshlrev_b64 v[29:30], 2, v[29:30]
	v_add_co_ci_u32_e64 v12, null, s3, v12, vcc_lo
	v_add_co_u32 v11, vcc_lo, v11, v29
	v_add_co_ci_u32_e64 v12, null, v12, v30, vcc_lo
	global_store_dword v[11:12], v17, off
                                        ; implicit-def: $vgpr11_vgpr12
	v_cmpx_ne_u64_e32 0, v[1:2]
	s_xor_b32 s53, exec_lo, s0
	s_cbranch_execz .LBB55_45
; %bb.44:                               ;   in Loop: Header=BB55_3 Depth=1
	s_ashr_i32 s54, s35, 31
	v_add_co_u32 v12, vcc_lo, v22, v20
	s_add_u32 s56, s34, s54
	s_mov_b32 s55, s54
	s_addc_u32 s57, s35, s54
	v_add_co_ci_u32_e64 v22, null, v23, v20, vcc_lo
	s_xor_b64 s[56:57], s[56:57], s[54:55]
	v_cvt_f32_u32_e32 v2, s56
	v_cvt_f32_u32_e32 v11, s57
	s_sub_u32 s62, 0, s56
	s_subb_u32 s63, 0, s57
	v_xor_b32_e32 v31, v22, v20
	v_fmac_f32_e32 v2, 0x4f800000, v11
	v_rcp_f32_e32 v2, v2
	v_mul_f32_e32 v2, 0x5f7ffffc, v2
	v_mul_f32_e32 v11, 0x2f800000, v2
	v_trunc_f32_e32 v11, v11
	v_fmac_f32_e32 v2, 0xcf800000, v11
	v_cvt_u32_f32_e32 v11, v11
	v_cvt_u32_f32_e32 v2, v2
	v_readfirstlane_b32 s0, v11
	v_readfirstlane_b32 s55, v2
	s_mul_i32 s64, s62, s0
	v_xor_b32_e32 v2, v12, v20
	s_mul_hi_u32 s66, s62, s55
	s_mul_i32 s65, s63, s55
	s_add_i32 s64, s66, s64
	s_mul_i32 s67, s62, s55
	s_add_i32 s64, s64, s65
	s_mul_hi_u32 s66, s55, s67
	s_mul_i32 s69, s55, s64
	s_mul_hi_u32 s68, s0, s67
	s_mul_i32 s65, s0, s67
	s_mul_hi_u32 s67, s55, s64
	s_add_u32 s66, s66, s69
	s_addc_u32 s67, 0, s67
	s_mul_hi_u32 s70, s0, s64
	s_add_u32 s65, s66, s65
	s_mul_i32 s64, s0, s64
	s_addc_u32 s65, s67, s68
	s_addc_u32 s66, s70, 0
	s_add_u32 s64, s65, s64
	s_addc_u32 s65, 0, s66
	s_add_u32 s55, s55, s64
	s_cselect_b32 s64, -1, 0
	s_mul_hi_u32 s66, s62, s55
	s_cmp_lg_u32 s64, 0
	s_mul_i32 s64, s62, s55
	s_addc_u32 s0, s0, s65
	s_mul_i32 s63, s63, s55
	s_mul_i32 s62, s62, s0
	s_mul_hi_u32 s65, s55, s64
	s_add_i32 s62, s66, s62
	s_mul_hi_u32 s66, s0, s64
	s_add_i32 s62, s62, s63
	s_mul_i32 s63, s0, s64
	s_mul_i32 s68, s55, s62
	s_mul_hi_u32 s67, s55, s62
	s_add_u32 s65, s65, s68
	s_addc_u32 s67, 0, s67
	s_mul_hi_u32 s64, s0, s62
	s_add_u32 s63, s65, s63
	s_mul_i32 s62, s0, s62
	s_addc_u32 s63, s67, s66
	s_addc_u32 s64, s64, 0
	s_add_u32 s62, s63, s62
	s_addc_u32 s63, 0, s64
	s_add_u32 s55, s55, s62
	s_cselect_b32 s62, -1, 0
	v_mul_hi_u32 v32, v2, s55
	s_cmp_lg_u32 s62, 0
	v_mad_u64_u32 v[22:23], null, v31, s55, 0
	s_addc_u32 s0, s0, s63
	v_mad_u64_u32 v[11:12], null, v2, s0, 0
	v_mad_u64_u32 v[29:30], null, v31, s0, 0
	v_add_co_u32 v11, vcc_lo, v32, v11
	v_add_co_ci_u32_e64 v12, null, 0, v12, vcc_lo
	v_add_co_u32 v11, vcc_lo, v11, v22
	v_add_co_ci_u32_e32 v11, vcc_lo, v12, v23, vcc_lo
	v_add_co_ci_u32_e32 v12, vcc_lo, 0, v30, vcc_lo
	v_add_co_u32 v22, vcc_lo, v11, v29
	v_add_co_ci_u32_e64 v23, null, 0, v12, vcc_lo
	v_mul_lo_u32 v29, s57, v22
	v_mad_u64_u32 v[11:12], null, s56, v22, 0
	v_mul_lo_u32 v30, s56, v23
	v_sub_co_u32 v2, vcc_lo, v2, v11
	v_add3_u32 v12, v12, v30, v29
	v_sub_nc_u32_e32 v29, v31, v12
	v_sub_co_ci_u32_e64 v12, null, v31, v12, vcc_lo
	v_subrev_co_ci_u32_e64 v11, null, s57, v29, vcc_lo
	v_add_co_u32 v29, s0, v22, 2
	v_add_co_ci_u32_e64 v30, null, 0, v23, s0
	v_sub_co_u32 v32, s0, v2, s56
	v_subrev_co_ci_u32_e64 v11, null, 0, v11, s0
	v_cmp_le_u32_e32 vcc_lo, s56, v32
	v_cndmask_b32_e64 v31, 0, -1, vcc_lo
	v_cmp_le_u32_e32 vcc_lo, s57, v11
	v_cndmask_b32_e64 v32, 0, -1, vcc_lo
	;; [unrolled: 2-line block ×4, first 2 shown]
	v_cmp_eq_u32_e32 vcc_lo, s57, v11
	v_cndmask_b32_e32 v11, v32, v31, vcc_lo
	v_add_co_u32 v31, vcc_lo, v22, 1
	v_add_co_ci_u32_e64 v32, null, 0, v23, vcc_lo
	v_cmp_eq_u32_e32 vcc_lo, s57, v12
	v_xor_b32_e32 v12, s54, v20
	v_cndmask_b32_e32 v2, v33, v2, vcc_lo
	v_cmp_ne_u32_e32 vcc_lo, 0, v11
	v_cmp_ne_u32_e64 s0, 0, v2
	v_cndmask_b32_e32 v2, v31, v29, vcc_lo
	v_cndmask_b32_e32 v11, v32, v30, vcc_lo
	v_cndmask_b32_e64 v2, v22, v2, s0
	v_cndmask_b32_e64 v11, v23, v11, s0
                                        ; implicit-def: $vgpr22
	v_xor_b32_e32 v2, v2, v12
	v_xor_b32_e32 v20, v11, v12
	v_sub_co_u32 v11, vcc_lo, v2, v12
	v_sub_co_ci_u32_e64 v12, null, v20, v12, vcc_lo
.LBB55_45:                              ;   in Loop: Header=BB55_3 Depth=1
	s_or_saveexec_b32 s0, s53
	v_cvt_f32_u32_e32 v20, s34
	s_xor_b32 exec_lo, exec_lo, s0
	s_cbranch_execz .LBB55_47
; %bb.46:                               ;   in Loop: Header=BB55_3 Depth=1
	v_rcp_iflag_f32_e32 v2, v20
	s_sub_i32 s53, 0, s34
	v_mul_f32_e32 v2, 0x4f7ffffe, v2
	v_cvt_u32_f32_e32 v2, v2
	v_mul_lo_u32 v11, s53, v2
	v_mul_hi_u32 v11, v2, v11
	v_add_nc_u32_e32 v2, v2, v11
	v_mul_hi_u32 v2, v22, v2
	v_mul_lo_u32 v11, v2, s34
	v_add_nc_u32_e32 v12, 1, v2
	v_sub_nc_u32_e32 v11, v22, v11
	v_subrev_nc_u32_e32 v22, s34, v11
	v_cmp_le_u32_e32 vcc_lo, s34, v11
	v_cndmask_b32_e32 v11, v11, v22, vcc_lo
	v_cndmask_b32_e32 v2, v2, v12, vcc_lo
	v_cmp_le_u32_e32 vcc_lo, s34, v11
	v_add_nc_u32_e32 v12, 1, v2
	v_cndmask_b32_e32 v11, v2, v12, vcc_lo
	v_mov_b32_e32 v12, v1
.LBB55_47:                              ;   in Loop: Header=BB55_3 Depth=1
	s_or_b32 exec_lo, exec_lo, s0
	v_mul_lo_u32 v2, v12, s34
	v_mul_lo_u32 v29, v11, s35
	v_mad_u64_u32 v[22:23], null, v11, s34, 0
	s_mov_b32 s0, exec_lo
	v_add3_u32 v2, v23, v29, v2
	v_sub_co_u32 v7, vcc_lo, v7, v22
	v_mul_lo_u32 v23, v12, s16
	v_mul_lo_u32 v22, v11, s17
	v_sub_co_ci_u32_e64 v2, null, v8, v2, vcc_lo
	v_add_co_u32 v12, vcc_lo, v3, v7
	v_mad_u64_u32 v[7:8], null, v11, s16, 0
	v_add_co_ci_u32_e64 v2, null, v4, v2, vcc_lo
	v_mul_lo_u32 v29, v12, s19
	v_mad_u64_u32 v[11:12], null, v12, s18, 0
	v_mul_lo_u32 v2, v2, s18
	v_add3_u32 v8, v8, v22, v23
	v_lshlrev_b64 v[7:8], 2, v[7:8]
	v_add3_u32 v12, v12, v29, v2
	v_or_b32_e32 v2, s35, v25
	v_add_co_u32 v7, vcc_lo, s30, v7
	v_lshlrev_b64 v[11:12], 2, v[11:12]
	v_add_co_ci_u32_e64 v8, null, s31, v8, vcc_lo
	v_add_co_u32 v7, vcc_lo, v7, v11
	v_add_co_ci_u32_e64 v8, null, v8, v12, vcc_lo
	global_store_dword v[7:8], v27, off
                                        ; implicit-def: $vgpr7_vgpr8
	v_cmpx_ne_u64_e32 0, v[1:2]
	s_xor_b32 s53, exec_lo, s0
	s_cbranch_execz .LBB55_49
; %bb.48:                               ;   in Loop: Header=BB55_3 Depth=1
	s_ashr_i32 s54, s35, 31
	v_add_co_u32 v8, vcc_lo, v24, v21
	s_add_u32 s56, s34, s54
	s_mov_b32 s55, s54
	s_addc_u32 s57, s35, s54
	v_add_co_ci_u32_e64 v11, null, v25, v21, vcc_lo
	s_xor_b64 s[56:57], s[56:57], s[54:55]
	v_cvt_f32_u32_e32 v2, s56
	v_cvt_f32_u32_e32 v7, s57
	s_sub_u32 s62, 0, s56
	s_subb_u32 s63, 0, s57
	v_xor_b32_e32 v24, v11, v21
	v_fmac_f32_e32 v2, 0x4f800000, v7
	v_rcp_f32_e32 v2, v2
	v_mul_f32_e32 v2, 0x5f7ffffc, v2
	v_mul_f32_e32 v7, 0x2f800000, v2
	v_trunc_f32_e32 v7, v7
	v_fmac_f32_e32 v2, 0xcf800000, v7
	v_cvt_u32_f32_e32 v7, v7
	v_cvt_u32_f32_e32 v2, v2
	v_readfirstlane_b32 s0, v7
	v_readfirstlane_b32 s55, v2
	s_mul_i32 s64, s62, s0
	v_xor_b32_e32 v2, v8, v21
	s_mul_hi_u32 s66, s62, s55
	s_mul_i32 s65, s63, s55
	s_add_i32 s64, s66, s64
	s_mul_i32 s67, s62, s55
	s_add_i32 s64, s64, s65
	s_mul_hi_u32 s66, s55, s67
	s_mul_i32 s69, s55, s64
	s_mul_hi_u32 s68, s0, s67
	s_mul_i32 s65, s0, s67
	s_mul_hi_u32 s67, s55, s64
	s_add_u32 s66, s66, s69
	s_addc_u32 s67, 0, s67
	s_mul_hi_u32 s70, s0, s64
	s_add_u32 s65, s66, s65
	s_mul_i32 s64, s0, s64
	s_addc_u32 s65, s67, s68
	s_addc_u32 s66, s70, 0
	s_add_u32 s64, s65, s64
	s_addc_u32 s65, 0, s66
	s_add_u32 s55, s55, s64
	s_cselect_b32 s64, -1, 0
	s_mul_hi_u32 s66, s62, s55
	s_cmp_lg_u32 s64, 0
	s_mul_i32 s64, s62, s55
	s_addc_u32 s0, s0, s65
	s_mul_i32 s63, s63, s55
	s_mul_i32 s62, s62, s0
	s_mul_hi_u32 s65, s55, s64
	s_add_i32 s62, s66, s62
	s_mul_hi_u32 s66, s0, s64
	s_add_i32 s62, s62, s63
	s_mul_i32 s63, s0, s64
	s_mul_i32 s68, s55, s62
	s_mul_hi_u32 s67, s55, s62
	s_add_u32 s65, s65, s68
	s_addc_u32 s67, 0, s67
	s_mul_hi_u32 s64, s0, s62
	s_add_u32 s63, s65, s63
	s_mul_i32 s62, s0, s62
	s_addc_u32 s63, s67, s66
	s_addc_u32 s64, s64, 0
	s_add_u32 s62, s63, s62
	s_addc_u32 s63, 0, s64
	s_add_u32 s55, s55, s62
	s_cselect_b32 s62, -1, 0
	v_mul_hi_u32 v25, v2, s55
	s_cmp_lg_u32 s62, 0
	v_mad_u64_u32 v[11:12], null, v24, s55, 0
	s_addc_u32 s0, s0, s63
	v_mad_u64_u32 v[7:8], null, v2, s0, 0
	v_mad_u64_u32 v[22:23], null, v24, s0, 0
	v_add_co_u32 v7, vcc_lo, v25, v7
	v_add_co_ci_u32_e64 v8, null, 0, v8, vcc_lo
	v_add_co_u32 v7, vcc_lo, v7, v11
	v_add_co_ci_u32_e32 v7, vcc_lo, v8, v12, vcc_lo
	v_add_co_ci_u32_e32 v8, vcc_lo, 0, v23, vcc_lo
	v_add_co_u32 v11, vcc_lo, v7, v22
	v_add_co_ci_u32_e64 v12, null, 0, v8, vcc_lo
	v_mul_lo_u32 v22, s57, v11
	v_mad_u64_u32 v[7:8], null, s56, v11, 0
	v_mul_lo_u32 v23, s56, v12
	v_sub_co_u32 v2, vcc_lo, v2, v7
	v_add3_u32 v8, v8, v23, v22
	v_sub_nc_u32_e32 v22, v24, v8
	v_sub_co_ci_u32_e64 v8, null, v24, v8, vcc_lo
	v_subrev_co_ci_u32_e64 v7, null, s57, v22, vcc_lo
	v_add_co_u32 v22, s0, v11, 2
	v_add_co_ci_u32_e64 v23, null, 0, v12, s0
	v_sub_co_u32 v25, s0, v2, s56
	v_subrev_co_ci_u32_e64 v7, null, 0, v7, s0
	v_cmp_le_u32_e32 vcc_lo, s56, v25
	v_cndmask_b32_e64 v24, 0, -1, vcc_lo
	v_cmp_le_u32_e32 vcc_lo, s57, v7
	v_cndmask_b32_e64 v25, 0, -1, vcc_lo
	;; [unrolled: 2-line block ×4, first 2 shown]
	v_cmp_eq_u32_e32 vcc_lo, s57, v7
	v_cndmask_b32_e32 v7, v25, v24, vcc_lo
	v_add_co_u32 v24, vcc_lo, v11, 1
	v_add_co_ci_u32_e64 v25, null, 0, v12, vcc_lo
	v_cmp_eq_u32_e32 vcc_lo, s57, v8
	v_xor_b32_e32 v8, s54, v21
	v_cndmask_b32_e32 v2, v27, v2, vcc_lo
	v_cmp_ne_u32_e32 vcc_lo, 0, v7
	v_cmp_ne_u32_e64 s0, 0, v2
	v_cndmask_b32_e32 v2, v24, v22, vcc_lo
	v_cndmask_b32_e32 v7, v25, v23, vcc_lo
                                        ; implicit-def: $vgpr24
	v_cndmask_b32_e64 v2, v11, v2, s0
	v_cndmask_b32_e64 v7, v12, v7, s0
	v_xor_b32_e32 v2, v2, v8
	v_xor_b32_e32 v11, v7, v8
	v_sub_co_u32 v7, vcc_lo, v2, v8
	v_sub_co_ci_u32_e64 v8, null, v11, v8, vcc_lo
.LBB55_49:                              ;   in Loop: Header=BB55_3 Depth=1
	s_andn2_saveexec_b32 s0, s53
	s_cbranch_execz .LBB55_51
; %bb.50:                               ;   in Loop: Header=BB55_3 Depth=1
	v_rcp_iflag_f32_e32 v2, v20
	s_sub_i32 s53, 0, s34
	v_mul_f32_e32 v2, 0x4f7ffffe, v2
	v_cvt_u32_f32_e32 v2, v2
	v_mul_lo_u32 v7, s53, v2
	v_mul_hi_u32 v7, v2, v7
	v_add_nc_u32_e32 v2, v2, v7
	v_mul_hi_u32 v2, v24, v2
	v_mul_lo_u32 v7, v2, s34
	v_add_nc_u32_e32 v8, 1, v2
	v_sub_nc_u32_e32 v7, v24, v7
	v_subrev_nc_u32_e32 v11, s34, v7
	v_cmp_le_u32_e32 vcc_lo, s34, v7
	v_cndmask_b32_e32 v7, v7, v11, vcc_lo
	v_cndmask_b32_e32 v2, v2, v8, vcc_lo
	v_cmp_le_u32_e32 vcc_lo, s34, v7
	v_add_nc_u32_e32 v8, 1, v2
	v_cndmask_b32_e32 v7, v2, v8, vcc_lo
	v_mov_b32_e32 v8, v1
.LBB55_51:                              ;   in Loop: Header=BB55_3 Depth=1
	s_or_b32 exec_lo, exec_lo, s0
	v_mul_lo_u32 v2, v8, s34
	v_mul_lo_u32 v21, v7, s35
	v_mad_u64_u32 v[11:12], null, v7, s34, 0
	s_mov_b32 s0, exec_lo
	v_add3_u32 v2, v12, v21, v2
	v_sub_co_u32 v5, vcc_lo, v5, v11
	v_mul_lo_u32 v12, v8, s16
	v_mul_lo_u32 v11, v7, s17
	v_sub_co_ci_u32_e64 v2, null, v6, v2, vcc_lo
	v_add_co_u32 v8, vcc_lo, v3, v5
	v_mad_u64_u32 v[5:6], null, v7, s16, 0
	v_add_co_ci_u32_e64 v2, null, v4, v2, vcc_lo
	v_mul_lo_u32 v21, v8, s19
	v_mad_u64_u32 v[7:8], null, v8, s18, 0
	v_mul_lo_u32 v2, v2, s18
	v_add3_u32 v6, v6, v11, v12
	v_lshlrev_b64 v[5:6], 2, v[5:6]
	v_add3_u32 v8, v8, v21, v2
	v_or_b32_e32 v2, s35, v26
	v_add_co_u32 v5, vcc_lo, s30, v5
	v_lshlrev_b64 v[7:8], 2, v[7:8]
	v_add_co_ci_u32_e64 v6, null, s31, v6, vcc_lo
	v_add_co_u32 v5, vcc_lo, v5, v7
	v_add_co_ci_u32_e64 v6, null, v6, v8, vcc_lo
	global_store_dword v[5:6], v28, off
                                        ; implicit-def: $vgpr5_vgpr6
	v_cmpx_ne_u64_e32 0, v[1:2]
	s_xor_b32 s53, exec_lo, s0
	s_cbranch_execz .LBB55_53
; %bb.52:                               ;   in Loop: Header=BB55_3 Depth=1
	s_ashr_i32 s54, s35, 31
	v_add_co_u32 v6, vcc_lo, v19, v18
	s_add_u32 s56, s34, s54
	s_mov_b32 s55, s54
	s_addc_u32 s57, s35, s54
	v_add_co_ci_u32_e64 v7, null, v26, v18, vcc_lo
	s_xor_b64 s[56:57], s[56:57], s[54:55]
	v_cvt_f32_u32_e32 v2, s56
	v_cvt_f32_u32_e32 v5, s57
	s_sub_u32 s62, 0, s56
	s_subb_u32 s63, 0, s57
	v_xor_b32_e32 v19, v7, v18
	v_fmac_f32_e32 v2, 0x4f800000, v5
	v_rcp_f32_e32 v2, v2
	v_mul_f32_e32 v2, 0x5f7ffffc, v2
	v_mul_f32_e32 v5, 0x2f800000, v2
	v_trunc_f32_e32 v5, v5
	v_fmac_f32_e32 v2, 0xcf800000, v5
	v_cvt_u32_f32_e32 v5, v5
	v_cvt_u32_f32_e32 v2, v2
	v_readfirstlane_b32 s0, v5
	v_readfirstlane_b32 s55, v2
	s_mul_i32 s64, s62, s0
	v_xor_b32_e32 v2, v6, v18
	s_mul_hi_u32 s66, s62, s55
	s_mul_i32 s65, s63, s55
	s_add_i32 s64, s66, s64
	s_mul_i32 s67, s62, s55
	s_add_i32 s64, s64, s65
	s_mul_hi_u32 s66, s55, s67
	s_mul_i32 s69, s55, s64
	s_mul_hi_u32 s68, s0, s67
	s_mul_i32 s65, s0, s67
	s_mul_hi_u32 s67, s55, s64
	s_add_u32 s66, s66, s69
	s_addc_u32 s67, 0, s67
	s_mul_hi_u32 s70, s0, s64
	s_add_u32 s65, s66, s65
	s_mul_i32 s64, s0, s64
	s_addc_u32 s65, s67, s68
	s_addc_u32 s66, s70, 0
	s_add_u32 s64, s65, s64
	s_addc_u32 s65, 0, s66
	s_add_u32 s55, s55, s64
	s_cselect_b32 s64, -1, 0
	s_mul_hi_u32 s66, s62, s55
	s_cmp_lg_u32 s64, 0
	s_mul_i32 s64, s62, s55
	s_addc_u32 s0, s0, s65
	s_mul_i32 s63, s63, s55
	s_mul_i32 s62, s62, s0
	s_mul_hi_u32 s65, s55, s64
	s_add_i32 s62, s66, s62
	s_mul_hi_u32 s66, s0, s64
	s_add_i32 s62, s62, s63
	s_mul_i32 s63, s0, s64
	s_mul_i32 s68, s55, s62
	s_mul_hi_u32 s67, s55, s62
	s_add_u32 s65, s65, s68
	s_addc_u32 s67, 0, s67
	s_mul_hi_u32 s64, s0, s62
	s_add_u32 s63, s65, s63
	s_mul_i32 s62, s0, s62
	s_addc_u32 s63, s67, s66
	s_addc_u32 s64, s64, 0
	s_add_u32 s62, s63, s62
	s_addc_u32 s63, 0, s64
	s_add_u32 s55, s55, s62
	s_cselect_b32 s62, -1, 0
	v_mul_hi_u32 v20, v2, s55
	s_cmp_lg_u32 s62, 0
	v_mad_u64_u32 v[7:8], null, v19, s55, 0
	s_addc_u32 s0, s0, s63
	v_mad_u64_u32 v[5:6], null, v2, s0, 0
	v_mad_u64_u32 v[11:12], null, v19, s0, 0
	v_add_co_u32 v5, vcc_lo, v20, v5
	v_add_co_ci_u32_e64 v6, null, 0, v6, vcc_lo
	v_add_co_u32 v5, vcc_lo, v5, v7
	v_add_co_ci_u32_e32 v5, vcc_lo, v6, v8, vcc_lo
	v_add_co_ci_u32_e32 v6, vcc_lo, 0, v12, vcc_lo
	v_add_co_u32 v7, vcc_lo, v5, v11
	v_add_co_ci_u32_e64 v8, null, 0, v6, vcc_lo
	v_mul_lo_u32 v11, s57, v7
	v_mad_u64_u32 v[5:6], null, s56, v7, 0
	v_mul_lo_u32 v12, s56, v8
	v_sub_co_u32 v2, vcc_lo, v2, v5
	v_add3_u32 v6, v6, v12, v11
	v_sub_nc_u32_e32 v11, v19, v6
	v_sub_co_ci_u32_e64 v6, null, v19, v6, vcc_lo
	v_subrev_co_ci_u32_e64 v5, null, s57, v11, vcc_lo
	v_add_co_u32 v11, s0, v7, 2
	v_add_co_ci_u32_e64 v12, null, 0, v8, s0
	v_sub_co_u32 v20, s0, v2, s56
	v_subrev_co_ci_u32_e64 v5, null, 0, v5, s0
	v_cmp_le_u32_e32 vcc_lo, s56, v20
	v_cndmask_b32_e64 v19, 0, -1, vcc_lo
	v_cmp_le_u32_e32 vcc_lo, s57, v5
	v_cndmask_b32_e64 v20, 0, -1, vcc_lo
	;; [unrolled: 2-line block ×4, first 2 shown]
	v_cmp_eq_u32_e32 vcc_lo, s57, v5
	v_cndmask_b32_e32 v5, v20, v19, vcc_lo
	v_add_co_u32 v19, vcc_lo, v7, 1
	v_add_co_ci_u32_e64 v20, null, 0, v8, vcc_lo
	v_cmp_eq_u32_e32 vcc_lo, s57, v6
	v_xor_b32_e32 v6, s54, v18
	v_cndmask_b32_e32 v2, v21, v2, vcc_lo
	v_cmp_ne_u32_e32 vcc_lo, 0, v5
	v_cmp_ne_u32_e64 s0, 0, v2
	v_cndmask_b32_e32 v2, v19, v11, vcc_lo
	v_cndmask_b32_e32 v5, v20, v12, vcc_lo
                                        ; implicit-def: $vgpr20
                                        ; implicit-def: $vgpr19
	v_cndmask_b32_e64 v2, v7, v2, s0
	v_cndmask_b32_e64 v5, v8, v5, s0
	v_xor_b32_e32 v2, v2, v6
	v_xor_b32_e32 v7, v5, v6
	v_sub_co_u32 v5, vcc_lo, v2, v6
	v_sub_co_ci_u32_e64 v6, null, v7, v6, vcc_lo
.LBB55_53:                              ;   in Loop: Header=BB55_3 Depth=1
	s_andn2_saveexec_b32 s0, s53
	s_cbranch_execz .LBB55_55
; %bb.54:                               ;   in Loop: Header=BB55_3 Depth=1
	v_rcp_iflag_f32_e32 v2, v20
	s_sub_i32 s53, 0, s34
	v_mul_f32_e32 v2, 0x4f7ffffe, v2
	v_cvt_u32_f32_e32 v2, v2
	v_mul_lo_u32 v5, s53, v2
	v_mul_hi_u32 v5, v2, v5
	v_add_nc_u32_e32 v2, v2, v5
	v_mul_hi_u32 v2, v19, v2
	v_mul_lo_u32 v5, v2, s34
	v_add_nc_u32_e32 v6, 1, v2
	v_sub_nc_u32_e32 v5, v19, v5
	v_subrev_nc_u32_e32 v7, s34, v5
	v_cmp_le_u32_e32 vcc_lo, s34, v5
	v_cndmask_b32_e32 v5, v5, v7, vcc_lo
	v_cndmask_b32_e32 v2, v2, v6, vcc_lo
	v_cmp_le_u32_e32 vcc_lo, s34, v5
	v_add_nc_u32_e32 v6, 1, v2
	v_cndmask_b32_e32 v5, v2, v6, vcc_lo
	v_mov_b32_e32 v6, v1
.LBB55_55:                              ;   in Loop: Header=BB55_3 Depth=1
	s_or_b32 exec_lo, exec_lo, s0
	v_mul_lo_u32 v2, v6, s34
	v_mul_lo_u32 v11, v5, s35
	v_mad_u64_u32 v[7:8], null, v5, s34, 0
	s_mov_b32 s0, exec_lo
	v_add3_u32 v2, v8, v11, v2
	v_mul_lo_u32 v11, v6, s16
	v_sub_co_u32 v6, vcc_lo, v9, v7
	v_mul_lo_u32 v9, v5, s17
	v_sub_co_ci_u32_e64 v2, null, v10, v2, vcc_lo
	v_add_co_u32 v7, vcc_lo, v3, v6
	v_mad_u64_u32 v[5:6], null, v5, s16, 0
	v_add_co_ci_u32_e64 v2, null, v4, v2, vcc_lo
	v_mul_lo_u32 v10, v7, s19
	v_mad_u64_u32 v[7:8], null, v7, s18, 0
	v_mul_lo_u32 v2, v2, s18
	v_add3_u32 v6, v6, v9, v11
	v_mul_f32_e32 v9, v14, v17
	v_lshlrev_b64 v[5:6], 2, v[5:6]
	v_add3_u32 v8, v8, v10, v2
	v_or_b32_e32 v2, s43, v4
	v_add_co_u32 v5, vcc_lo, s30, v5
	v_lshlrev_b64 v[7:8], 2, v[7:8]
	v_add_co_ci_u32_e64 v6, null, s31, v6, vcc_lo
	v_add_co_u32 v5, vcc_lo, v5, v7
	v_add_co_ci_u32_e64 v6, null, v6, v8, vcc_lo
	global_store_dword v[5:6], v9, off
                                        ; implicit-def: $vgpr5_vgpr6
	v_cmpx_ne_u64_e32 0, v[1:2]
	s_xor_b32 s53, exec_lo, s0
	s_cbranch_execz .LBB55_57
; %bb.56:                               ;   in Loop: Header=BB55_3 Depth=1
	s_ashr_i32 s54, s43, 31
	v_add_co_u32 v6, vcc_lo, v3, v13
	s_add_u32 s56, s42, s54
	s_mov_b32 s55, s54
	s_addc_u32 s57, s43, s54
	v_add_co_ci_u32_e64 v7, null, v4, v13, vcc_lo
	s_xor_b64 s[56:57], s[56:57], s[54:55]
	v_cvt_f32_u32_e32 v2, s56
	v_cvt_f32_u32_e32 v5, s57
	s_sub_u32 s62, 0, s56
	s_subb_u32 s63, 0, s57
	v_xor_b32_e32 v11, v7, v13
	v_fmac_f32_e32 v2, 0x4f800000, v5
	v_rcp_f32_e32 v2, v2
	v_mul_f32_e32 v2, 0x5f7ffffc, v2
	v_mul_f32_e32 v5, 0x2f800000, v2
	v_trunc_f32_e32 v5, v5
	v_fmac_f32_e32 v2, 0xcf800000, v5
	v_cvt_u32_f32_e32 v5, v5
	v_cvt_u32_f32_e32 v2, v2
	v_readfirstlane_b32 s0, v5
	v_readfirstlane_b32 s55, v2
	s_mul_i32 s64, s62, s0
	v_xor_b32_e32 v2, v6, v13
	s_mul_hi_u32 s66, s62, s55
	s_mul_i32 s65, s63, s55
	s_add_i32 s64, s66, s64
	s_mul_i32 s67, s62, s55
	s_add_i32 s64, s64, s65
	s_mul_hi_u32 s66, s55, s67
	s_mul_i32 s69, s55, s64
	s_mul_hi_u32 s68, s0, s67
	s_mul_i32 s65, s0, s67
	s_mul_hi_u32 s67, s55, s64
	s_add_u32 s66, s66, s69
	s_addc_u32 s67, 0, s67
	s_mul_hi_u32 s70, s0, s64
	s_add_u32 s65, s66, s65
	s_mul_i32 s64, s0, s64
	s_addc_u32 s65, s67, s68
	s_addc_u32 s66, s70, 0
	s_add_u32 s64, s65, s64
	s_addc_u32 s65, 0, s66
	s_add_u32 s55, s55, s64
	s_cselect_b32 s64, -1, 0
	s_mul_hi_u32 s66, s62, s55
	s_cmp_lg_u32 s64, 0
	s_mul_i32 s64, s62, s55
	s_addc_u32 s0, s0, s65
	s_mul_i32 s63, s63, s55
	s_mul_i32 s62, s62, s0
	s_mul_hi_u32 s65, s55, s64
	s_add_i32 s62, s66, s62
	s_mul_hi_u32 s66, s0, s64
	s_add_i32 s62, s62, s63
	s_mul_i32 s63, s0, s64
	s_mul_i32 s68, s55, s62
	s_mul_hi_u32 s67, s55, s62
	s_add_u32 s65, s65, s68
	s_addc_u32 s67, 0, s67
	s_mul_hi_u32 s64, s0, s62
	s_add_u32 s63, s65, s63
	s_mul_i32 s62, s0, s62
	s_addc_u32 s63, s67, s66
	s_addc_u32 s64, s64, 0
	s_add_u32 s62, s63, s62
	s_addc_u32 s63, 0, s64
	s_add_u32 s55, s55, s62
	s_cselect_b32 s62, -1, 0
	v_mul_hi_u32 v12, v2, s55
	s_cmp_lg_u32 s62, 0
	v_mad_u64_u32 v[7:8], null, v11, s55, 0
	s_addc_u32 s0, s0, s63
	v_mad_u64_u32 v[5:6], null, v2, s0, 0
	v_mad_u64_u32 v[9:10], null, v11, s0, 0
	v_add_co_u32 v5, vcc_lo, v12, v5
	v_add_co_ci_u32_e64 v6, null, 0, v6, vcc_lo
	v_add_co_u32 v5, vcc_lo, v5, v7
	v_add_co_ci_u32_e32 v5, vcc_lo, v6, v8, vcc_lo
	v_add_co_ci_u32_e32 v6, vcc_lo, 0, v10, vcc_lo
	v_add_co_u32 v7, vcc_lo, v5, v9
	v_add_co_ci_u32_e64 v8, null, 0, v6, vcc_lo
	v_mul_lo_u32 v9, s57, v7
	v_mad_u64_u32 v[5:6], null, s56, v7, 0
	v_mul_lo_u32 v10, s56, v8
	v_sub_co_u32 v2, vcc_lo, v2, v5
	v_add3_u32 v6, v6, v10, v9
	v_sub_nc_u32_e32 v9, v11, v6
	v_sub_co_ci_u32_e64 v6, null, v11, v6, vcc_lo
	v_subrev_co_ci_u32_e64 v5, null, s57, v9, vcc_lo
	v_add_co_u32 v9, s0, v7, 2
	v_add_co_ci_u32_e64 v10, null, 0, v8, s0
	v_sub_co_u32 v12, s0, v2, s56
	v_subrev_co_ci_u32_e64 v5, null, 0, v5, s0
	v_cmp_le_u32_e32 vcc_lo, s56, v12
	v_cndmask_b32_e64 v11, 0, -1, vcc_lo
	v_cmp_le_u32_e32 vcc_lo, s57, v5
	v_cndmask_b32_e64 v12, 0, -1, vcc_lo
	;; [unrolled: 2-line block ×4, first 2 shown]
	v_cmp_eq_u32_e32 vcc_lo, s57, v5
	v_cndmask_b32_e32 v5, v12, v11, vcc_lo
	v_add_co_u32 v11, vcc_lo, v7, 1
	v_add_co_ci_u32_e64 v12, null, 0, v8, vcc_lo
	v_cmp_eq_u32_e32 vcc_lo, s57, v6
	v_xor_b32_e32 v6, s54, v13
	v_cndmask_b32_e32 v2, v14, v2, vcc_lo
	v_cmp_ne_u32_e32 vcc_lo, 0, v5
	v_cmp_ne_u32_e64 s0, 0, v2
	v_cndmask_b32_e32 v2, v11, v9, vcc_lo
	v_cndmask_b32_e32 v5, v12, v10, vcc_lo
	v_cndmask_b32_e64 v2, v7, v2, s0
	v_cndmask_b32_e64 v5, v8, v5, s0
	v_xor_b32_e32 v2, v2, v6
	v_xor_b32_e32 v7, v5, v6
	v_sub_co_u32 v5, vcc_lo, v2, v6
	v_sub_co_ci_u32_e64 v6, null, v7, v6, vcc_lo
.LBB55_57:                              ;   in Loop: Header=BB55_3 Depth=1
	s_andn2_saveexec_b32 s0, s53
	s_cbranch_execz .LBB55_2
; %bb.58:                               ;   in Loop: Header=BB55_3 Depth=1
	v_cvt_f32_u32_e32 v2, s42
	s_sub_i32 s53, 0, s42
	v_rcp_iflag_f32_e32 v2, v2
	v_mul_f32_e32 v2, 0x4f7ffffe, v2
	v_cvt_u32_f32_e32 v2, v2
	v_mul_lo_u32 v5, s53, v2
	v_mul_hi_u32 v5, v2, v5
	v_add_nc_u32_e32 v2, v2, v5
	v_mul_hi_u32 v2, v3, v2
	v_mul_lo_u32 v5, v2, s42
	v_add_nc_u32_e32 v6, 1, v2
	v_sub_nc_u32_e32 v5, v3, v5
	v_subrev_nc_u32_e32 v7, s42, v5
	v_cmp_le_u32_e32 vcc_lo, s42, v5
	v_cndmask_b32_e32 v5, v5, v7, vcc_lo
	v_cndmask_b32_e32 v2, v2, v6, vcc_lo
	v_cmp_le_u32_e32 vcc_lo, s42, v5
	v_add_nc_u32_e32 v6, 1, v2
	v_cndmask_b32_e32 v5, v2, v6, vcc_lo
	v_mov_b32_e32 v6, v1
	s_branch .LBB55_2
.LBB55_59:
	s_endpgm
	.section	.rodata,"a",@progbits
	.p2align	6, 0x0
	.amdhsa_kernel _ZN2at6native12_GLOBAL__N_16kernel17gru_cell_backwardIfflLi2EEEvNS_4cuda6detail10TensorInfoIT_T1_EES9_S9_S9_S9_S8_S8_
		.amdhsa_group_segment_fixed_size 0
		.amdhsa_private_segment_fixed_size 0
		.amdhsa_kernarg_size 2352
		.amdhsa_user_sgpr_count 6
		.amdhsa_user_sgpr_private_segment_buffer 1
		.amdhsa_user_sgpr_dispatch_ptr 0
		.amdhsa_user_sgpr_queue_ptr 0
		.amdhsa_user_sgpr_kernarg_segment_ptr 1
		.amdhsa_user_sgpr_dispatch_id 0
		.amdhsa_user_sgpr_flat_scratch_init 0
		.amdhsa_user_sgpr_private_segment_size 0
		.amdhsa_wavefront_size32 1
		.amdhsa_uses_dynamic_stack 0
		.amdhsa_system_sgpr_private_segment_wavefront_offset 0
		.amdhsa_system_sgpr_workgroup_id_x 1
		.amdhsa_system_sgpr_workgroup_id_y 0
		.amdhsa_system_sgpr_workgroup_id_z 0
		.amdhsa_system_sgpr_workgroup_info 0
		.amdhsa_system_vgpr_workitem_id 0
		.amdhsa_next_free_vgpr 36
		.amdhsa_next_free_sgpr 71
		.amdhsa_reserve_vcc 1
		.amdhsa_reserve_flat_scratch 0
		.amdhsa_float_round_mode_32 0
		.amdhsa_float_round_mode_16_64 0
		.amdhsa_float_denorm_mode_32 3
		.amdhsa_float_denorm_mode_16_64 3
		.amdhsa_dx10_clamp 1
		.amdhsa_ieee_mode 1
		.amdhsa_fp16_overflow 0
		.amdhsa_workgroup_processor_mode 1
		.amdhsa_memory_ordered 1
		.amdhsa_forward_progress 1
		.amdhsa_shared_vgpr_count 0
		.amdhsa_exception_fp_ieee_invalid_op 0
		.amdhsa_exception_fp_denorm_src 0
		.amdhsa_exception_fp_ieee_div_zero 0
		.amdhsa_exception_fp_ieee_overflow 0
		.amdhsa_exception_fp_ieee_underflow 0
		.amdhsa_exception_fp_ieee_inexact 0
		.amdhsa_exception_int_div_zero 0
	.end_amdhsa_kernel
	.section	.text._ZN2at6native12_GLOBAL__N_16kernel17gru_cell_backwardIfflLi2EEEvNS_4cuda6detail10TensorInfoIT_T1_EES9_S9_S9_S9_S8_S8_,"axG",@progbits,_ZN2at6native12_GLOBAL__N_16kernel17gru_cell_backwardIfflLi2EEEvNS_4cuda6detail10TensorInfoIT_T1_EES9_S9_S9_S9_S8_S8_,comdat
.Lfunc_end55:
	.size	_ZN2at6native12_GLOBAL__N_16kernel17gru_cell_backwardIfflLi2EEEvNS_4cuda6detail10TensorInfoIT_T1_EES9_S9_S9_S9_S8_S8_, .Lfunc_end55-_ZN2at6native12_GLOBAL__N_16kernel17gru_cell_backwardIfflLi2EEEvNS_4cuda6detail10TensorInfoIT_T1_EES9_S9_S9_S9_S8_S8_
                                        ; -- End function
	.set _ZN2at6native12_GLOBAL__N_16kernel17gru_cell_backwardIfflLi2EEEvNS_4cuda6detail10TensorInfoIT_T1_EES9_S9_S9_S9_S8_S8_.num_vgpr, 36
	.set _ZN2at6native12_GLOBAL__N_16kernel17gru_cell_backwardIfflLi2EEEvNS_4cuda6detail10TensorInfoIT_T1_EES9_S9_S9_S9_S8_S8_.num_agpr, 0
	.set _ZN2at6native12_GLOBAL__N_16kernel17gru_cell_backwardIfflLi2EEEvNS_4cuda6detail10TensorInfoIT_T1_EES9_S9_S9_S9_S8_S8_.numbered_sgpr, 71
	.set _ZN2at6native12_GLOBAL__N_16kernel17gru_cell_backwardIfflLi2EEEvNS_4cuda6detail10TensorInfoIT_T1_EES9_S9_S9_S9_S8_S8_.num_named_barrier, 0
	.set _ZN2at6native12_GLOBAL__N_16kernel17gru_cell_backwardIfflLi2EEEvNS_4cuda6detail10TensorInfoIT_T1_EES9_S9_S9_S9_S8_S8_.private_seg_size, 0
	.set _ZN2at6native12_GLOBAL__N_16kernel17gru_cell_backwardIfflLi2EEEvNS_4cuda6detail10TensorInfoIT_T1_EES9_S9_S9_S9_S8_S8_.uses_vcc, 1
	.set _ZN2at6native12_GLOBAL__N_16kernel17gru_cell_backwardIfflLi2EEEvNS_4cuda6detail10TensorInfoIT_T1_EES9_S9_S9_S9_S8_S8_.uses_flat_scratch, 0
	.set _ZN2at6native12_GLOBAL__N_16kernel17gru_cell_backwardIfflLi2EEEvNS_4cuda6detail10TensorInfoIT_T1_EES9_S9_S9_S9_S8_S8_.has_dyn_sized_stack, 0
	.set _ZN2at6native12_GLOBAL__N_16kernel17gru_cell_backwardIfflLi2EEEvNS_4cuda6detail10TensorInfoIT_T1_EES9_S9_S9_S9_S8_S8_.has_recursion, 0
	.set _ZN2at6native12_GLOBAL__N_16kernel17gru_cell_backwardIfflLi2EEEvNS_4cuda6detail10TensorInfoIT_T1_EES9_S9_S9_S9_S8_S8_.has_indirect_call, 0
	.section	.AMDGPU.csdata,"",@progbits
; Kernel info:
; codeLenInByte = 13772
; TotalNumSgprs: 73
; NumVgprs: 36
; ScratchSize: 0
; MemoryBound: 0
; FloatMode: 240
; IeeeMode: 1
; LDSByteSize: 0 bytes/workgroup (compile time only)
; SGPRBlocks: 0
; VGPRBlocks: 4
; NumSGPRsForWavesPerEU: 73
; NumVGPRsForWavesPerEU: 36
; Occupancy: 16
; WaveLimiterHint : 1
; COMPUTE_PGM_RSRC2:SCRATCH_EN: 0
; COMPUTE_PGM_RSRC2:USER_SGPR: 6
; COMPUTE_PGM_RSRC2:TRAP_HANDLER: 0
; COMPUTE_PGM_RSRC2:TGID_X_EN: 1
; COMPUTE_PGM_RSRC2:TGID_Y_EN: 0
; COMPUTE_PGM_RSRC2:TGID_Z_EN: 0
; COMPUTE_PGM_RSRC2:TIDIG_COMP_CNT: 0
	.section	.text._ZN2at6native12_GLOBAL__N_16kernel17gru_cell_backwardIN3c104HalfEfiLi1EEEvNS_4cuda6detail10TensorInfoIT_T1_EESB_SB_SB_SB_SA_SA_,"axG",@progbits,_ZN2at6native12_GLOBAL__N_16kernel17gru_cell_backwardIN3c104HalfEfiLi1EEEvNS_4cuda6detail10TensorInfoIT_T1_EESB_SB_SB_SB_SA_SA_,comdat
	.globl	_ZN2at6native12_GLOBAL__N_16kernel17gru_cell_backwardIN3c104HalfEfiLi1EEEvNS_4cuda6detail10TensorInfoIT_T1_EESB_SB_SB_SB_SA_SA_ ; -- Begin function _ZN2at6native12_GLOBAL__N_16kernel17gru_cell_backwardIN3c104HalfEfiLi1EEEvNS_4cuda6detail10TensorInfoIT_T1_EESB_SB_SB_SB_SA_SA_
	.p2align	8
	.type	_ZN2at6native12_GLOBAL__N_16kernel17gru_cell_backwardIN3c104HalfEfiLi1EEEvNS_4cuda6detail10TensorInfoIT_T1_EESB_SB_SB_SB_SA_SA_,@function
_ZN2at6native12_GLOBAL__N_16kernel17gru_cell_backwardIN3c104HalfEfiLi1EEEvNS_4cuda6detail10TensorInfoIT_T1_EESB_SB_SB_SB_SA_SA_: ; @_ZN2at6native12_GLOBAL__N_16kernel17gru_cell_backwardIN3c104HalfEfiLi1EEEvNS_4cuda6detail10TensorInfoIT_T1_EESB_SB_SB_SB_SA_SA_
; %bb.0:
	s_clause 0x1
	s_load_dword s2, s[4:5], 0x44c
	s_load_dwordx2 s[0:1], s[4:5], 0x438
	s_add_u32 s8, s4, 0x440
	s_addc_u32 s9, s5, 0
	s_waitcnt lgkmcnt(0)
	s_and_b32 s19, s2, 0xffff
	s_mov_b32 s2, exec_lo
	v_mad_u64_u32 v[0:1], null, s6, s19, v[0:1]
	v_cmpx_gt_i32_e64 s1, v0
	s_cbranch_execz .LBB56_3
; %bb.1:
	s_abs_i32 s14, s0
	s_clause 0x3
	s_load_dwordx2 s[2:3], s[4:5], 0x1b0
	s_load_dword s21, s[4:5], 0x21c
	s_load_dwordx2 s[6:7], s[4:5], 0x288
	s_load_dword s22, s[4:5], 0x2f4
	s_load_dword s20, s[8:9], 0x0
	v_cvt_f32_u32_e32 v1, s14
	s_sub_i32 s12, 0, s14
	s_clause 0x3
	s_load_dwordx2 s[8:9], s[4:5], 0x0
	s_load_dword s15, s[4:5], 0x6c
	s_load_dwordx2 s[10:11], s[4:5], 0xd8
	s_load_dword s16, s[4:5], 0x144
	s_mov_b32 s17, 0
	s_lshl_b32 s18, s0, 2
	v_rcp_iflag_f32_e32 v1, v1
	s_mov_b32 s23, 1.0
	v_mul_f32_e32 v1, 0x4f7ffffe, v1
	s_waitcnt lgkmcnt(0)
	v_mul_lo_u32 v3, v0, s22
	s_mul_i32 s19, s20, s19
	v_cvt_u32_f32_e32 v2, v1
	s_lshl_b32 s20, s0, 1
	s_mul_i32 s22, s19, s22
	v_mul_lo_u32 v1, s12, v2
	s_clause 0x1
	s_load_dwordx2 s[12:13], s[4:5], 0x360
	s_load_dword s4, s[4:5], 0x3cc
	s_ashr_i32 s5, s0, 31
	v_mul_hi_u32 v4, v2, v1
	v_mul_lo_u32 v1, v0, s21
	s_mul_i32 s21, s19, s21
	v_add_nc_u32_e32 v5, v2, v4
.LBB56_2:                               ; =>This Inner Loop Header: Depth=1
	v_sub_nc_u32_e32 v4, 0, v0
	v_ashrrev_i32_e32 v6, 31, v0
	v_ashrrev_i32_e32 v2, 31, v1
	v_max_i32_e32 v4, v0, v4
	v_xor_b32_e32 v16, s5, v6
	v_lshlrev_b64 v[6:7], 1, v[1:2]
	v_mul_hi_u32 v2, v4, v5
	v_lshlrev_b32_e32 v8, 2, v16
	v_add_co_u32 v6, vcc_lo, s2, v6
	v_add_co_ci_u32_e64 v7, null, s3, v7, vcc_lo
	global_load_ushort v21, v[6:7], off
	v_mul_lo_u32 v6, v2, s14
	v_add_nc_u32_e32 v7, 1, v2
	v_sub_nc_u32_e32 v4, v4, v6
	v_subrev_nc_u32_e32 v6, s14, v4
	v_cmp_le_u32_e32 vcc_lo, s14, v4
	v_cndmask_b32_e32 v2, v2, v7, vcc_lo
	v_cndmask_b32_e32 v4, v4, v6, vcc_lo
	v_add_nc_u32_e32 v6, 1, v2
	v_cmp_le_u32_e32 vcc_lo, s14, v4
	v_cndmask_b32_e32 v2, v2, v6, vcc_lo
	v_xor_b32_e32 v2, v2, v16
	v_lshlrev_b32_e32 v4, 2, v2
	v_sub_nc_u32_e32 v17, v2, v16
	v_lshlrev_b32_e32 v2, 1, v2
	v_sub_nc_u32_e32 v4, v4, v8
	v_mad_u64_u32 v[6:7], null, s18, v17, v[0:1]
	v_or_b32_e32 v7, 1, v4
	v_or_b32_e32 v10, 2, v4
	;; [unrolled: 1-line block ×3, first 2 shown]
	v_add_nc_u32_e32 v4, 4, v4
	s_waitcnt lgkmcnt(0)
	v_mul_lo_u32 v6, v6, s4
	v_mad_u64_u32 v[8:9], null, s0, v7, v[0:1]
	v_mad_u64_u32 v[9:10], null, s0, v10, v[0:1]
	;; [unrolled: 1-line block ×4, first 2 shown]
	v_mul_lo_u32 v8, v8, s4
	v_ashrrev_i32_e32 v7, 31, v6
	v_mul_lo_u32 v12, v9, s4
	v_ashrrev_i32_e32 v4, 31, v3
	v_mul_lo_u32 v10, v10, s4
	v_add_nc_u32_e32 v1, s21, v1
	v_lshlrev_b64 v[6:7], 1, v[6:7]
	v_mul_lo_u32 v14, v11, s4
	v_ashrrev_i32_e32 v9, 31, v8
	v_ashrrev_i32_e32 v13, 31, v12
	;; [unrolled: 1-line block ×3, first 2 shown]
	v_add_co_u32 v6, vcc_lo, s12, v6
	v_lshlrev_b64 v[8:9], 1, v[8:9]
	v_add_co_ci_u32_e64 v7, null, s13, v7, vcc_lo
	v_ashrrev_i32_e32 v15, 31, v14
	v_lshlrev_b64 v[12:13], 1, v[12:13]
	v_lshlrev_b64 v[10:11], 1, v[10:11]
	global_load_ushort v22, v[6:7], off
	v_add_co_u32 v6, vcc_lo, s12, v8
	v_lshlrev_b64 v[14:15], 1, v[14:15]
	v_add_co_ci_u32_e64 v7, null, s13, v9, vcc_lo
	v_add_co_u32 v8, vcc_lo, s12, v12
	v_add_co_ci_u32_e64 v9, null, s13, v13, vcc_lo
	v_add_co_u32 v10, vcc_lo, s12, v10
	;; [unrolled: 2-line block ×3, first 2 shown]
	v_add_co_ci_u32_e64 v13, null, s13, v15, vcc_lo
	s_clause 0x3
	global_load_ushort v23, v[10:11], off
	global_load_ushort v24, v[6:7], off
	;; [unrolled: 1-line block ×4, first 2 shown]
	v_lshlrev_b64 v[6:7], 1, v[3:4]
	v_lshlrev_b32_e32 v4, 1, v16
	v_mad_u64_u32 v[8:9], null, s20, v17, v[0:1]
	v_add_nc_u32_e32 v3, s22, v3
	v_sub_nc_u32_e32 v2, v2, v4
	v_add_co_u32 v6, vcc_lo, s6, v6
	v_add_co_ci_u32_e64 v7, null, s7, v7, vcc_lo
	v_or_b32_e32 v4, 1, v2
	v_add_nc_u32_e32 v2, 2, v2
	v_mul_lo_u32 v9, v8, s15
	v_mul_lo_u32 v11, v8, s16
	v_mad_u64_u32 v[13:14], null, s0, v4, v[0:1]
	v_mad_u64_u32 v[14:15], null, s0, v2, v[0:1]
	v_add_nc_u32_e32 v0, s19, v0
	v_ashrrev_i32_e32 v10, 31, v9
	v_ashrrev_i32_e32 v12, 31, v11
	v_mul_lo_u32 v8, v13, s15
	v_mul_lo_u32 v13, v13, s16
	;; [unrolled: 1-line block ×4, first 2 shown]
	v_lshlrev_b64 v[19:20], 1, v[9:10]
	v_cmp_le_i32_e32 vcc_lo, s1, v0
	v_lshlrev_b64 v[10:11], 1, v[11:12]
	v_ashrrev_i32_e32 v9, 31, v8
	v_ashrrev_i32_e32 v14, 31, v13
	;; [unrolled: 1-line block ×4, first 2 shown]
	s_or_b32 s17, vcc_lo, s17
	v_lshlrev_b64 v[8:9], 1, v[8:9]
	v_add_co_u32 v19, vcc_lo, s8, v19
	v_lshlrev_b64 v[15:16], 1, v[15:16]
	v_add_co_ci_u32_e64 v20, null, s9, v20, vcc_lo
	v_add_co_u32 v10, vcc_lo, s10, v10
	v_lshlrev_b64 v[12:13], 1, v[13:14]
	v_add_co_ci_u32_e64 v11, null, s11, v11, vcc_lo
	v_lshlrev_b64 v[17:18], 1, v[17:18]
	v_add_co_u32 v8, vcc_lo, s8, v8
	v_add_co_ci_u32_e64 v9, null, s9, v9, vcc_lo
	v_add_co_u32 v14, vcc_lo, s8, v15
	v_add_co_ci_u32_e64 v15, null, s9, v16, vcc_lo
	;; [unrolled: 2-line block ×4, first 2 shown]
	s_waitcnt vmcnt(5)
	v_cvt_f32_f16_e32 v2, v21
	s_waitcnt vmcnt(4)
	v_cvt_f32_f16_e32 v4, v22
	v_sub_f32_e32 v4, 1.0, v4
	s_waitcnt vmcnt(3)
	v_cvt_f32_f16_e32 v18, v23
	s_waitcnt vmcnt(2)
	v_cvt_f32_f16_e32 v23, v24
	;; [unrolled: 2-line block ×3, first 2 shown]
	v_fma_mix_f32 v25, -v25, v25, s23 op_sel_hi:[1,1,0]
	s_waitcnt vmcnt(0)
	v_cvt_f32_f16_e32 v26, v26
	v_mul_f16_e32 v21, v24, v21
	v_sub_f32_e32 v23, 1.0, v23
	v_sub_f32_e32 v18, v18, v27
	v_mul_f32_e32 v27, v23, v2
	v_mul_f32_e32 v2, v18, v2
	;; [unrolled: 1-line block ×4, first 2 shown]
	v_fma_mixlo_f16 v23, v25, v27, 0
	v_mul_f32_e32 v25, v18, v26
	v_fma_mixlo_f16 v2, v2, v24, 0 op_sel_hi:[0,1,0]
	v_fma_mixlo_f16 v18, v18, v22, 0 op_sel_hi:[0,1,0]
	v_mul_f32_e32 v4, v4, v25
	v_fma_mixlo_f16 v4, v4, v22, 0 op_sel_hi:[0,1,0]
	global_store_short v[19:20], v4, off
	global_store_short v[8:9], v2, off
	;; [unrolled: 1-line block ×7, first 2 shown]
	s_andn2_b32 exec_lo, exec_lo, s17
	s_cbranch_execnz .LBB56_2
.LBB56_3:
	s_endpgm
	.section	.rodata,"a",@progbits
	.p2align	6, 0x0
	.amdhsa_kernel _ZN2at6native12_GLOBAL__N_16kernel17gru_cell_backwardIN3c104HalfEfiLi1EEEvNS_4cuda6detail10TensorInfoIT_T1_EESB_SB_SB_SB_SA_SA_
		.amdhsa_group_segment_fixed_size 0
		.amdhsa_private_segment_fixed_size 0
		.amdhsa_kernarg_size 1344
		.amdhsa_user_sgpr_count 6
		.amdhsa_user_sgpr_private_segment_buffer 1
		.amdhsa_user_sgpr_dispatch_ptr 0
		.amdhsa_user_sgpr_queue_ptr 0
		.amdhsa_user_sgpr_kernarg_segment_ptr 1
		.amdhsa_user_sgpr_dispatch_id 0
		.amdhsa_user_sgpr_flat_scratch_init 0
		.amdhsa_user_sgpr_private_segment_size 0
		.amdhsa_wavefront_size32 1
		.amdhsa_uses_dynamic_stack 0
		.amdhsa_system_sgpr_private_segment_wavefront_offset 0
		.amdhsa_system_sgpr_workgroup_id_x 1
		.amdhsa_system_sgpr_workgroup_id_y 0
		.amdhsa_system_sgpr_workgroup_id_z 0
		.amdhsa_system_sgpr_workgroup_info 0
		.amdhsa_system_vgpr_workitem_id 0
		.amdhsa_next_free_vgpr 28
		.amdhsa_next_free_sgpr 24
		.amdhsa_reserve_vcc 1
		.amdhsa_reserve_flat_scratch 0
		.amdhsa_float_round_mode_32 0
		.amdhsa_float_round_mode_16_64 0
		.amdhsa_float_denorm_mode_32 3
		.amdhsa_float_denorm_mode_16_64 3
		.amdhsa_dx10_clamp 1
		.amdhsa_ieee_mode 1
		.amdhsa_fp16_overflow 0
		.amdhsa_workgroup_processor_mode 1
		.amdhsa_memory_ordered 1
		.amdhsa_forward_progress 1
		.amdhsa_shared_vgpr_count 0
		.amdhsa_exception_fp_ieee_invalid_op 0
		.amdhsa_exception_fp_denorm_src 0
		.amdhsa_exception_fp_ieee_div_zero 0
		.amdhsa_exception_fp_ieee_overflow 0
		.amdhsa_exception_fp_ieee_underflow 0
		.amdhsa_exception_fp_ieee_inexact 0
		.amdhsa_exception_int_div_zero 0
	.end_amdhsa_kernel
	.section	.text._ZN2at6native12_GLOBAL__N_16kernel17gru_cell_backwardIN3c104HalfEfiLi1EEEvNS_4cuda6detail10TensorInfoIT_T1_EESB_SB_SB_SB_SA_SA_,"axG",@progbits,_ZN2at6native12_GLOBAL__N_16kernel17gru_cell_backwardIN3c104HalfEfiLi1EEEvNS_4cuda6detail10TensorInfoIT_T1_EESB_SB_SB_SB_SA_SA_,comdat
.Lfunc_end56:
	.size	_ZN2at6native12_GLOBAL__N_16kernel17gru_cell_backwardIN3c104HalfEfiLi1EEEvNS_4cuda6detail10TensorInfoIT_T1_EESB_SB_SB_SB_SA_SA_, .Lfunc_end56-_ZN2at6native12_GLOBAL__N_16kernel17gru_cell_backwardIN3c104HalfEfiLi1EEEvNS_4cuda6detail10TensorInfoIT_T1_EESB_SB_SB_SB_SA_SA_
                                        ; -- End function
	.set _ZN2at6native12_GLOBAL__N_16kernel17gru_cell_backwardIN3c104HalfEfiLi1EEEvNS_4cuda6detail10TensorInfoIT_T1_EESB_SB_SB_SB_SA_SA_.num_vgpr, 28
	.set _ZN2at6native12_GLOBAL__N_16kernel17gru_cell_backwardIN3c104HalfEfiLi1EEEvNS_4cuda6detail10TensorInfoIT_T1_EESB_SB_SB_SB_SA_SA_.num_agpr, 0
	.set _ZN2at6native12_GLOBAL__N_16kernel17gru_cell_backwardIN3c104HalfEfiLi1EEEvNS_4cuda6detail10TensorInfoIT_T1_EESB_SB_SB_SB_SA_SA_.numbered_sgpr, 24
	.set _ZN2at6native12_GLOBAL__N_16kernel17gru_cell_backwardIN3c104HalfEfiLi1EEEvNS_4cuda6detail10TensorInfoIT_T1_EESB_SB_SB_SB_SA_SA_.num_named_barrier, 0
	.set _ZN2at6native12_GLOBAL__N_16kernel17gru_cell_backwardIN3c104HalfEfiLi1EEEvNS_4cuda6detail10TensorInfoIT_T1_EESB_SB_SB_SB_SA_SA_.private_seg_size, 0
	.set _ZN2at6native12_GLOBAL__N_16kernel17gru_cell_backwardIN3c104HalfEfiLi1EEEvNS_4cuda6detail10TensorInfoIT_T1_EESB_SB_SB_SB_SA_SA_.uses_vcc, 1
	.set _ZN2at6native12_GLOBAL__N_16kernel17gru_cell_backwardIN3c104HalfEfiLi1EEEvNS_4cuda6detail10TensorInfoIT_T1_EESB_SB_SB_SB_SA_SA_.uses_flat_scratch, 0
	.set _ZN2at6native12_GLOBAL__N_16kernel17gru_cell_backwardIN3c104HalfEfiLi1EEEvNS_4cuda6detail10TensorInfoIT_T1_EESB_SB_SB_SB_SA_SA_.has_dyn_sized_stack, 0
	.set _ZN2at6native12_GLOBAL__N_16kernel17gru_cell_backwardIN3c104HalfEfiLi1EEEvNS_4cuda6detail10TensorInfoIT_T1_EESB_SB_SB_SB_SA_SA_.has_recursion, 0
	.set _ZN2at6native12_GLOBAL__N_16kernel17gru_cell_backwardIN3c104HalfEfiLi1EEEvNS_4cuda6detail10TensorInfoIT_T1_EESB_SB_SB_SB_SA_SA_.has_indirect_call, 0
	.section	.AMDGPU.csdata,"",@progbits
; Kernel info:
; codeLenInByte = 1180
; TotalNumSgprs: 26
; NumVgprs: 28
; ScratchSize: 0
; MemoryBound: 0
; FloatMode: 240
; IeeeMode: 1
; LDSByteSize: 0 bytes/workgroup (compile time only)
; SGPRBlocks: 0
; VGPRBlocks: 3
; NumSGPRsForWavesPerEU: 26
; NumVGPRsForWavesPerEU: 28
; Occupancy: 16
; WaveLimiterHint : 1
; COMPUTE_PGM_RSRC2:SCRATCH_EN: 0
; COMPUTE_PGM_RSRC2:USER_SGPR: 6
; COMPUTE_PGM_RSRC2:TRAP_HANDLER: 0
; COMPUTE_PGM_RSRC2:TGID_X_EN: 1
; COMPUTE_PGM_RSRC2:TGID_Y_EN: 0
; COMPUTE_PGM_RSRC2:TGID_Z_EN: 0
; COMPUTE_PGM_RSRC2:TIDIG_COMP_CNT: 0
	.section	.text._ZN2at6native12_GLOBAL__N_16kernel17gru_cell_backwardIN3c104HalfEfiLi2EEEvNS_4cuda6detail10TensorInfoIT_T1_EESB_SB_SB_SB_SA_SA_,"axG",@progbits,_ZN2at6native12_GLOBAL__N_16kernel17gru_cell_backwardIN3c104HalfEfiLi2EEEvNS_4cuda6detail10TensorInfoIT_T1_EESB_SB_SB_SB_SA_SA_,comdat
	.globl	_ZN2at6native12_GLOBAL__N_16kernel17gru_cell_backwardIN3c104HalfEfiLi2EEEvNS_4cuda6detail10TensorInfoIT_T1_EESB_SB_SB_SB_SA_SA_ ; -- Begin function _ZN2at6native12_GLOBAL__N_16kernel17gru_cell_backwardIN3c104HalfEfiLi2EEEvNS_4cuda6detail10TensorInfoIT_T1_EESB_SB_SB_SB_SA_SA_
	.p2align	8
	.type	_ZN2at6native12_GLOBAL__N_16kernel17gru_cell_backwardIN3c104HalfEfiLi2EEEvNS_4cuda6detail10TensorInfoIT_T1_EESB_SB_SB_SB_SA_SA_,@function
_ZN2at6native12_GLOBAL__N_16kernel17gru_cell_backwardIN3c104HalfEfiLi2EEEvNS_4cuda6detail10TensorInfoIT_T1_EESB_SB_SB_SB_SA_SA_: ; @_ZN2at6native12_GLOBAL__N_16kernel17gru_cell_backwardIN3c104HalfEfiLi2EEEvNS_4cuda6detail10TensorInfoIT_T1_EESB_SB_SB_SB_SA_SA_
; %bb.0:
	s_clause 0x1
	s_load_dword s2, s[4:5], 0x44c
	s_load_dwordx2 s[8:9], s[4:5], 0x438
	s_add_u32 s0, s4, 0x440
	s_addc_u32 s1, s5, 0
	s_mov_b32 s3, exec_lo
	s_waitcnt lgkmcnt(0)
	s_and_b32 s2, s2, 0xffff
	v_mad_u64_u32 v[0:1], null, s6, s2, v[0:1]
	v_cmpx_gt_i32_e64 s9, v0
	s_cbranch_execz .LBB57_3
; %bb.1:
	s_clause 0x2
	s_load_dword s3, s[4:5], 0x36c
	s_load_dword s26, s[4:5], 0xc
	;; [unrolled: 1-line block ×4, first 2 shown]
	s_clause 0x3
	s_load_dword s28, s[4:5], 0xe4
	s_load_dwordx2 s[6:7], s[4:5], 0x144
	s_load_dwordx2 s[10:11], s[4:5], 0x1b0
	s_load_dword s0, s[4:5], 0x294
	s_abs_i32 s27, s8
	s_clause 0x7
	s_load_dwordx2 s[12:13], s[4:5], 0x0
	s_load_dwordx2 s[14:15], s[4:5], 0x6c
	;; [unrolled: 1-line block ×8, first 2 shown]
	v_cvt_f32_u32_e32 v1, s27
	s_sub_i32 s1, 0, s27
	s_ashr_i32 s36, s8, 31
	s_mov_b32 s37, 0
	s_lshl_b32 s43, s8, 2
	v_rcp_iflag_f32_e32 v1, v1
	s_lshl_b32 s44, s8, 1
	s_mov_b32 s47, 1.0
	s_waitcnt lgkmcnt(0)
	s_abs_i32 s29, s3
	s_abs_i32 s33, s26
	v_cvt_f32_u32_e32 v2, s29
	s_abs_i32 s30, s45
	s_abs_i32 s34, s28
	v_cvt_f32_u32_e32 v3, s30
	v_cvt_f32_u32_e32 v4, s33
	v_rcp_iflag_f32_e32 v2, v2
	s_abs_i32 s35, s0
	v_cvt_f32_u32_e32 v5, s34
	v_cvt_f32_u32_e32 v7, s35
	v_rcp_iflag_f32_e32 v3, v3
	v_rcp_iflag_f32_e32 v4, v4
	v_mul_f32_e32 v1, 0x4f7ffffe, v1
	v_rcp_iflag_f32_e32 v5, v5
	v_rcp_iflag_f32_e32 v7, v7
	s_mul_i32 s31, s31, s2
	v_mul_f32_e32 v2, 0x4f7ffffe, v2
	v_cvt_u32_f32_e32 v1, v1
	s_sub_i32 s2, 0, s30
	s_ashr_i32 s38, s3, 31
	v_mul_f32_e32 v3, 0x4f7ffffe, v3
	v_cvt_u32_f32_e32 v2, v2
	v_mul_f32_e32 v4, 0x4f7ffffe, v4
	v_mul_lo_u32 v6, s1, v1
	s_sub_i32 s1, 0, s29
	v_mul_f32_e32 v5, 0x4f7ffffe, v5
	v_mul_f32_e32 v7, 0x4f7ffffe, v7
	v_mul_lo_u32 v8, s1, v2
	v_cvt_u32_f32_e32 v3, v3
	v_cvt_u32_f32_e32 v4, v4
	;; [unrolled: 1-line block ×4, first 2 shown]
	s_sub_i32 s1, 0, s33
	v_mul_lo_u32 v9, s2, v3
	s_sub_i32 s2, 0, s34
	v_mul_lo_u32 v10, s1, v4
	s_sub_i32 s1, 0, s35
	v_mul_hi_u32 v6, v1, v6
	v_mul_lo_u32 v11, s2, v5
	v_mul_hi_u32 v8, v2, v8
	v_mul_lo_u32 v12, s1, v7
	v_mul_hi_u32 v9, v3, v9
	s_ashr_i32 s39, s45, 31
	s_ashr_i32 s40, s26, 31
	;; [unrolled: 1-line block ×3, first 2 shown]
	v_add_nc_u32_e32 v1, v1, v6
	v_mul_hi_u32 v6, v4, v10
	v_mul_hi_u32 v10, v5, v11
	v_add_nc_u32_e32 v2, v2, v8
	v_mul_hi_u32 v8, v7, v12
	v_add_nc_u32_e32 v3, v3, v9
	s_ashr_i32 s42, s0, 31
	s_sub_i32 s45, 0, s45
	s_sub_i32 s46, 0, s0
	v_add_nc_u32_e32 v4, v4, v6
	v_add_nc_u32_e32 v5, v5, v10
	;; [unrolled: 1-line block ×3, first 2 shown]
.LBB57_2:                               ; =>This Inner Loop Header: Depth=1
	v_sub_nc_u32_e32 v7, 0, v0
	v_ashrrev_i32_e32 v8, 31, v0
	v_max_i32_e32 v7, v0, v7
	v_xor_b32_e32 v9, s36, v8
	v_xor_b32_e32 v10, s39, v8
	;; [unrolled: 1-line block ×3, first 2 shown]
	v_mul_hi_u32 v11, v7, v1
	v_mul_hi_u32 v12, v7, v3
	v_lshlrev_b32_e32 v13, 2, v9
	v_mul_lo_u32 v14, v11, s27
	v_mul_lo_u32 v15, v12, s30
	v_add_nc_u32_e32 v16, 1, v11
	v_add_nc_u32_e32 v17, 1, v12
	v_sub_nc_u32_e32 v14, v7, v14
	v_sub_nc_u32_e32 v15, v7, v15
	v_subrev_nc_u32_e32 v18, s27, v14
	v_cmp_le_u32_e32 vcc_lo, s27, v14
	v_cmp_le_u32_e64 s0, s30, v15
	v_cndmask_b32_e32 v11, v11, v16, vcc_lo
	v_subrev_nc_u32_e32 v16, s30, v15
	v_cndmask_b32_e32 v14, v14, v18, vcc_lo
	v_cndmask_b32_e64 v12, v12, v17, s0
	v_add_nc_u32_e32 v17, 1, v11
	v_cndmask_b32_e64 v15, v15, v16, s0
	v_cmp_le_u32_e32 vcc_lo, s27, v14
	v_add_nc_u32_e32 v16, 1, v12
	v_cndmask_b32_e32 v11, v11, v17, vcc_lo
	v_cmp_le_u32_e32 vcc_lo, s30, v15
	v_xor_b32_e32 v21, v11, v9
	v_cndmask_b32_e32 v12, v12, v16, vcc_lo
	v_sub_nc_u32_e32 v22, v21, v9
	v_xor_b32_e32 v11, v12, v10
	v_lshlrev_b32_e32 v12, 2, v21
	v_lshlrev_b32_e32 v9, 1, v9
	v_mul_lo_u32 v15, s43, v22
	v_sub_nc_u32_e32 v14, v11, v10
	v_sub_nc_u32_e32 v12, v12, v13
	v_mad_u64_u32 v[10:11], null, s45, v14, v[0:1]
	v_or_b32_e32 v11, 1, v12
	v_add_nc_u32_e32 v17, v0, v15
	v_or_b32_e32 v13, 2, v12
	v_or_b32_e32 v16, 3, v12
	v_add_nc_u32_e32 v12, 4, v12
	v_mul_lo_u32 v18, s8, v11
	v_mul_lo_u32 v10, v10, s19
	v_ashrrev_i32_e32 v17, 31, v17
	v_mul_lo_u32 v13, s8, v13
	v_mul_lo_u32 v16, s8, v16
	;; [unrolled: 1-line block ×3, first 2 shown]
	v_add_nc_u32_e32 v19, v0, v18
	v_mad_u64_u32 v[10:11], null, v14, s18, v[10:11]
	v_add3_u32 v11, v17, v15, v0
	v_xor_b32_e32 v14, s38, v17
	v_ashrrev_i32_e32 v19, 31, v19
	v_add_nc_u32_e32 v20, v0, v13
	v_add_nc_u32_e32 v23, v0, v16
	v_xor_b32_e32 v17, v11, v17
	v_ashrrev_i32_e32 v11, 31, v10
	v_add3_u32 v27, v19, v18, v0
	v_add_nc_u32_e32 v24, v0, v12
	v_ashrrev_i32_e32 v20, 31, v20
	v_mul_hi_u32 v25, v17, v2
	v_lshlrev_b64 v[10:11], 1, v[10:11]
	v_ashrrev_i32_e32 v23, 31, v23
	v_xor_b32_e32 v26, s38, v19
	v_xor_b32_e32 v19, v27, v19
	v_ashrrev_i32_e32 v24, 31, v24
	v_add3_u32 v29, v20, v13, v0
	v_add_co_u32 v10, vcc_lo, s10, v10
	v_mul_lo_u32 v27, v25, s29
	v_add3_u32 v31, v23, v16, v0
	v_add_co_ci_u32_e64 v11, null, s11, v11, vcc_lo
	v_xor_b32_e32 v28, s38, v20
	v_xor_b32_e32 v30, s38, v23
	v_add3_u32 v33, v24, v12, v0
	v_xor_b32_e32 v20, v29, v20
	v_xor_b32_e32 v23, v31, v23
	v_mul_hi_u32 v31, v19, v2
	global_load_ushort v10, v[10:11], off
	v_sub_nc_u32_e32 v11, v17, v27
	v_xor_b32_e32 v32, s38, v24
	v_xor_b32_e32 v24, v33, v24
	v_mul_hi_u32 v33, v20, v2
	v_add_nc_u32_e32 v29, 1, v25
	v_subrev_nc_u32_e32 v42, s29, v11
	v_cmp_le_u32_e32 vcc_lo, s29, v11
	v_mul_lo_u32 v17, v31, s29
	v_mul_hi_u32 v34, v23, v2
	v_mul_hi_u32 v35, v24, v2
	v_add_nc_u32_e32 v27, 1, v31
	v_cndmask_b32_e32 v25, v25, v29, vcc_lo
	v_cndmask_b32_e32 v11, v11, v42, vcc_lo
	v_mul_lo_u32 v36, v33, s29
	v_add_nc_u32_e32 v37, 1, v33
	v_sub_nc_u32_e32 v17, v19, v17
	v_add_nc_u32_e32 v29, 1, v25
	v_cmp_le_u32_e32 vcc_lo, s29, v11
	v_mul_lo_u32 v38, v34, s29
	v_mul_lo_u32 v40, v35, s29
	v_add_nc_u32_e32 v39, 1, v34
	v_sub_nc_u32_e32 v19, v20, v36
	v_cndmask_b32_e32 v11, v25, v29, vcc_lo
	v_cmp_le_u32_e32 vcc_lo, s29, v17
	v_subrev_nc_u32_e32 v25, s29, v17
	v_add_nc_u32_e32 v41, 1, v35
	v_sub_nc_u32_e32 v20, v23, v38
	v_sub_nc_u32_e32 v23, v24, v40
	v_cndmask_b32_e32 v24, v31, v27, vcc_lo
	v_cmp_le_u32_e64 s0, s29, v19
	v_subrev_nc_u32_e32 v29, s29, v19
	v_cndmask_b32_e32 v17, v17, v25, vcc_lo
	v_cmp_le_u32_e64 s1, s29, v20
	v_cmp_le_u32_e64 s2, s29, v23
	v_cndmask_b32_e64 v27, v33, v37, s0
	v_subrev_nc_u32_e32 v33, s29, v20
	v_xor_b32_e32 v11, v11, v14
	v_add_nc_u32_e32 v25, 1, v24
	v_cndmask_b32_e64 v19, v19, v29, s0
	v_cmp_le_u32_e32 vcc_lo, s29, v17
	v_cndmask_b32_e64 v31, v34, v39, s1
	v_cndmask_b32_e64 v34, v35, v41, s2
	v_subrev_nc_u32_e32 v35, s29, v23
	v_add_nc_u32_e32 v29, 1, v27
	v_cndmask_b32_e64 v20, v20, v33, s1
	v_sub_nc_u32_e32 v14, v11, v14
	v_cndmask_b32_e32 v11, v24, v25, vcc_lo
	v_cmp_le_u32_e32 vcc_lo, s29, v19
	v_add_nc_u32_e32 v33, 1, v31
	v_cndmask_b32_e64 v23, v23, v35, s2
	v_add_nc_u32_e32 v35, 1, v34
	v_xor_b32_e32 v11, v11, v26
	v_cndmask_b32_e32 v17, v27, v29, vcc_lo
	v_cmp_le_u32_e32 vcc_lo, s29, v20
	v_sub_nc_u32_e32 v24, v11, v26
	v_xor_b32_e32 v17, v17, v28
	v_cndmask_b32_e32 v19, v31, v33, vcc_lo
	v_cmp_le_u32_e32 vcc_lo, s29, v23
	v_mul_lo_u32 v23, v14, s3
	v_sub_nc_u32_e32 v25, v17, v28
	v_xor_b32_e32 v19, v19, v30
	v_cndmask_b32_e32 v20, v34, v35, vcc_lo
	v_mul_lo_u32 v17, v25, s3
	v_sub_nc_u32_e32 v19, v19, v30
	v_xor_b32_e32 v20, v20, v32
	v_sub_nc_u32_e32 v11, v15, v23
	v_mul_lo_u32 v15, v24, s3
	v_sub_nc_u32_e32 v26, v20, v32
	v_mul_lo_u32 v20, v19, s3
	v_add_nc_u32_e32 v11, v0, v11
	v_sub_nc_u32_e32 v13, v13, v17
	v_mul_lo_u32 v23, v26, s3
	v_sub_nc_u32_e32 v15, v18, v15
	v_mul_lo_u32 v11, v11, s5
	v_add_nc_u32_e32 v17, v0, v13
	v_sub_nc_u32_e32 v16, v16, v20
	v_add_nc_u32_e32 v15, v0, v15
	v_sub_nc_u32_e32 v12, v12, v23
	v_add_nc_u32_e32 v16, v0, v16
	v_mul_lo_u32 v13, v15, s5
	v_add_nc_u32_e32 v18, v0, v12
	v_mad_u64_u32 v[11:12], null, v14, s4, v[11:12]
	v_mul_lo_u32 v14, v17, s5
	v_mul_lo_u32 v15, v16, s5
	;; [unrolled: 1-line block ×3, first 2 shown]
	v_ashrrev_i32_e32 v12, 31, v11
	v_mad_u64_u32 v[17:18], null, v24, s4, v[13:14]
	v_mad_u64_u32 v[13:14], null, v25, s4, v[14:15]
	;; [unrolled: 1-line block ×3, first 2 shown]
	v_lshlrev_b64 v[11:12], 1, v[11:12]
	v_mad_u64_u32 v[15:16], null, v26, s4, v[16:17]
	v_ashrrev_i32_e32 v18, 31, v17
	v_ashrrev_i32_e32 v14, 31, v13
	;; [unrolled: 1-line block ×3, first 2 shown]
	v_add_co_u32 v11, vcc_lo, s24, v11
	v_lshlrev_b64 v[17:18], 1, v[17:18]
	v_add_co_ci_u32_e64 v12, null, s25, v12, vcc_lo
	v_ashrrev_i32_e32 v16, 31, v15
	v_lshlrev_b64 v[13:14], 1, v[13:14]
	v_lshlrev_b64 v[19:20], 1, v[19:20]
	global_load_ushort v24, v[11:12], off
	v_add_co_u32 v11, vcc_lo, s24, v17
	v_lshlrev_b64 v[15:16], 1, v[15:16]
	v_add_co_ci_u32_e64 v12, null, s25, v18, vcc_lo
	v_add_co_u32 v13, vcc_lo, s24, v13
	v_add_co_ci_u32_e64 v14, null, s25, v14, vcc_lo
	v_add_co_u32 v17, vcc_lo, s24, v19
	v_add_co_ci_u32_e64 v18, null, s25, v20, vcc_lo
	v_add_co_u32 v15, vcc_lo, s24, v15
	v_add_co_ci_u32_e64 v16, null, s25, v16, vcc_lo
	s_clause 0x3
	global_load_ushort v25, v[17:18], off
	global_load_ushort v26, v[11:12], off
	;; [unrolled: 1-line block ×4, first 2 shown]
	v_mul_hi_u32 v11, v7, v6
	v_mul_lo_u32 v12, v11, s35
	v_add_nc_u32_e32 v13, 1, v11
	v_sub_nc_u32_e32 v7, v7, v12
	v_subrev_nc_u32_e32 v12, s35, v7
	v_cmp_le_u32_e32 vcc_lo, s35, v7
	v_cndmask_b32_e32 v11, v11, v13, vcc_lo
	v_cndmask_b32_e32 v7, v7, v12, vcc_lo
	v_mul_lo_u32 v13, s44, v22
	v_add_nc_u32_e32 v12, 1, v11
	v_cmp_le_u32_e32 vcc_lo, s35, v7
	v_cndmask_b32_e32 v7, v11, v12, vcc_lo
	v_lshlrev_b32_e32 v11, 1, v21
	v_xor_b32_e32 v7, v7, v8
	v_sub_nc_u32_e32 v9, v11, v9
	v_add_nc_u32_e32 v11, v0, v13
	v_sub_nc_u32_e32 v12, v7, v8
	v_mad_u64_u32 v[7:8], null, s46, v12, v[0:1]
	v_or_b32_e32 v8, 1, v9
	v_add_nc_u32_e32 v9, 2, v9
	v_mul_lo_u32 v14, s8, v8
	v_mul_lo_u32 v7, v7, s23
	;; [unrolled: 1-line block ×3, first 2 shown]
	v_ashrrev_i32_e32 v9, 31, v11
	v_add_nc_u32_e32 v11, v0, v14
	v_mad_u64_u32 v[7:8], null, v12, s22, v[7:8]
	v_add3_u32 v8, v9, v13, v0
	v_xor_b32_e32 v12, s40, v9
	v_add_nc_u32_e32 v16, v0, v15
	v_xor_b32_e32 v17, s41, v9
	v_ashrrev_i32_e32 v11, 31, v11
	v_xor_b32_e32 v9, v8, v9
	v_ashrrev_i32_e32 v8, 31, v7
	v_ashrrev_i32_e32 v16, 31, v16
	v_add3_u32 v20, v11, v14, v0
	v_mul_hi_u32 v18, v9, v4
	v_mul_hi_u32 v23, v9, v5
	v_add3_u32 v22, v16, v15, v0
	v_xor_b32_e32 v19, s40, v11
	v_xor_b32_e32 v29, s41, v11
	v_xor_b32_e32 v11, v20, v11
	v_xor_b32_e32 v21, s40, v16
	v_xor_b32_e32 v30, s41, v16
	v_mul_lo_u32 v20, v18, s33
	v_xor_b32_e32 v16, v22, v16
	v_lshlrev_b64 v[7:8], 1, v[7:8]
	v_mul_lo_u32 v31, v23, s34
	v_mul_hi_u32 v33, v11, v4
	v_add_nc_u32_e32 v22, 1, v18
	v_mul_hi_u32 v34, v16, v4
	v_mul_hi_u32 v35, v11, v5
	v_sub_nc_u32_e32 v20, v9, v20
	v_add_co_u32 v7, vcc_lo, s20, v7
	v_add_co_ci_u32_e64 v8, null, s21, v8, vcc_lo
	v_sub_nc_u32_e32 v9, v9, v31
	v_subrev_nc_u32_e32 v44, s33, v20
	v_cmp_le_u32_e32 vcc_lo, s33, v20
	v_mul_lo_u32 v31, v33, s33
	v_mul_lo_u32 v38, v34, s33
	v_mul_hi_u32 v36, v16, v5
	v_add_nc_u32_e32 v32, 1, v23
	v_cndmask_b32_e32 v18, v18, v22, vcc_lo
	v_cmp_le_u32_e64 s0, s34, v9
	v_cndmask_b32_e32 v20, v20, v44, vcc_lo
	v_mul_lo_u32 v40, v35, s34
	v_sub_nc_u32_e32 v31, v11, v31
	v_sub_nc_u32_e32 v38, v16, v38
	v_cndmask_b32_e64 v22, v23, v32, s0
	v_subrev_nc_u32_e32 v23, s34, v9
	v_add_nc_u32_e32 v32, 1, v18
	v_cmp_le_u32_e32 vcc_lo, s33, v20
	v_mul_lo_u32 v42, v36, s34
	v_add_nc_u32_e32 v37, 1, v33
	v_add_nc_u32_e32 v39, 1, v34
	v_cndmask_b32_e64 v9, v9, v23, s0
	v_cndmask_b32_e32 v18, v18, v32, vcc_lo
	v_cmp_le_u32_e32 vcc_lo, s33, v31
	v_subrev_nc_u32_e32 v32, s33, v31
	v_cmp_le_u32_e64 s0, s33, v38
	v_add_nc_u32_e32 v23, 1, v22
	v_sub_nc_u32_e32 v11, v11, v40
	v_sub_nc_u32_e32 v16, v16, v42
	v_cndmask_b32_e32 v20, v33, v37, vcc_lo
	v_cndmask_b32_e64 v33, v34, v39, s0
	v_subrev_nc_u32_e32 v34, s33, v38
	v_cmp_le_u32_e64 s1, s34, v9
	v_cndmask_b32_e32 v31, v31, v32, vcc_lo
	v_add_nc_u32_e32 v41, 1, v35
	v_add_nc_u32_e32 v43, 1, v36
	v_cmp_le_u32_e64 s2, s34, v16
	v_cndmask_b32_e64 v9, v22, v23, s1
	v_cmp_le_u32_e64 s1, s34, v11
	v_subrev_nc_u32_e32 v23, s34, v11
	v_xor_b32_e32 v18, v18, v12
	v_add_nc_u32_e32 v32, 1, v20
	v_cndmask_b32_e64 v34, v38, v34, s0
	v_cmp_le_u32_e32 vcc_lo, s33, v31
	v_cndmask_b32_e64 v22, v35, v41, s1
	v_cndmask_b32_e64 v35, v36, v43, s2
	v_subrev_nc_u32_e32 v36, s34, v16
	v_add_nc_u32_e32 v37, 1, v33
	v_cndmask_b32_e64 v11, v11, v23, s1
	v_sub_nc_u32_e32 v12, v18, v12
	v_cndmask_b32_e32 v18, v20, v32, vcc_lo
	v_cmp_le_u32_e32 vcc_lo, s33, v34
	v_xor_b32_e32 v9, v9, v17
	v_add_nc_u32_e32 v23, 1, v22
	v_cndmask_b32_e64 v16, v16, v36, s2
	v_add_nc_u32_e32 v36, 1, v35
	v_cndmask_b32_e32 v20, v33, v37, vcc_lo
	v_cmp_le_u32_e32 vcc_lo, s34, v11
	v_sub_nc_u32_e32 v17, v9, v17
	v_xor_b32_e32 v18, v18, v19
	v_xor_b32_e32 v20, v20, v21
	v_cndmask_b32_e32 v9, v22, v23, vcc_lo
	v_cmp_le_u32_e32 vcc_lo, s34, v16
	v_mul_lo_u32 v16, v12, s26
	v_mul_lo_u32 v22, v17, s28
	v_sub_nc_u32_e32 v18, v18, v19
	v_xor_b32_e32 v9, v9, v29
	v_cndmask_b32_e32 v11, v35, v36, vcc_lo
	v_sub_nc_u32_e32 v20, v20, v21
	v_sub_nc_u32_e32 v23, v9, v29
	v_xor_b32_e32 v11, v11, v30
	v_sub_nc_u32_e32 v9, v13, v16
	v_mul_lo_u32 v16, v20, s26
	v_mul_lo_u32 v19, v23, s28
	v_sub_nc_u32_e32 v29, v11, v30
	v_sub_nc_u32_e32 v11, v13, v22
	v_mul_lo_u32 v13, v18, s26
	v_add_nc_u32_e32 v9, v0, v9
	v_mul_lo_u32 v21, v29, s28
	v_add_nc_u32_e32 v11, v0, v11
	v_sub_nc_u32_e32 v16, v15, v16
	v_mul_lo_u32 v9, v9, s15
	v_sub_nc_u32_e32 v13, v14, v13
	v_sub_nc_u32_e32 v14, v14, v19
	v_mul_lo_u32 v11, v11, s7
	v_sub_nc_u32_e32 v15, v15, v21
	v_add_nc_u32_e32 v16, v0, v16
	v_add_nc_u32_e32 v19, v0, v13
	s_waitcnt vmcnt(5)
	v_mad_u64_u32 v[12:13], null, v12, s14, v[9:10]
	v_add_nc_u32_e32 v21, v0, v14
	v_add_nc_u32_e32 v22, v0, v15
	v_mul_lo_u32 v9, v19, s15
	v_add_nc_u32_e32 v0, s31, v0
	v_mad_u64_u32 v[14:15], null, v17, s6, v[11:12]
	v_mul_lo_u32 v11, v16, s15
	v_mul_lo_u32 v16, v21, s7
	;; [unrolled: 1-line block ×3, first 2 shown]
	v_mad_u64_u32 v[18:19], null, v18, s14, v[9:10]
	v_ashrrev_i32_e32 v13, 31, v12
	v_ashrrev_i32_e32 v15, 31, v14
	v_cmp_le_i32_e32 vcc_lo, s9, v0
	v_mad_u64_u32 v[20:21], null, v20, s14, v[11:12]
	v_mad_u64_u32 v[22:23], null, v23, s6, v[16:17]
	;; [unrolled: 1-line block ×3, first 2 shown]
	v_ashrrev_i32_e32 v19, 31, v18
	v_lshlrev_b64 v[11:12], 1, v[12:13]
	v_ashrrev_i32_e32 v21, 31, v20
	v_lshlrev_b64 v[13:14], 1, v[14:15]
	v_ashrrev_i32_e32 v23, 31, v22
	v_lshlrev_b64 v[18:19], 1, v[18:19]
	v_ashrrev_i32_e32 v17, 31, v16
	s_or_b32 s37, vcc_lo, s37
	v_add_co_u32 v11, vcc_lo, s12, v11
	v_lshlrev_b64 v[20:21], 1, v[20:21]
	v_cvt_f32_f16_e32 v9, v10
	v_add_co_ci_u32_e64 v12, null, s13, v12, vcc_lo
	v_add_co_u32 v13, vcc_lo, s16, v13
	v_lshlrev_b64 v[22:23], 1, v[22:23]
	v_add_co_ci_u32_e64 v14, null, s17, v14, vcc_lo
	v_lshlrev_b64 v[15:16], 1, v[16:17]
	v_add_co_u32 v17, vcc_lo, s12, v18
	v_add_co_ci_u32_e64 v18, null, s13, v19, vcc_lo
	v_add_co_u32 v19, vcc_lo, s12, v20
	v_add_co_ci_u32_e64 v20, null, s13, v21, vcc_lo
	;; [unrolled: 2-line block ×4, first 2 shown]
	s_waitcnt vmcnt(4)
	v_cvt_f32_f16_e32 v23, v24
	v_sub_f32_e32 v23, 1.0, v23
	s_waitcnt vmcnt(3)
	v_cvt_f32_f16_e32 v25, v25
	s_waitcnt vmcnt(2)
	v_cvt_f32_f16_e32 v29, v26
	;; [unrolled: 2-line block ×3, first 2 shown]
	v_fma_mix_f32 v27, -v27, v27, s47 op_sel_hi:[1,1,0]
	s_waitcnt vmcnt(0)
	v_cvt_f32_f16_e32 v28, v28
	v_mul_f16_e32 v10, v26, v10
	v_sub_f32_e32 v29, 1.0, v29
	v_sub_f32_e32 v25, v25, v30
	v_mul_f32_e32 v30, v29, v9
	v_mul_f32_e32 v9, v25, v9
	v_mul_f32_e32 v25, v27, v30
	v_mul_f32_e32 v9, v29, v9
	v_fma_mixlo_f16 v27, v27, v30, 0
	v_mul_f32_e32 v28, v25, v28
	v_fma_mixlo_f16 v9, v9, v26, 0 op_sel_hi:[0,1,0]
	v_fma_mixlo_f16 v25, v25, v24, 0 op_sel_hi:[0,1,0]
	v_mul_f32_e32 v23, v23, v28
	v_fma_mixlo_f16 v23, v23, v24, 0 op_sel_hi:[0,1,0]
	global_store_short v[11:12], v23, off
	global_store_short v[17:18], v9, off
	;; [unrolled: 1-line block ×7, first 2 shown]
	s_andn2_b32 exec_lo, exec_lo, s37
	s_cbranch_execnz .LBB57_2
.LBB57_3:
	s_endpgm
	.section	.rodata,"a",@progbits
	.p2align	6, 0x0
	.amdhsa_kernel _ZN2at6native12_GLOBAL__N_16kernel17gru_cell_backwardIN3c104HalfEfiLi2EEEvNS_4cuda6detail10TensorInfoIT_T1_EESB_SB_SB_SB_SA_SA_
		.amdhsa_group_segment_fixed_size 0
		.amdhsa_private_segment_fixed_size 0
		.amdhsa_kernarg_size 1344
		.amdhsa_user_sgpr_count 6
		.amdhsa_user_sgpr_private_segment_buffer 1
		.amdhsa_user_sgpr_dispatch_ptr 0
		.amdhsa_user_sgpr_queue_ptr 0
		.amdhsa_user_sgpr_kernarg_segment_ptr 1
		.amdhsa_user_sgpr_dispatch_id 0
		.amdhsa_user_sgpr_flat_scratch_init 0
		.amdhsa_user_sgpr_private_segment_size 0
		.amdhsa_wavefront_size32 1
		.amdhsa_uses_dynamic_stack 0
		.amdhsa_system_sgpr_private_segment_wavefront_offset 0
		.amdhsa_system_sgpr_workgroup_id_x 1
		.amdhsa_system_sgpr_workgroup_id_y 0
		.amdhsa_system_sgpr_workgroup_id_z 0
		.amdhsa_system_sgpr_workgroup_info 0
		.amdhsa_system_vgpr_workitem_id 0
		.amdhsa_next_free_vgpr 45
		.amdhsa_next_free_sgpr 48
		.amdhsa_reserve_vcc 1
		.amdhsa_reserve_flat_scratch 0
		.amdhsa_float_round_mode_32 0
		.amdhsa_float_round_mode_16_64 0
		.amdhsa_float_denorm_mode_32 3
		.amdhsa_float_denorm_mode_16_64 3
		.amdhsa_dx10_clamp 1
		.amdhsa_ieee_mode 1
		.amdhsa_fp16_overflow 0
		.amdhsa_workgroup_processor_mode 1
		.amdhsa_memory_ordered 1
		.amdhsa_forward_progress 1
		.amdhsa_shared_vgpr_count 0
		.amdhsa_exception_fp_ieee_invalid_op 0
		.amdhsa_exception_fp_denorm_src 0
		.amdhsa_exception_fp_ieee_div_zero 0
		.amdhsa_exception_fp_ieee_overflow 0
		.amdhsa_exception_fp_ieee_underflow 0
		.amdhsa_exception_fp_ieee_inexact 0
		.amdhsa_exception_int_div_zero 0
	.end_amdhsa_kernel
	.section	.text._ZN2at6native12_GLOBAL__N_16kernel17gru_cell_backwardIN3c104HalfEfiLi2EEEvNS_4cuda6detail10TensorInfoIT_T1_EESB_SB_SB_SB_SA_SA_,"axG",@progbits,_ZN2at6native12_GLOBAL__N_16kernel17gru_cell_backwardIN3c104HalfEfiLi2EEEvNS_4cuda6detail10TensorInfoIT_T1_EESB_SB_SB_SB_SA_SA_,comdat
.Lfunc_end57:
	.size	_ZN2at6native12_GLOBAL__N_16kernel17gru_cell_backwardIN3c104HalfEfiLi2EEEvNS_4cuda6detail10TensorInfoIT_T1_EESB_SB_SB_SB_SA_SA_, .Lfunc_end57-_ZN2at6native12_GLOBAL__N_16kernel17gru_cell_backwardIN3c104HalfEfiLi2EEEvNS_4cuda6detail10TensorInfoIT_T1_EESB_SB_SB_SB_SA_SA_
                                        ; -- End function
	.set _ZN2at6native12_GLOBAL__N_16kernel17gru_cell_backwardIN3c104HalfEfiLi2EEEvNS_4cuda6detail10TensorInfoIT_T1_EESB_SB_SB_SB_SA_SA_.num_vgpr, 45
	.set _ZN2at6native12_GLOBAL__N_16kernel17gru_cell_backwardIN3c104HalfEfiLi2EEEvNS_4cuda6detail10TensorInfoIT_T1_EESB_SB_SB_SB_SA_SA_.num_agpr, 0
	.set _ZN2at6native12_GLOBAL__N_16kernel17gru_cell_backwardIN3c104HalfEfiLi2EEEvNS_4cuda6detail10TensorInfoIT_T1_EESB_SB_SB_SB_SA_SA_.numbered_sgpr, 48
	.set _ZN2at6native12_GLOBAL__N_16kernel17gru_cell_backwardIN3c104HalfEfiLi2EEEvNS_4cuda6detail10TensorInfoIT_T1_EESB_SB_SB_SB_SA_SA_.num_named_barrier, 0
	.set _ZN2at6native12_GLOBAL__N_16kernel17gru_cell_backwardIN3c104HalfEfiLi2EEEvNS_4cuda6detail10TensorInfoIT_T1_EESB_SB_SB_SB_SA_SA_.private_seg_size, 0
	.set _ZN2at6native12_GLOBAL__N_16kernel17gru_cell_backwardIN3c104HalfEfiLi2EEEvNS_4cuda6detail10TensorInfoIT_T1_EESB_SB_SB_SB_SA_SA_.uses_vcc, 1
	.set _ZN2at6native12_GLOBAL__N_16kernel17gru_cell_backwardIN3c104HalfEfiLi2EEEvNS_4cuda6detail10TensorInfoIT_T1_EESB_SB_SB_SB_SA_SA_.uses_flat_scratch, 0
	.set _ZN2at6native12_GLOBAL__N_16kernel17gru_cell_backwardIN3c104HalfEfiLi2EEEvNS_4cuda6detail10TensorInfoIT_T1_EESB_SB_SB_SB_SA_SA_.has_dyn_sized_stack, 0
	.set _ZN2at6native12_GLOBAL__N_16kernel17gru_cell_backwardIN3c104HalfEfiLi2EEEvNS_4cuda6detail10TensorInfoIT_T1_EESB_SB_SB_SB_SA_SA_.has_recursion, 0
	.set _ZN2at6native12_GLOBAL__N_16kernel17gru_cell_backwardIN3c104HalfEfiLi2EEEvNS_4cuda6detail10TensorInfoIT_T1_EESB_SB_SB_SB_SA_SA_.has_indirect_call, 0
	.section	.AMDGPU.csdata,"",@progbits
; Kernel info:
; codeLenInByte = 2860
; TotalNumSgprs: 50
; NumVgprs: 45
; ScratchSize: 0
; MemoryBound: 0
; FloatMode: 240
; IeeeMode: 1
; LDSByteSize: 0 bytes/workgroup (compile time only)
; SGPRBlocks: 0
; VGPRBlocks: 5
; NumSGPRsForWavesPerEU: 50
; NumVGPRsForWavesPerEU: 45
; Occupancy: 16
; WaveLimiterHint : 1
; COMPUTE_PGM_RSRC2:SCRATCH_EN: 0
; COMPUTE_PGM_RSRC2:USER_SGPR: 6
; COMPUTE_PGM_RSRC2:TRAP_HANDLER: 0
; COMPUTE_PGM_RSRC2:TGID_X_EN: 1
; COMPUTE_PGM_RSRC2:TGID_Y_EN: 0
; COMPUTE_PGM_RSRC2:TGID_Z_EN: 0
; COMPUTE_PGM_RSRC2:TIDIG_COMP_CNT: 0
	.section	.text._ZN2at6native12_GLOBAL__N_16kernel17gru_cell_backwardIN3c104HalfEflLi1EEEvNS_4cuda6detail10TensorInfoIT_T1_EESB_SB_SB_SB_SA_SA_,"axG",@progbits,_ZN2at6native12_GLOBAL__N_16kernel17gru_cell_backwardIN3c104HalfEflLi1EEEvNS_4cuda6detail10TensorInfoIT_T1_EESB_SB_SB_SB_SA_SA_,comdat
	.globl	_ZN2at6native12_GLOBAL__N_16kernel17gru_cell_backwardIN3c104HalfEflLi1EEEvNS_4cuda6detail10TensorInfoIT_T1_EESB_SB_SB_SB_SA_SA_ ; -- Begin function _ZN2at6native12_GLOBAL__N_16kernel17gru_cell_backwardIN3c104HalfEflLi1EEEvNS_4cuda6detail10TensorInfoIT_T1_EESB_SB_SB_SB_SA_SA_
	.p2align	8
	.type	_ZN2at6native12_GLOBAL__N_16kernel17gru_cell_backwardIN3c104HalfEflLi1EEEvNS_4cuda6detail10TensorInfoIT_T1_EESB_SB_SB_SB_SA_SA_,@function
_ZN2at6native12_GLOBAL__N_16kernel17gru_cell_backwardIN3c104HalfEflLi1EEEvNS_4cuda6detail10TensorInfoIT_T1_EESB_SB_SB_SB_SA_SA_: ; @_ZN2at6native12_GLOBAL__N_16kernel17gru_cell_backwardIN3c104HalfEflLi1EEEvNS_4cuda6detail10TensorInfoIT_T1_EESB_SB_SB_SB_SA_SA_
; %bb.0:
	s_clause 0x1
	s_load_dword s2, s[4:5], 0x83c
	s_load_dwordx4 s[8:11], s[4:5], 0x820
	v_mov_b32_e32 v1, 0
	s_add_u32 s0, s4, 0x830
	s_addc_u32 s1, s5, 0
	s_waitcnt lgkmcnt(0)
	s_and_b32 s22, s2, 0xffff
	s_mov_b32 s2, exec_lo
	v_mad_u64_u32 v[3:4], null, s6, s22, v[0:1]
	v_mov_b32_e32 v4, v1
	v_cmpx_gt_i64_e64 s[10:11], v[3:4]
	s_cbranch_execz .LBB58_7
; %bb.1:
	s_load_dwordx2 s[24:25], s[4:5], 0x410
	s_load_dword s0, s[0:1], 0x0
	s_clause 0x2
	s_load_dwordx2 s[26:27], s[4:5], 0x340
	s_load_dwordx2 s[28:29], s[4:5], 0x5b0
	;; [unrolled: 1-line block ×3, first 2 shown]
	v_cvt_f32_u32_e32 v0, s8
	s_sub_i32 s31, 0, s8
	s_clause 0x5
	s_load_dwordx2 s[2:3], s[4:5], 0x0
	s_load_dwordx2 s[6:7], s[4:5], 0xd0
	;; [unrolled: 1-line block ×6, first 2 shown]
	s_mov_b32 s1, 0
	v_rcp_iflag_f32_e32 v0, v0
	s_lshl_b64 s[18:19], s[8:9], 2
	s_lshl_b64 s[20:21], s[8:9], 1
	v_mul_f32_e32 v0, 0x4f7ffffe, v0
	s_waitcnt lgkmcnt(0)
	v_mul_lo_u32 v2, 0, s24
	v_mul_lo_u32 v7, v3, s25
	v_mad_u64_u32 v[5:6], null, v3, s24, 0
	v_mul_lo_u32 v9, 0, s28
	v_mul_lo_u32 v10, v3, s29
	v_cvt_u32_f32_e32 v0, v0
	s_mul_i32 s30, s0, s22
	s_mul_i32 s0, s30, s25
	v_add3_u32 v6, v6, v7, v2
	v_mad_u64_u32 v[7:8], null, v3, s28, 0
	v_mul_lo_u32 v2, s31, v0
	s_mul_hi_u32 s23, s30, s24
	v_lshlrev_b64 v[5:6], 1, v[5:6]
	s_mul_i32 s22, s30, s24
	s_add_i32 s23, s23, s0
	s_mul_i32 s0, s30, s29
	v_add3_u32 v8, v8, v10, v9
	s_mul_hi_u32 s24, s30, s28
	v_mul_hi_u32 v2, v0, v2
	v_add_co_u32 v5, vcc_lo, s26, v5
	v_lshlrev_b64 v[7:8], 1, v[7:8]
	v_add_co_ci_u32_e64 v6, null, s27, v6, vcc_lo
	s_add_i32 s25, s24, s0
	s_mul_i32 s24, s30, s28
	v_add_nc_u32_e32 v0, v0, v2
	v_add_co_u32 v7, vcc_lo, s34, v7
	v_add_co_ci_u32_e64 v8, null, s35, v8, vcc_lo
	s_lshl_b64 s[22:23], s[22:23], 1
	s_lshl_b64 s[24:25], s[24:25], 1
	s_ashr_i32 s26, s9, 31
	s_mov_b32 s31, 1.0
	s_branch .LBB58_3
.LBB58_2:                               ;   in Loop: Header=BB58_3 Depth=1
	s_or_b32 exec_lo, exec_lo, s0
	v_lshlrev_b64 v[11:12], 2, v[9:10]
	v_mad_u64_u32 v[13:14], null, s18, v9, v[3:4]
	v_mul_lo_u32 v17, s18, v10
	v_mul_lo_u32 v18, s19, v9
	v_or_b32_e32 v2, 1, v11
	v_mul_lo_u32 v23, s8, v12
	v_or_b32_e32 v19, 2, v11
	v_mul_lo_u32 v25, v13, s5
	v_mul_lo_u32 v20, s9, v2
	v_mad_u64_u32 v[15:16], null, s8, v2, v[3:4]
	v_add3_u32 v24, v18, v14, v17
	v_mul_lo_u32 v21, s9, v19
	v_mad_u64_u32 v[17:18], null, s8, v19, v[3:4]
	v_or_b32_e32 v2, 3, v11
	v_add3_u32 v16, v20, v16, v23
	v_mul_lo_u32 v26, v15, s5
	v_mad_u64_u32 v[14:15], null, v15, s4, 0
	v_mad_u64_u32 v[19:20], null, v13, s4, 0
	v_mul_lo_u32 v16, v16, s4
	v_add3_u32 v13, v21, v18, v23
	v_mul_lo_u32 v18, s9, v2
	v_mad_u64_u32 v[21:22], null, s8, v2, v[3:4]
	v_mul_lo_u32 v2, v24, s4
	v_mul_lo_u32 v24, v13, s4
	v_add_co_u32 v13, vcc_lo, v11, 4
	v_add3_u32 v15, v15, v26, v16
	v_add_co_ci_u32_e64 v16, null, 0, v12, vcc_lo
	v_mul_lo_u32 v26, v17, s5
	v_mad_u64_u32 v[11:12], null, v17, s4, 0
	v_add3_u32 v18, v18, v22, v23
	v_mul_lo_u32 v23, s8, v16
	v_mul_lo_u32 v27, s9, v13
	v_mad_u64_u32 v[16:17], null, s8, v13, v[3:4]
	v_add3_u32 v20, v20, v25, v2
	v_lshlrev_b64 v[13:14], 1, v[14:15]
	v_mul_lo_u32 v2, v18, s4
	v_mul_lo_u32 v15, v21, s5
	v_mad_u64_u32 v[21:22], null, v21, s4, 0
	v_add3_u32 v17, v27, v17, v23
	v_add3_u32 v12, v12, v26, v24
	v_add_co_u32 v13, vcc_lo, s16, v13
	v_mul_lo_u32 v23, v16, s5
	v_add_co_ci_u32_e64 v14, null, s17, v14, vcc_lo
	v_add3_u32 v22, v22, v15, v2
	v_mul_lo_u32 v2, v17, s4
	v_mad_u64_u32 v[15:16], null, v16, s4, 0
	v_lshlrev_b64 v[11:12], 1, v[11:12]
	global_load_ushort v24, v[13:14], off
	v_lshlrev_b64 v[13:14], 1, v[21:22]
	v_lshlrev_b64 v[17:18], 1, v[19:20]
	v_add3_u32 v16, v16, v23, v2
	v_add_co_u32 v11, vcc_lo, s16, v11
	v_add_co_ci_u32_e64 v12, null, s17, v12, vcc_lo
	v_add_co_u32 v13, vcc_lo, s16, v13
	v_lshlrev_b64 v[15:16], 1, v[15:16]
	v_add_co_ci_u32_e64 v14, null, s17, v14, vcc_lo
	global_load_ushort v2, v[5:6], off
	v_add_co_u32 v17, vcc_lo, s16, v17
	v_add_co_ci_u32_e64 v18, null, s17, v18, vcc_lo
	s_clause 0x1
	global_load_ushort v21, v[11:12], off
	global_load_ushort v22, v[13:14], off
	v_add_co_u32 v11, vcc_lo, s16, v15
	v_add_co_ci_u32_e64 v12, null, s17, v16, vcc_lo
	s_clause 0x1
	global_load_ushort v23, v[17:18], off
	global_load_ushort v25, v[11:12], off
	v_lshlrev_b64 v[13:14], 1, v[9:10]
	v_mad_u64_u32 v[11:12], null, s20, v9, v[3:4]
	v_mul_lo_u32 v15, s20, v10
	v_mul_lo_u32 v9, s21, v9
	v_add_co_u32 v5, vcc_lo, v5, s22
	v_or_b32_e32 v16, 1, v13
	v_add_co_ci_u32_e64 v6, null, s23, v6, vcc_lo
	v_add_co_u32 v18, vcc_lo, v13, 2
	v_mul_lo_u32 v17, s8, v14
	v_add_co_ci_u32_e64 v19, null, 0, v14, vcc_lo
	v_add3_u32 v20, v9, v12, v15
	v_mul_lo_u32 v28, s9, v16
	v_mad_u64_u32 v[13:14], null, s8, v16, v[3:4]
	v_mul_lo_u32 v26, v11, s7
	v_mad_u64_u32 v[9:10], null, v11, s6, 0
	v_mad_u64_u32 v[15:16], null, s8, v18, v[3:4]
	v_mul_lo_u32 v19, s8, v19
	v_mul_lo_u32 v29, s9, v18
	;; [unrolled: 1-line block ×3, first 2 shown]
	v_add3_u32 v28, v28, v14, v17
	v_mul_lo_u32 v27, v11, s15
	v_mad_u64_u32 v[11:12], null, v11, s14, 0
	v_mul_lo_u32 v31, v20, s14
	v_mul_lo_u32 v32, v13, s7
	v_mad_u64_u32 v[17:18], null, v13, s6, 0
	v_add3_u32 v29, v29, v16, v19
	v_add3_u32 v10, v10, v26, v30
	v_mul_lo_u32 v26, v28, s6
	v_mul_lo_u32 v33, v15, s7
	v_mad_u64_u32 v[19:20], null, v15, s6, 0
	v_add3_u32 v12, v12, v27, v31
	v_mul_lo_u32 v27, v29, s6
	v_mul_lo_u32 v34, v13, s15
	v_mad_u64_u32 v[13:14], null, v13, s14, 0
	v_add3_u32 v18, v18, v32, v26
	v_mul_lo_u32 v35, v15, s15
	v_mad_u64_u32 v[15:16], null, v15, s14, 0
	v_mul_lo_u32 v28, v28, s14
	v_mul_lo_u32 v29, v29, s14
	v_add3_u32 v20, v20, v33, v27
	v_lshlrev_b64 v[9:10], 1, v[9:10]
	v_lshlrev_b64 v[11:12], 1, v[11:12]
	v_lshlrev_b64 v[17:18], 1, v[17:18]
	v_add_co_u32 v3, vcc_lo, v3, s30
	v_add3_u32 v14, v14, v34, v28
	v_add3_u32 v16, v16, v35, v29
	v_add_co_u32 v9, s0, s2, v9
	v_lshlrev_b64 v[19:20], 1, v[19:20]
	v_add_co_ci_u32_e64 v10, null, s3, v10, s0
	v_add_co_u32 v11, s0, s12, v11
	v_lshlrev_b64 v[13:14], 1, v[13:14]
	v_add_co_ci_u32_e64 v12, null, s13, v12, s0
	v_lshlrev_b64 v[15:16], 1, v[15:16]
	v_add_co_u32 v17, s0, s2, v17
	v_add_co_ci_u32_e64 v4, null, 0, v4, vcc_lo
	v_add_co_ci_u32_e64 v18, null, s3, v18, s0
	v_add_co_u32 v19, s0, s2, v19
	v_add_co_ci_u32_e64 v20, null, s3, v20, s0
	v_add_co_u32 v13, s0, s12, v13
	;; [unrolled: 2-line block ×3, first 2 shown]
	v_cmp_le_i64_e32 vcc_lo, s[10:11], v[3:4]
	v_add_co_ci_u32_e64 v16, null, s13, v16, s0
	s_or_b32 s1, vcc_lo, s1
	s_waitcnt vmcnt(5)
	v_cvt_f32_f16_e32 v26, v24
	v_sub_f32_e32 v26, 1.0, v26
	s_waitcnt vmcnt(4)
	v_cvt_f32_f16_e32 v27, v2
	v_mul_f16_e32 v2, v24, v2
	s_waitcnt vmcnt(3)
	v_cvt_f32_f16_e32 v28, v21
	s_waitcnt vmcnt(2)
	v_cvt_f32_f16_e32 v22, v22
	v_fma_mix_f32 v21, -v21, v21, s31 op_sel_hi:[1,1,0]
	v_mul_f32_e32 v29, v26, v27
	v_sub_f32_e32 v22, v22, v28
	s_waitcnt vmcnt(1)
	v_cvt_f32_f16_e32 v30, v23
	s_waitcnt vmcnt(0)
	v_cvt_f32_f16_e32 v25, v25
	v_mul_f32_e32 v28, v21, v29
	v_fma_mixlo_f16 v21, v21, v29, 0
	v_mul_f32_e32 v22, v22, v27
	v_sub_f32_e32 v30, 1.0, v30
	v_mul_f32_e32 v25, v28, v25
	v_mul_f32_e32 v22, v26, v22
	;; [unrolled: 1-line block ×3, first 2 shown]
	v_fma_mixlo_f16 v22, v22, v24, 0 op_sel_hi:[0,1,0]
	v_fma_mixlo_f16 v25, v25, v23, 0 op_sel_hi:[0,1,0]
	;; [unrolled: 1-line block ×3, first 2 shown]
	global_store_short v[9:10], v25, off
	global_store_short v[17:18], v22, off
	;; [unrolled: 1-line block ×7, first 2 shown]
	v_add_co_u32 v7, s0, v7, s24
	v_add_co_ci_u32_e64 v8, null, s25, v8, s0
	s_andn2_b32 exec_lo, exec_lo, s1
	s_cbranch_execz .LBB58_7
.LBB58_3:                               ; =>This Inner Loop Header: Depth=1
	v_or_b32_e32 v2, s9, v4
                                        ; implicit-def: $vgpr9_vgpr10
	s_mov_b32 s0, exec_lo
	v_cmpx_ne_u64_e32 0, v[1:2]
	s_xor_b32 s33, exec_lo, s0
	s_cbranch_execz .LBB58_5
; %bb.4:                                ;   in Loop: Header=BB58_3 Depth=1
	s_add_u32 s28, s8, s26
	s_mov_b32 s27, s26
	s_addc_u32 s29, s9, s26
	v_ashrrev_i32_e32 v15, 31, v4
	s_xor_b64 s[28:29], s[28:29], s[26:27]
	v_cvt_f32_u32_e32 v2, s28
	v_cvt_f32_u32_e32 v9, s29
	s_sub_u32 s0, 0, s28
	s_subb_u32 s35, 0, s29
	v_add_co_u32 v10, vcc_lo, v3, v15
	v_fmac_f32_e32 v2, 0x4f800000, v9
	v_xor_b32_e32 v16, v10, v15
	v_rcp_f32_e32 v2, v2
	v_mul_f32_e32 v2, 0x5f7ffffc, v2
	v_mul_f32_e32 v9, 0x2f800000, v2
	v_trunc_f32_e32 v9, v9
	v_fmac_f32_e32 v2, 0xcf800000, v9
	v_cvt_u32_f32_e32 v9, v9
	v_cvt_u32_f32_e32 v2, v2
	v_readfirstlane_b32 s27, v9
	v_readfirstlane_b32 s34, v2
	s_mul_i32 s36, s0, s27
	v_add_co_ci_u32_e64 v2, null, v4, v15, vcc_lo
	s_mul_hi_u32 s38, s0, s34
	s_mul_i32 s37, s35, s34
	s_add_i32 s36, s38, s36
	s_mul_i32 s39, s0, s34
	s_add_i32 s36, s36, s37
	s_mul_hi_u32 s38, s34, s39
	s_mul_i32 s41, s34, s36
	s_mul_hi_u32 s40, s27, s39
	s_mul_i32 s37, s27, s39
	s_mul_hi_u32 s39, s34, s36
	s_add_u32 s38, s38, s41
	s_addc_u32 s39, 0, s39
	s_mul_hi_u32 s42, s27, s36
	s_add_u32 s37, s38, s37
	s_mul_i32 s36, s27, s36
	s_addc_u32 s37, s39, s40
	s_addc_u32 s38, s42, 0
	s_add_u32 s36, s37, s36
	s_addc_u32 s37, 0, s38
	s_add_u32 s34, s34, s36
	s_cselect_b32 s36, -1, 0
	s_mul_hi_u32 s38, s0, s34
	s_cmp_lg_u32 s36, 0
	s_mul_i32 s36, s0, s34
	s_addc_u32 s27, s27, s37
	s_mul_i32 s35, s35, s34
	s_mul_i32 s0, s0, s27
	s_mul_hi_u32 s37, s34, s36
	s_add_i32 s0, s38, s0
	s_mul_hi_u32 s38, s27, s36
	s_add_i32 s0, s0, s35
	s_mul_i32 s35, s27, s36
	s_mul_i32 s40, s34, s0
	s_mul_hi_u32 s39, s34, s0
	s_add_u32 s37, s37, s40
	s_addc_u32 s39, 0, s39
	s_mul_hi_u32 s36, s27, s0
	s_add_u32 s35, s37, s35
	s_mul_i32 s0, s27, s0
	s_addc_u32 s35, s39, s38
	s_addc_u32 s36, s36, 0
	s_add_u32 s0, s35, s0
	s_addc_u32 s35, 0, s36
	s_add_u32 s0, s34, s0
	s_cselect_b32 s34, -1, 0
	v_xor_b32_e32 v2, v2, v15
	s_cmp_lg_u32 s34, 0
	v_mul_hi_u32 v17, v16, s0
	s_addc_u32 s27, s27, s35
	v_mad_u64_u32 v[9:10], null, v16, s27, 0
	v_mad_u64_u32 v[11:12], null, v2, s0, 0
	;; [unrolled: 1-line block ×3, first 2 shown]
	v_add_co_u32 v9, vcc_lo, v17, v9
	v_add_co_ci_u32_e64 v10, null, 0, v10, vcc_lo
	v_add_co_u32 v9, vcc_lo, v9, v11
	v_add_co_ci_u32_e32 v9, vcc_lo, v10, v12, vcc_lo
	v_add_co_ci_u32_e32 v10, vcc_lo, 0, v14, vcc_lo
	v_add_co_u32 v11, vcc_lo, v9, v13
	v_add_co_ci_u32_e64 v12, null, 0, v10, vcc_lo
	v_mul_lo_u32 v13, s29, v11
	v_mad_u64_u32 v[9:10], null, s28, v11, 0
	v_mul_lo_u32 v14, s28, v12
	v_sub_co_u32 v9, vcc_lo, v16, v9
	v_add3_u32 v10, v10, v14, v13
	v_add_co_u32 v14, s0, v11, 2
	v_add_co_ci_u32_e64 v16, null, 0, v12, s0
	v_sub_nc_u32_e32 v13, v2, v10
	v_sub_co_u32 v17, s0, v9, s28
	v_sub_co_ci_u32_e64 v2, null, v2, v10, vcc_lo
	v_subrev_co_ci_u32_e64 v13, null, s29, v13, vcc_lo
	v_cmp_le_u32_e32 vcc_lo, s28, v17
	v_subrev_co_ci_u32_e64 v13, null, 0, v13, s0
	v_cndmask_b32_e64 v10, 0, -1, vcc_lo
	v_cmp_le_u32_e32 vcc_lo, s29, v13
	v_cndmask_b32_e64 v17, 0, -1, vcc_lo
	v_cmp_le_u32_e32 vcc_lo, s28, v9
	;; [unrolled: 2-line block ×3, first 2 shown]
	v_cndmask_b32_e64 v18, 0, -1, vcc_lo
	v_cmp_eq_u32_e32 vcc_lo, s29, v13
	v_cndmask_b32_e32 v10, v17, v10, vcc_lo
	v_add_co_u32 v13, vcc_lo, v11, 1
	v_add_co_ci_u32_e64 v17, null, 0, v12, vcc_lo
	v_cmp_eq_u32_e32 vcc_lo, s29, v2
	v_cndmask_b32_e32 v2, v18, v9, vcc_lo
	v_cmp_ne_u32_e32 vcc_lo, 0, v10
	v_xor_b32_e32 v10, s26, v15
	v_cmp_ne_u32_e64 s0, 0, v2
	v_cndmask_b32_e32 v2, v13, v14, vcc_lo
	v_cndmask_b32_e32 v9, v17, v16, vcc_lo
	v_cndmask_b32_e64 v2, v11, v2, s0
	v_cndmask_b32_e64 v9, v12, v9, s0
	v_xor_b32_e32 v2, v2, v10
	v_xor_b32_e32 v11, v9, v10
	v_sub_co_u32 v9, vcc_lo, v2, v10
	v_sub_co_ci_u32_e64 v10, null, v11, v10, vcc_lo
.LBB58_5:                               ;   in Loop: Header=BB58_3 Depth=1
	s_andn2_saveexec_b32 s0, s33
	s_cbranch_execz .LBB58_2
; %bb.6:                                ;   in Loop: Header=BB58_3 Depth=1
	v_mul_hi_u32 v2, v3, v0
	v_mul_lo_u32 v9, v2, s8
	v_add_nc_u32_e32 v10, 1, v2
	v_sub_nc_u32_e32 v9, v3, v9
	v_subrev_nc_u32_e32 v11, s8, v9
	v_cmp_le_u32_e32 vcc_lo, s8, v9
	v_cndmask_b32_e32 v9, v9, v11, vcc_lo
	v_cndmask_b32_e32 v2, v2, v10, vcc_lo
	v_cmp_le_u32_e32 vcc_lo, s8, v9
	v_add_nc_u32_e32 v10, 1, v2
	v_cndmask_b32_e32 v9, v2, v10, vcc_lo
	v_mov_b32_e32 v10, v1
	s_branch .LBB58_2
.LBB58_7:
	s_endpgm
	.section	.rodata,"a",@progbits
	.p2align	6, 0x0
	.amdhsa_kernel _ZN2at6native12_GLOBAL__N_16kernel17gru_cell_backwardIN3c104HalfEflLi1EEEvNS_4cuda6detail10TensorInfoIT_T1_EESB_SB_SB_SB_SA_SA_
		.amdhsa_group_segment_fixed_size 0
		.amdhsa_private_segment_fixed_size 0
		.amdhsa_kernarg_size 2352
		.amdhsa_user_sgpr_count 6
		.amdhsa_user_sgpr_private_segment_buffer 1
		.amdhsa_user_sgpr_dispatch_ptr 0
		.amdhsa_user_sgpr_queue_ptr 0
		.amdhsa_user_sgpr_kernarg_segment_ptr 1
		.amdhsa_user_sgpr_dispatch_id 0
		.amdhsa_user_sgpr_flat_scratch_init 0
		.amdhsa_user_sgpr_private_segment_size 0
		.amdhsa_wavefront_size32 1
		.amdhsa_uses_dynamic_stack 0
		.amdhsa_system_sgpr_private_segment_wavefront_offset 0
		.amdhsa_system_sgpr_workgroup_id_x 1
		.amdhsa_system_sgpr_workgroup_id_y 0
		.amdhsa_system_sgpr_workgroup_id_z 0
		.amdhsa_system_sgpr_workgroup_info 0
		.amdhsa_system_vgpr_workitem_id 0
		.amdhsa_next_free_vgpr 36
		.amdhsa_next_free_sgpr 43
		.amdhsa_reserve_vcc 1
		.amdhsa_reserve_flat_scratch 0
		.amdhsa_float_round_mode_32 0
		.amdhsa_float_round_mode_16_64 0
		.amdhsa_float_denorm_mode_32 3
		.amdhsa_float_denorm_mode_16_64 3
		.amdhsa_dx10_clamp 1
		.amdhsa_ieee_mode 1
		.amdhsa_fp16_overflow 0
		.amdhsa_workgroup_processor_mode 1
		.amdhsa_memory_ordered 1
		.amdhsa_forward_progress 1
		.amdhsa_shared_vgpr_count 0
		.amdhsa_exception_fp_ieee_invalid_op 0
		.amdhsa_exception_fp_denorm_src 0
		.amdhsa_exception_fp_ieee_div_zero 0
		.amdhsa_exception_fp_ieee_overflow 0
		.amdhsa_exception_fp_ieee_underflow 0
		.amdhsa_exception_fp_ieee_inexact 0
		.amdhsa_exception_int_div_zero 0
	.end_amdhsa_kernel
	.section	.text._ZN2at6native12_GLOBAL__N_16kernel17gru_cell_backwardIN3c104HalfEflLi1EEEvNS_4cuda6detail10TensorInfoIT_T1_EESB_SB_SB_SB_SA_SA_,"axG",@progbits,_ZN2at6native12_GLOBAL__N_16kernel17gru_cell_backwardIN3c104HalfEflLi1EEEvNS_4cuda6detail10TensorInfoIT_T1_EESB_SB_SB_SB_SA_SA_,comdat
.Lfunc_end58:
	.size	_ZN2at6native12_GLOBAL__N_16kernel17gru_cell_backwardIN3c104HalfEflLi1EEEvNS_4cuda6detail10TensorInfoIT_T1_EESB_SB_SB_SB_SA_SA_, .Lfunc_end58-_ZN2at6native12_GLOBAL__N_16kernel17gru_cell_backwardIN3c104HalfEflLi1EEEvNS_4cuda6detail10TensorInfoIT_T1_EESB_SB_SB_SB_SA_SA_
                                        ; -- End function
	.set _ZN2at6native12_GLOBAL__N_16kernel17gru_cell_backwardIN3c104HalfEflLi1EEEvNS_4cuda6detail10TensorInfoIT_T1_EESB_SB_SB_SB_SA_SA_.num_vgpr, 36
	.set _ZN2at6native12_GLOBAL__N_16kernel17gru_cell_backwardIN3c104HalfEflLi1EEEvNS_4cuda6detail10TensorInfoIT_T1_EESB_SB_SB_SB_SA_SA_.num_agpr, 0
	.set _ZN2at6native12_GLOBAL__N_16kernel17gru_cell_backwardIN3c104HalfEflLi1EEEvNS_4cuda6detail10TensorInfoIT_T1_EESB_SB_SB_SB_SA_SA_.numbered_sgpr, 43
	.set _ZN2at6native12_GLOBAL__N_16kernel17gru_cell_backwardIN3c104HalfEflLi1EEEvNS_4cuda6detail10TensorInfoIT_T1_EESB_SB_SB_SB_SA_SA_.num_named_barrier, 0
	.set _ZN2at6native12_GLOBAL__N_16kernel17gru_cell_backwardIN3c104HalfEflLi1EEEvNS_4cuda6detail10TensorInfoIT_T1_EESB_SB_SB_SB_SA_SA_.private_seg_size, 0
	.set _ZN2at6native12_GLOBAL__N_16kernel17gru_cell_backwardIN3c104HalfEflLi1EEEvNS_4cuda6detail10TensorInfoIT_T1_EESB_SB_SB_SB_SA_SA_.uses_vcc, 1
	.set _ZN2at6native12_GLOBAL__N_16kernel17gru_cell_backwardIN3c104HalfEflLi1EEEvNS_4cuda6detail10TensorInfoIT_T1_EESB_SB_SB_SB_SA_SA_.uses_flat_scratch, 0
	.set _ZN2at6native12_GLOBAL__N_16kernel17gru_cell_backwardIN3c104HalfEflLi1EEEvNS_4cuda6detail10TensorInfoIT_T1_EESB_SB_SB_SB_SA_SA_.has_dyn_sized_stack, 0
	.set _ZN2at6native12_GLOBAL__N_16kernel17gru_cell_backwardIN3c104HalfEflLi1EEEvNS_4cuda6detail10TensorInfoIT_T1_EESB_SB_SB_SB_SA_SA_.has_recursion, 0
	.set _ZN2at6native12_GLOBAL__N_16kernel17gru_cell_backwardIN3c104HalfEflLi1EEEvNS_4cuda6detail10TensorInfoIT_T1_EESB_SB_SB_SB_SA_SA_.has_indirect_call, 0
	.section	.AMDGPU.csdata,"",@progbits
; Kernel info:
; codeLenInByte = 2344
; TotalNumSgprs: 45
; NumVgprs: 36
; ScratchSize: 0
; MemoryBound: 0
; FloatMode: 240
; IeeeMode: 1
; LDSByteSize: 0 bytes/workgroup (compile time only)
; SGPRBlocks: 0
; VGPRBlocks: 4
; NumSGPRsForWavesPerEU: 45
; NumVGPRsForWavesPerEU: 36
; Occupancy: 16
; WaveLimiterHint : 1
; COMPUTE_PGM_RSRC2:SCRATCH_EN: 0
; COMPUTE_PGM_RSRC2:USER_SGPR: 6
; COMPUTE_PGM_RSRC2:TRAP_HANDLER: 0
; COMPUTE_PGM_RSRC2:TGID_X_EN: 1
; COMPUTE_PGM_RSRC2:TGID_Y_EN: 0
; COMPUTE_PGM_RSRC2:TGID_Z_EN: 0
; COMPUTE_PGM_RSRC2:TIDIG_COMP_CNT: 0
	.section	.text._ZN2at6native12_GLOBAL__N_16kernel17gru_cell_backwardIN3c104HalfEflLi2EEEvNS_4cuda6detail10TensorInfoIT_T1_EESB_SB_SB_SB_SA_SA_,"axG",@progbits,_ZN2at6native12_GLOBAL__N_16kernel17gru_cell_backwardIN3c104HalfEflLi2EEEvNS_4cuda6detail10TensorInfoIT_T1_EESB_SB_SB_SB_SA_SA_,comdat
	.globl	_ZN2at6native12_GLOBAL__N_16kernel17gru_cell_backwardIN3c104HalfEflLi2EEEvNS_4cuda6detail10TensorInfoIT_T1_EESB_SB_SB_SB_SA_SA_ ; -- Begin function _ZN2at6native12_GLOBAL__N_16kernel17gru_cell_backwardIN3c104HalfEflLi2EEEvNS_4cuda6detail10TensorInfoIT_T1_EESB_SB_SB_SB_SA_SA_
	.p2align	8
	.type	_ZN2at6native12_GLOBAL__N_16kernel17gru_cell_backwardIN3c104HalfEflLi2EEEvNS_4cuda6detail10TensorInfoIT_T1_EESB_SB_SB_SB_SA_SA_,@function
_ZN2at6native12_GLOBAL__N_16kernel17gru_cell_backwardIN3c104HalfEflLi2EEEvNS_4cuda6detail10TensorInfoIT_T1_EESB_SB_SB_SB_SA_SA_: ; @_ZN2at6native12_GLOBAL__N_16kernel17gru_cell_backwardIN3c104HalfEflLi2EEEvNS_4cuda6detail10TensorInfoIT_T1_EESB_SB_SB_SB_SA_SA_
; %bb.0:
	s_clause 0x1
	s_load_dword s2, s[4:5], 0x83c
	s_load_dwordx4 s[8:11], s[4:5], 0x820
	v_mov_b32_e32 v1, 0
	s_add_u32 s0, s4, 0x830
	s_addc_u32 s1, s5, 0
	s_waitcnt lgkmcnt(0)
	s_and_b32 s33, s2, 0xffff
	s_mov_b32 s2, exec_lo
	v_mad_u64_u32 v[3:4], null, s6, s33, v[0:1]
	v_mov_b32_e32 v4, v1
	v_cmpx_gt_i64_e64 s[10:11], v[3:4]
	s_cbranch_execz .LBB59_59
; %bb.1:
	v_cvt_f32_u32_e32 v0, s8
	s_clause 0x5
	s_load_dwordx2 s[2:3], s[4:5], 0x0
	s_load_dwordx2 s[28:29], s[4:5], 0x10
	s_load_dwordx4 s[12:15], s[4:5], 0xd0
	s_load_dwordx2 s[30:31], s[4:5], 0x1a0
	s_load_dwordx2 s[34:35], s[4:5], 0x1b0
	s_load_dwordx4 s[16:19], s[4:5], 0x270
	s_load_dword s0, s[0:1], 0x0
	s_clause 0x8
	s_load_dwordx2 s[36:37], s[4:5], 0x340
	s_load_dwordx2 s[38:39], s[4:5], 0x350
	s_load_dwordx4 s[20:23], s[4:5], 0x410
	s_load_dwordx2 s[40:41], s[4:5], 0x4e0
	s_load_dwordx2 s[42:43], s[4:5], 0x4f0
	s_load_dwordx4 s[24:27], s[4:5], 0x5b0
	s_load_dwordx2 s[44:45], s[4:5], 0x680
	s_load_dwordx2 s[46:47], s[4:5], 0x690
	s_load_dwordx4 s[4:7], s[4:5], 0x750
	s_lshl_b64 s[48:49], s[8:9], 2
	s_lshl_b64 s[50:51], s[8:9], 1
	v_rcp_iflag_f32_e32 v0, v0
	s_mov_b32 s1, 0
	s_mov_b32 s62, 1.0
	v_mul_f32_e32 v0, 0x4f7ffffe, v0
	s_waitcnt lgkmcnt(0)
	s_mul_i32 s33, s0, s33
	s_sub_u32 s58, 0, s38
	s_subb_u32 s59, 0, s39
	v_cvt_u32_f32_e32 v0, v0
	s_sub_u32 s60, 0, s42
	s_subb_u32 s61, 0, s43
	s_ashr_i32 s52, s9, 31
	s_branch .LBB59_3
.LBB59_2:                               ;   in Loop: Header=BB59_3 Depth=1
	s_or_b32 exec_lo, exec_lo, s0
	v_mad_u64_u32 v[7:8], null, s60, v5, v[3:4]
	v_mul_lo_u32 v2, s60, v6
	v_mul_lo_u32 v9, s61, v5
	;; [unrolled: 1-line block ×4, first 2 shown]
	v_mad_u64_u32 v[5:6], null, v5, s24, 0
	v_add_co_u32 v3, vcc_lo, v3, s33
	v_add_co_ci_u32_e64 v4, null, 0, v4, vcc_lo
	v_add3_u32 v2, v9, v8, v2
	v_mul_lo_u32 v9, v7, s27
	v_mad_u64_u32 v[7:8], null, v7, s26, 0
	v_add3_u32 v6, v6, v11, v10
	v_mul_lo_u32 v2, v2, s26
	v_mul_f16_e32 v10, v14, v15
	v_lshlrev_b64 v[5:6], 1, v[5:6]
	v_add3_u32 v8, v8, v9, v2
	v_add_co_u32 v2, vcc_lo, s40, v5
	v_add_co_ci_u32_e64 v6, null, s41, v6, vcc_lo
	v_lshlrev_b64 v[7:8], 1, v[7:8]
	v_cmp_le_i64_e32 vcc_lo, s[10:11], v[3:4]
	v_add_co_u32 v5, s0, v2, v7
	v_add_co_ci_u32_e64 v6, null, v6, v8, s0
	s_or_b32 s1, vcc_lo, s1
	global_store_short v[5:6], v10, off
	s_andn2_b32 exec_lo, exec_lo, s1
	s_cbranch_execz .LBB59_59
.LBB59_3:                               ; =>This Inner Loop Header: Depth=1
	v_or_b32_e32 v2, s9, v4
	v_ashrrev_i32_e32 v13, 31, v4
                                        ; implicit-def: $vgpr5_vgpr6
	s_mov_b32 s0, exec_lo
	v_cmpx_ne_u64_e32 0, v[1:2]
	s_xor_b32 s56, exec_lo, s0
	s_cbranch_execz .LBB59_5
; %bb.4:                                ;   in Loop: Header=BB59_3 Depth=1
	s_add_u32 s54, s8, s52
	s_mov_b32 s53, s52
	s_addc_u32 s55, s9, s52
	v_add_co_u32 v6, vcc_lo, v3, v13
	s_xor_b64 s[54:55], s[54:55], s[52:53]
	v_add_co_ci_u32_e64 v7, null, v4, v13, vcc_lo
	v_cvt_f32_u32_e32 v2, s54
	v_cvt_f32_u32_e32 v5, s55
	s_sub_u32 s57, 0, s54
	s_subb_u32 s63, 0, s55
	v_xor_b32_e32 v11, v7, v13
	v_fmac_f32_e32 v2, 0x4f800000, v5
	v_rcp_f32_e32 v2, v2
	v_mul_f32_e32 v2, 0x5f7ffffc, v2
	v_mul_f32_e32 v5, 0x2f800000, v2
	v_trunc_f32_e32 v5, v5
	v_fmac_f32_e32 v2, 0xcf800000, v5
	v_cvt_u32_f32_e32 v5, v5
	v_cvt_u32_f32_e32 v2, v2
	v_readfirstlane_b32 s0, v5
	v_readfirstlane_b32 s53, v2
	s_mul_i32 s64, s57, s0
	v_xor_b32_e32 v2, v6, v13
	s_mul_hi_u32 s66, s57, s53
	s_mul_i32 s65, s63, s53
	s_add_i32 s64, s66, s64
	s_mul_i32 s67, s57, s53
	s_add_i32 s64, s64, s65
	s_mul_hi_u32 s66, s53, s67
	s_mul_i32 s69, s53, s64
	s_mul_hi_u32 s68, s0, s67
	s_mul_i32 s65, s0, s67
	s_mul_hi_u32 s67, s53, s64
	s_add_u32 s66, s66, s69
	s_addc_u32 s67, 0, s67
	s_mul_hi_u32 s70, s0, s64
	s_add_u32 s65, s66, s65
	s_mul_i32 s64, s0, s64
	s_addc_u32 s65, s67, s68
	s_addc_u32 s66, s70, 0
	s_add_u32 s64, s65, s64
	s_addc_u32 s65, 0, s66
	s_add_u32 s53, s53, s64
	s_cselect_b32 s64, -1, 0
	s_mul_hi_u32 s66, s57, s53
	s_cmp_lg_u32 s64, 0
	s_mul_i32 s64, s57, s53
	s_addc_u32 s0, s0, s65
	s_mul_i32 s63, s63, s53
	s_mul_i32 s57, s57, s0
	s_mul_hi_u32 s65, s53, s64
	s_add_i32 s57, s66, s57
	s_mul_hi_u32 s66, s0, s64
	s_add_i32 s57, s57, s63
	s_mul_i32 s63, s0, s64
	s_mul_i32 s68, s53, s57
	s_mul_hi_u32 s67, s53, s57
	s_add_u32 s65, s65, s68
	s_addc_u32 s67, 0, s67
	s_mul_hi_u32 s64, s0, s57
	s_add_u32 s63, s65, s63
	s_mul_i32 s57, s0, s57
	s_addc_u32 s63, s67, s66
	s_addc_u32 s64, s64, 0
	s_add_u32 s57, s63, s57
	s_addc_u32 s63, 0, s64
	s_add_u32 s53, s53, s57
	s_cselect_b32 s57, -1, 0
	v_mul_hi_u32 v12, v2, s53
	s_cmp_lg_u32 s57, 0
	v_mad_u64_u32 v[7:8], null, v11, s53, 0
	s_addc_u32 s0, s0, s63
	v_mad_u64_u32 v[5:6], null, v2, s0, 0
	v_mad_u64_u32 v[9:10], null, v11, s0, 0
	v_add_co_u32 v5, vcc_lo, v12, v5
	v_add_co_ci_u32_e64 v6, null, 0, v6, vcc_lo
	v_add_co_u32 v5, vcc_lo, v5, v7
	v_add_co_ci_u32_e32 v5, vcc_lo, v6, v8, vcc_lo
	v_add_co_ci_u32_e32 v6, vcc_lo, 0, v10, vcc_lo
	v_add_co_u32 v7, vcc_lo, v5, v9
	v_add_co_ci_u32_e64 v8, null, 0, v6, vcc_lo
	v_mul_lo_u32 v9, s55, v7
	v_mad_u64_u32 v[5:6], null, s54, v7, 0
	v_mul_lo_u32 v10, s54, v8
	v_sub_co_u32 v2, vcc_lo, v2, v5
	v_add3_u32 v6, v6, v10, v9
	v_sub_nc_u32_e32 v9, v11, v6
	v_sub_co_ci_u32_e64 v6, null, v11, v6, vcc_lo
	v_subrev_co_ci_u32_e64 v5, null, s55, v9, vcc_lo
	v_add_co_u32 v9, s0, v7, 2
	v_add_co_ci_u32_e64 v10, null, 0, v8, s0
	v_sub_co_u32 v12, s0, v2, s54
	v_subrev_co_ci_u32_e64 v5, null, 0, v5, s0
	v_cmp_le_u32_e32 vcc_lo, s54, v12
	v_cndmask_b32_e64 v11, 0, -1, vcc_lo
	v_cmp_le_u32_e32 vcc_lo, s55, v5
	v_cndmask_b32_e64 v12, 0, -1, vcc_lo
	;; [unrolled: 2-line block ×4, first 2 shown]
	v_cmp_eq_u32_e32 vcc_lo, s55, v5
	v_cndmask_b32_e32 v5, v12, v11, vcc_lo
	v_add_co_u32 v11, vcc_lo, v7, 1
	v_add_co_ci_u32_e64 v12, null, 0, v8, vcc_lo
	v_cmp_eq_u32_e32 vcc_lo, s55, v6
	v_xor_b32_e32 v6, s52, v13
	v_cndmask_b32_e32 v2, v14, v2, vcc_lo
	v_cmp_ne_u32_e32 vcc_lo, 0, v5
	v_cmp_ne_u32_e64 s0, 0, v2
	v_cndmask_b32_e32 v2, v11, v9, vcc_lo
	v_cndmask_b32_e32 v5, v12, v10, vcc_lo
	v_cndmask_b32_e64 v2, v7, v2, s0
	v_cndmask_b32_e64 v5, v8, v5, s0
	v_xor_b32_e32 v2, v2, v6
	v_xor_b32_e32 v7, v5, v6
	v_sub_co_u32 v5, vcc_lo, v2, v6
	v_sub_co_ci_u32_e64 v6, null, v7, v6, vcc_lo
.LBB59_5:                               ;   in Loop: Header=BB59_3 Depth=1
	s_andn2_saveexec_b32 s0, s56
	s_cbranch_execz .LBB59_7
; %bb.6:                                ;   in Loop: Header=BB59_3 Depth=1
	s_sub_i32 s53, 0, s8
	v_mul_lo_u32 v2, s53, v0
	v_mul_hi_u32 v2, v0, v2
	v_add_nc_u32_e32 v2, v0, v2
	v_mul_hi_u32 v2, v3, v2
	v_mul_lo_u32 v5, v2, s8
	v_add_nc_u32_e32 v6, 1, v2
	v_sub_nc_u32_e32 v5, v3, v5
	v_subrev_nc_u32_e32 v7, s8, v5
	v_cmp_le_u32_e32 vcc_lo, s8, v5
	v_cndmask_b32_e32 v5, v5, v7, vcc_lo
	v_cndmask_b32_e32 v2, v2, v6, vcc_lo
	v_cmp_le_u32_e32 vcc_lo, s8, v5
	v_add_nc_u32_e32 v6, 1, v2
	v_cndmask_b32_e32 v5, v2, v6, vcc_lo
	v_mov_b32_e32 v6, v1
.LBB59_7:                               ;   in Loop: Header=BB59_3 Depth=1
	s_or_b32 exec_lo, exec_lo, s0
	v_mul_lo_u32 v2, s49, v5
	v_mul_lo_u32 v9, s48, v6
	v_mad_u64_u32 v[7:8], null, s48, v5, 0
	s_mov_b32 s0, exec_lo
	v_add3_u32 v8, v8, v9, v2
	v_add_co_u32 v11, vcc_lo, v3, v7
                                        ; implicit-def: $vgpr9_vgpr10
	v_add_co_ci_u32_e64 v12, null, v4, v8, vcc_lo
	v_or_b32_e32 v2, s47, v12
	v_cmpx_ne_u64_e32 0, v[1:2]
	s_xor_b32 s53, exec_lo, s0
	s_cbranch_execz .LBB59_9
; %bb.8:                                ;   in Loop: Header=BB59_3 Depth=1
	s_ashr_i32 s54, s47, 31
	v_ashrrev_i32_e32 v16, 31, v12
	s_add_u32 s56, s46, s54
	s_mov_b32 s55, s54
	s_addc_u32 s57, s47, s54
	s_xor_b64 s[56:57], s[56:57], s[54:55]
	v_add_co_u32 v10, vcc_lo, v11, v16
	v_cvt_f32_u32_e32 v2, s56
	v_cvt_f32_u32_e32 v9, s57
	s_sub_u32 s63, 0, s56
	s_subb_u32 s64, 0, s57
	v_add_co_ci_u32_e64 v11, null, v12, v16, vcc_lo
	v_fmac_f32_e32 v2, 0x4f800000, v9
	v_xor_b32_e32 v17, v11, v16
	v_rcp_f32_e32 v2, v2
	v_mul_f32_e32 v2, 0x5f7ffffc, v2
	v_mul_f32_e32 v9, 0x2f800000, v2
	v_trunc_f32_e32 v9, v9
	v_fmac_f32_e32 v2, 0xcf800000, v9
	v_cvt_u32_f32_e32 v9, v9
	v_cvt_u32_f32_e32 v2, v2
	v_readfirstlane_b32 s0, v9
	v_readfirstlane_b32 s55, v2
	s_mul_i32 s65, s63, s0
	v_xor_b32_e32 v2, v10, v16
	s_mul_hi_u32 s67, s63, s55
	s_mul_i32 s66, s64, s55
	s_add_i32 s65, s67, s65
	s_mul_i32 s68, s63, s55
	s_add_i32 s65, s65, s66
	s_mul_hi_u32 s67, s55, s68
	s_mul_i32 s70, s55, s65
	s_mul_hi_u32 s69, s0, s68
	s_mul_i32 s66, s0, s68
	s_mul_hi_u32 s68, s55, s65
	s_add_u32 s67, s67, s70
	s_addc_u32 s68, 0, s68
	s_mul_hi_u32 s71, s0, s65
	s_add_u32 s66, s67, s66
	s_mul_i32 s65, s0, s65
	s_addc_u32 s66, s68, s69
	s_addc_u32 s67, s71, 0
	s_add_u32 s65, s66, s65
	s_addc_u32 s66, 0, s67
	s_add_u32 s55, s55, s65
	s_cselect_b32 s65, -1, 0
	s_mul_hi_u32 s67, s63, s55
	s_cmp_lg_u32 s65, 0
	s_mul_i32 s65, s63, s55
	s_addc_u32 s0, s0, s66
	s_mul_i32 s64, s64, s55
	s_mul_i32 s63, s63, s0
	s_mul_hi_u32 s66, s55, s65
	s_add_i32 s63, s67, s63
	s_mul_hi_u32 s67, s0, s65
	s_add_i32 s63, s63, s64
	s_mul_i32 s64, s0, s65
	s_mul_i32 s69, s55, s63
	s_mul_hi_u32 s68, s55, s63
	s_add_u32 s66, s66, s69
	s_addc_u32 s68, 0, s68
	s_mul_hi_u32 s65, s0, s63
	s_add_u32 s64, s66, s64
	s_mul_i32 s63, s0, s63
	s_addc_u32 s64, s68, s67
	s_addc_u32 s65, s65, 0
	s_add_u32 s63, s64, s63
	s_addc_u32 s64, 0, s65
	s_add_u32 s55, s55, s63
	s_cselect_b32 s63, -1, 0
	v_mul_hi_u32 v18, v2, s55
	s_cmp_lg_u32 s63, 0
	v_mad_u64_u32 v[11:12], null, v17, s55, 0
	s_addc_u32 s0, s0, s64
	v_mad_u64_u32 v[9:10], null, v2, s0, 0
	v_mad_u64_u32 v[14:15], null, v17, s0, 0
	v_add_co_u32 v9, vcc_lo, v18, v9
	v_add_co_ci_u32_e64 v10, null, 0, v10, vcc_lo
	v_add_co_u32 v9, vcc_lo, v9, v11
	v_add_co_ci_u32_e32 v9, vcc_lo, v10, v12, vcc_lo
	v_add_co_ci_u32_e32 v10, vcc_lo, 0, v15, vcc_lo
	v_add_co_u32 v11, vcc_lo, v9, v14
	v_add_co_ci_u32_e64 v12, null, 0, v10, vcc_lo
	v_mul_lo_u32 v14, s57, v11
	v_mad_u64_u32 v[9:10], null, s56, v11, 0
	v_mul_lo_u32 v15, s56, v12
	v_sub_co_u32 v2, vcc_lo, v2, v9
	v_add3_u32 v10, v10, v15, v14
	v_sub_nc_u32_e32 v14, v17, v10
	v_sub_co_ci_u32_e64 v10, null, v17, v10, vcc_lo
	v_subrev_co_ci_u32_e64 v9, null, s57, v14, vcc_lo
	v_add_co_u32 v14, s0, v11, 2
	v_add_co_ci_u32_e64 v15, null, 0, v12, s0
	v_sub_co_u32 v18, s0, v2, s56
	v_subrev_co_ci_u32_e64 v9, null, 0, v9, s0
	v_cmp_le_u32_e32 vcc_lo, s56, v18
	v_cndmask_b32_e64 v17, 0, -1, vcc_lo
	v_cmp_le_u32_e32 vcc_lo, s57, v9
	v_cndmask_b32_e64 v18, 0, -1, vcc_lo
	;; [unrolled: 2-line block ×4, first 2 shown]
	v_cmp_eq_u32_e32 vcc_lo, s57, v9
	v_cndmask_b32_e32 v9, v18, v17, vcc_lo
	v_add_co_u32 v17, vcc_lo, v11, 1
	v_add_co_ci_u32_e64 v18, null, 0, v12, vcc_lo
	v_cmp_eq_u32_e32 vcc_lo, s57, v10
	v_xor_b32_e32 v10, s54, v16
	v_cndmask_b32_e32 v2, v19, v2, vcc_lo
	v_cmp_ne_u32_e32 vcc_lo, 0, v9
	v_cmp_ne_u32_e64 s0, 0, v2
	v_cndmask_b32_e32 v2, v17, v14, vcc_lo
	v_cndmask_b32_e32 v9, v18, v15, vcc_lo
	v_cndmask_b32_e64 v2, v11, v2, s0
	v_cndmask_b32_e64 v9, v12, v9, s0
	v_xor_b32_e32 v2, v2, v10
	v_xor_b32_e32 v11, v9, v10
	v_sub_co_u32 v9, vcc_lo, v2, v10
	v_sub_co_ci_u32_e64 v10, null, v11, v10, vcc_lo
                                        ; implicit-def: $vgpr11
.LBB59_9:                               ;   in Loop: Header=BB59_3 Depth=1
	s_or_saveexec_b32 s0, s53
	v_cvt_f32_u32_e32 v15, s46
	s_xor_b32 exec_lo, exec_lo, s0
	s_cbranch_execz .LBB59_11
; %bb.10:                               ;   in Loop: Header=BB59_3 Depth=1
	v_rcp_iflag_f32_e32 v2, v15
	s_sub_i32 s53, 0, s46
	v_mul_f32_e32 v2, 0x4f7ffffe, v2
	v_cvt_u32_f32_e32 v2, v2
	v_mul_lo_u32 v9, s53, v2
	v_mul_hi_u32 v9, v2, v9
	v_add_nc_u32_e32 v2, v2, v9
	v_mul_hi_u32 v2, v11, v2
	v_mul_lo_u32 v9, v2, s46
	v_add_nc_u32_e32 v10, 1, v2
	v_sub_nc_u32_e32 v9, v11, v9
	v_subrev_nc_u32_e32 v11, s46, v9
	v_cmp_le_u32_e32 vcc_lo, s46, v9
	v_cndmask_b32_e32 v9, v9, v11, vcc_lo
	v_cndmask_b32_e32 v2, v2, v10, vcc_lo
	v_cmp_le_u32_e32 vcc_lo, s46, v9
	v_add_nc_u32_e32 v10, 1, v2
	v_cndmask_b32_e32 v9, v2, v10, vcc_lo
	v_mov_b32_e32 v10, v1
.LBB59_11:                              ;   in Loop: Header=BB59_3 Depth=1
	s_or_b32 exec_lo, exec_lo, s0
	v_mul_lo_u32 v2, v10, s46
	v_mul_lo_u32 v14, v9, s47
	v_mad_u64_u32 v[11:12], null, v9, s46, 0
	s_mov_b32 s0, exec_lo
	v_add3_u32 v2, v12, v14, v2
	v_sub_co_u32 v7, vcc_lo, v7, v11
	v_mul_lo_u32 v12, v10, s4
	v_mul_lo_u32 v11, v9, s5
	v_sub_co_ci_u32_e64 v2, null, v8, v2, vcc_lo
	v_add_co_u32 v10, vcc_lo, v3, v7
	v_mad_u64_u32 v[7:8], null, v9, s4, 0
	v_add_co_ci_u32_e64 v2, null, v4, v2, vcc_lo
	v_mul_lo_u32 v14, v10, s7
	v_mad_u64_u32 v[9:10], null, v10, s6, 0
	v_mul_lo_u32 v2, v2, s6
	v_add3_u32 v8, v8, v11, v12
	v_lshlrev_b64 v[7:8], 1, v[7:8]
	v_add3_u32 v10, v10, v14, v2
	v_add_co_u32 v2, vcc_lo, s44, v7
	v_lshlrev_b64 v[9:10], 1, v[9:10]
	v_add_co_ci_u32_e64 v8, null, s45, v8, vcc_lo
	v_add_co_u32 v7, vcc_lo, v2, v9
	v_add_co_ci_u32_e64 v8, null, v8, v10, vcc_lo
	v_alignbit_b32 v2, v6, v5, 30
	global_load_ushort v16, v[7:8], off
	v_lshlrev_b64 v[7:8], 2, v[5:6]
	v_mul_lo_u32 v2, s8, v2
	v_mul_lo_u32 v11, s9, v7
	v_mad_u64_u32 v[9:10], null, s8, v7, s[8:9]
	v_add3_u32 v10, v11, v10, v2
	v_add_co_u32 v14, vcc_lo, v3, v9
                                        ; implicit-def: $vgpr11_vgpr12
	v_add_co_ci_u32_e64 v17, null, v4, v10, vcc_lo
	v_or_b32_e32 v2, s47, v17
	v_cmpx_ne_u64_e32 0, v[1:2]
	s_xor_b32 s53, exec_lo, s0
	s_cbranch_execz .LBB59_13
; %bb.12:                               ;   in Loop: Header=BB59_3 Depth=1
	s_ashr_i32 s54, s47, 31
	v_ashrrev_i32_e32 v21, 31, v17
	s_add_u32 s56, s46, s54
	s_mov_b32 s55, s54
	s_addc_u32 s57, s47, s54
	s_xor_b64 s[56:57], s[56:57], s[54:55]
	v_add_co_u32 v12, vcc_lo, v14, v21
	v_cvt_f32_u32_e32 v2, s56
	v_cvt_f32_u32_e32 v11, s57
	s_sub_u32 s63, 0, s56
	s_subb_u32 s64, 0, s57
	v_add_co_ci_u32_e64 v14, null, v17, v21, vcc_lo
	v_fmac_f32_e32 v2, 0x4f800000, v11
	v_xor_b32_e32 v14, v14, v21
	v_rcp_f32_e32 v2, v2
	v_mul_f32_e32 v2, 0x5f7ffffc, v2
	v_mul_f32_e32 v11, 0x2f800000, v2
	v_trunc_f32_e32 v11, v11
	v_fmac_f32_e32 v2, 0xcf800000, v11
	v_cvt_u32_f32_e32 v11, v11
	v_cvt_u32_f32_e32 v2, v2
	v_readfirstlane_b32 s0, v11
	v_readfirstlane_b32 s55, v2
	s_mul_i32 s65, s63, s0
	v_xor_b32_e32 v2, v12, v21
	s_mul_hi_u32 s67, s63, s55
	s_mul_i32 s66, s64, s55
	s_add_i32 s65, s67, s65
	s_mul_i32 s68, s63, s55
	s_add_i32 s65, s65, s66
	s_mul_hi_u32 s67, s55, s68
	s_mul_i32 s70, s55, s65
	s_mul_hi_u32 s69, s0, s68
	s_mul_i32 s66, s0, s68
	s_mul_hi_u32 s68, s55, s65
	s_add_u32 s67, s67, s70
	s_addc_u32 s68, 0, s68
	s_mul_hi_u32 s71, s0, s65
	s_add_u32 s66, s67, s66
	s_mul_i32 s65, s0, s65
	s_addc_u32 s66, s68, s69
	s_addc_u32 s67, s71, 0
	s_add_u32 s65, s66, s65
	s_addc_u32 s66, 0, s67
	s_add_u32 s55, s55, s65
	s_cselect_b32 s65, -1, 0
	s_mul_hi_u32 s67, s63, s55
	s_cmp_lg_u32 s65, 0
	s_mul_i32 s65, s63, s55
	s_addc_u32 s0, s0, s66
	s_mul_i32 s64, s64, s55
	s_mul_i32 s63, s63, s0
	s_mul_hi_u32 s66, s55, s65
	s_add_i32 s63, s67, s63
	s_mul_hi_u32 s67, s0, s65
	s_add_i32 s63, s63, s64
	s_mul_i32 s64, s0, s65
	s_mul_i32 s69, s55, s63
	s_mul_hi_u32 s68, s55, s63
	s_add_u32 s66, s66, s69
	s_addc_u32 s68, 0, s68
	s_mul_hi_u32 s65, s0, s63
	s_add_u32 s64, s66, s64
	s_mul_i32 s63, s0, s63
	s_addc_u32 s64, s68, s67
	s_addc_u32 s65, s65, 0
	s_add_u32 s63, s64, s63
	s_addc_u32 s64, 0, s65
	s_add_u32 s55, s55, s63
	s_cselect_b32 s63, -1, 0
	v_mul_hi_u32 v22, v2, s55
	s_cmp_lg_u32 s63, 0
	v_mad_u64_u32 v[17:18], null, v14, s55, 0
	s_addc_u32 s0, s0, s64
	v_mad_u64_u32 v[11:12], null, v2, s0, 0
	v_mad_u64_u32 v[19:20], null, v14, s0, 0
	v_add_co_u32 v11, vcc_lo, v22, v11
	v_add_co_ci_u32_e64 v12, null, 0, v12, vcc_lo
	v_add_co_u32 v11, vcc_lo, v11, v17
	v_add_co_ci_u32_e32 v11, vcc_lo, v12, v18, vcc_lo
	v_add_co_ci_u32_e32 v12, vcc_lo, 0, v20, vcc_lo
	v_add_co_u32 v17, vcc_lo, v11, v19
	v_add_co_ci_u32_e64 v18, null, 0, v12, vcc_lo
	v_mul_lo_u32 v19, s57, v17
	v_mad_u64_u32 v[11:12], null, s56, v17, 0
	v_mul_lo_u32 v20, s56, v18
	v_sub_co_u32 v2, vcc_lo, v2, v11
	v_add3_u32 v12, v12, v20, v19
	v_sub_nc_u32_e32 v19, v14, v12
	v_sub_co_ci_u32_e64 v12, null, v14, v12, vcc_lo
	v_subrev_co_ci_u32_e64 v11, null, s57, v19, vcc_lo
	v_add_co_u32 v19, s0, v17, 2
	v_add_co_ci_u32_e64 v20, null, 0, v18, s0
	v_sub_co_u32 v22, s0, v2, s56
	v_subrev_co_ci_u32_e64 v11, null, 0, v11, s0
	v_cmp_le_u32_e32 vcc_lo, s56, v22
	v_cndmask_b32_e64 v14, 0, -1, vcc_lo
	v_cmp_le_u32_e32 vcc_lo, s57, v11
	v_cndmask_b32_e64 v22, 0, -1, vcc_lo
	;; [unrolled: 2-line block ×4, first 2 shown]
	v_cmp_eq_u32_e32 vcc_lo, s57, v11
	v_cndmask_b32_e32 v11, v22, v14, vcc_lo
	v_add_co_u32 v14, vcc_lo, v17, 1
	v_add_co_ci_u32_e64 v22, null, 0, v18, vcc_lo
	v_cmp_eq_u32_e32 vcc_lo, s57, v12
	v_xor_b32_e32 v12, s54, v21
	v_cndmask_b32_e32 v2, v23, v2, vcc_lo
	v_cmp_ne_u32_e32 vcc_lo, 0, v11
	v_cmp_ne_u32_e64 s0, 0, v2
	v_cndmask_b32_e32 v2, v14, v19, vcc_lo
	v_cndmask_b32_e32 v11, v22, v20, vcc_lo
	v_cndmask_b32_e64 v2, v17, v2, s0
	v_cndmask_b32_e64 v11, v18, v11, s0
	v_xor_b32_e32 v2, v2, v12
	v_xor_b32_e32 v14, v11, v12
	v_sub_co_u32 v11, vcc_lo, v2, v12
	v_sub_co_ci_u32_e64 v12, null, v14, v12, vcc_lo
                                        ; implicit-def: $vgpr14
.LBB59_13:                              ;   in Loop: Header=BB59_3 Depth=1
	s_andn2_saveexec_b32 s0, s53
	s_cbranch_execz .LBB59_15
; %bb.14:                               ;   in Loop: Header=BB59_3 Depth=1
	v_rcp_iflag_f32_e32 v2, v15
	s_sub_i32 s53, 0, s46
	v_mul_f32_e32 v2, 0x4f7ffffe, v2
	v_cvt_u32_f32_e32 v2, v2
	v_mul_lo_u32 v11, s53, v2
	v_mul_hi_u32 v11, v2, v11
	v_add_nc_u32_e32 v2, v2, v11
	v_mul_hi_u32 v2, v14, v2
	v_mul_lo_u32 v11, v2, s46
	v_add_nc_u32_e32 v12, 1, v2
	v_sub_nc_u32_e32 v11, v14, v11
	v_subrev_nc_u32_e32 v14, s46, v11
	v_cmp_le_u32_e32 vcc_lo, s46, v11
	v_cndmask_b32_e32 v11, v11, v14, vcc_lo
	v_cndmask_b32_e32 v2, v2, v12, vcc_lo
	v_cmp_le_u32_e32 vcc_lo, s46, v11
	v_add_nc_u32_e32 v12, 1, v2
	v_cndmask_b32_e32 v11, v2, v12, vcc_lo
	v_mov_b32_e32 v12, v1
.LBB59_15:                              ;   in Loop: Header=BB59_3 Depth=1
	s_or_b32 exec_lo, exec_lo, s0
	v_mul_lo_u32 v2, v12, s46
	v_mul_lo_u32 v14, v11, s47
	v_mad_u64_u32 v[17:18], null, v11, s46, 0
	s_mov_b32 s0, exec_lo
	v_add3_u32 v2, v18, v14, v2
	v_sub_co_u32 v9, vcc_lo, v9, v17
	v_mul_lo_u32 v14, v12, s4
	v_mul_lo_u32 v17, v11, s5
	v_sub_co_ci_u32_e64 v2, null, v10, v2, vcc_lo
	v_add_co_u32 v12, vcc_lo, v3, v9
	v_mad_u64_u32 v[9:10], null, v11, s4, 0
	v_add_co_ci_u32_e64 v2, null, v4, v2, vcc_lo
	v_mul_lo_u32 v18, v12, s7
	v_mad_u64_u32 v[11:12], null, v12, s6, 0
	v_mul_lo_u32 v2, v2, s6
	v_add3_u32 v10, v10, v17, v14
	v_lshlrev_b64 v[9:10], 1, v[9:10]
	v_add3_u32 v12, v12, v18, v2
	v_add_co_u32 v2, vcc_lo, s44, v9
	v_lshlrev_b64 v[11:12], 1, v[11:12]
	v_add_co_ci_u32_e64 v10, null, s45, v10, vcc_lo
	v_add_co_u32 v9, vcc_lo, v2, v11
	v_add_co_ci_u32_e64 v10, null, v10, v12, vcc_lo
	v_add_co_u32 v2, vcc_lo, v7, 2
	global_load_ushort v14, v[9:10], off
	v_add_co_ci_u32_e64 v9, null, 0, v8, vcc_lo
	v_mul_lo_u32 v11, s9, v2
	v_mul_lo_u32 v12, s8, v9
	v_mad_u64_u32 v[9:10], null, s8, v2, 0
	v_add3_u32 v10, v10, v12, v11
	v_add_co_u32 v17, vcc_lo, v3, v9
                                        ; implicit-def: $vgpr11_vgpr12
	v_add_co_ci_u32_e64 v18, null, v4, v10, vcc_lo
	v_or_b32_e32 v2, s47, v18
	v_cmpx_ne_u64_e32 0, v[1:2]
	s_xor_b32 s53, exec_lo, s0
	s_cbranch_execz .LBB59_17
; %bb.16:                               ;   in Loop: Header=BB59_3 Depth=1
	s_ashr_i32 s54, s47, 31
	v_ashrrev_i32_e32 v21, 31, v18
	s_add_u32 s56, s46, s54
	s_mov_b32 s55, s54
	s_addc_u32 s57, s47, s54
	s_xor_b64 s[56:57], s[56:57], s[54:55]
	v_add_co_u32 v12, vcc_lo, v17, v21
	v_cvt_f32_u32_e32 v2, s56
	v_cvt_f32_u32_e32 v11, s57
	s_sub_u32 s63, 0, s56
	s_subb_u32 s64, 0, s57
	v_add_co_ci_u32_e64 v17, null, v18, v21, vcc_lo
	v_fmac_f32_e32 v2, 0x4f800000, v11
	v_xor_b32_e32 v22, v17, v21
	v_rcp_f32_e32 v2, v2
	v_mul_f32_e32 v2, 0x5f7ffffc, v2
	v_mul_f32_e32 v11, 0x2f800000, v2
	v_trunc_f32_e32 v11, v11
	v_fmac_f32_e32 v2, 0xcf800000, v11
	v_cvt_u32_f32_e32 v11, v11
	v_cvt_u32_f32_e32 v2, v2
	v_readfirstlane_b32 s0, v11
	v_readfirstlane_b32 s55, v2
	s_mul_i32 s65, s63, s0
	v_xor_b32_e32 v2, v12, v21
	s_mul_hi_u32 s67, s63, s55
	s_mul_i32 s66, s64, s55
	s_add_i32 s65, s67, s65
	s_mul_i32 s68, s63, s55
	s_add_i32 s65, s65, s66
	s_mul_hi_u32 s67, s55, s68
	s_mul_i32 s70, s55, s65
	s_mul_hi_u32 s69, s0, s68
	s_mul_i32 s66, s0, s68
	s_mul_hi_u32 s68, s55, s65
	s_add_u32 s67, s67, s70
	s_addc_u32 s68, 0, s68
	s_mul_hi_u32 s71, s0, s65
	s_add_u32 s66, s67, s66
	s_mul_i32 s65, s0, s65
	s_addc_u32 s66, s68, s69
	s_addc_u32 s67, s71, 0
	s_add_u32 s65, s66, s65
	s_addc_u32 s66, 0, s67
	s_add_u32 s55, s55, s65
	s_cselect_b32 s65, -1, 0
	s_mul_hi_u32 s67, s63, s55
	s_cmp_lg_u32 s65, 0
	s_mul_i32 s65, s63, s55
	s_addc_u32 s0, s0, s66
	s_mul_i32 s64, s64, s55
	s_mul_i32 s63, s63, s0
	s_mul_hi_u32 s66, s55, s65
	s_add_i32 s63, s67, s63
	s_mul_hi_u32 s67, s0, s65
	s_add_i32 s63, s63, s64
	s_mul_i32 s64, s0, s65
	s_mul_i32 s69, s55, s63
	s_mul_hi_u32 s68, s55, s63
	s_add_u32 s66, s66, s69
	s_addc_u32 s68, 0, s68
	s_mul_hi_u32 s65, s0, s63
	s_add_u32 s64, s66, s64
	s_mul_i32 s63, s0, s63
	s_addc_u32 s64, s68, s67
	s_addc_u32 s65, s65, 0
	s_add_u32 s63, s64, s63
	s_addc_u32 s64, 0, s65
	s_add_u32 s55, s55, s63
	s_cselect_b32 s63, -1, 0
	v_mul_hi_u32 v23, v2, s55
	s_cmp_lg_u32 s63, 0
	v_mad_u64_u32 v[17:18], null, v22, s55, 0
	s_addc_u32 s0, s0, s64
	v_mad_u64_u32 v[11:12], null, v2, s0, 0
	v_mad_u64_u32 v[19:20], null, v22, s0, 0
	v_add_co_u32 v11, vcc_lo, v23, v11
	v_add_co_ci_u32_e64 v12, null, 0, v12, vcc_lo
	v_add_co_u32 v11, vcc_lo, v11, v17
	v_add_co_ci_u32_e32 v11, vcc_lo, v12, v18, vcc_lo
	v_add_co_ci_u32_e32 v12, vcc_lo, 0, v20, vcc_lo
	v_add_co_u32 v17, vcc_lo, v11, v19
	v_add_co_ci_u32_e64 v18, null, 0, v12, vcc_lo
	v_mul_lo_u32 v19, s57, v17
	v_mad_u64_u32 v[11:12], null, s56, v17, 0
	v_mul_lo_u32 v20, s56, v18
	v_sub_co_u32 v2, vcc_lo, v2, v11
	v_add3_u32 v12, v12, v20, v19
	v_sub_nc_u32_e32 v19, v22, v12
	v_sub_co_ci_u32_e64 v12, null, v22, v12, vcc_lo
	v_subrev_co_ci_u32_e64 v11, null, s57, v19, vcc_lo
	v_add_co_u32 v19, s0, v17, 2
	v_add_co_ci_u32_e64 v20, null, 0, v18, s0
	v_sub_co_u32 v23, s0, v2, s56
	v_subrev_co_ci_u32_e64 v11, null, 0, v11, s0
	v_cmp_le_u32_e32 vcc_lo, s56, v23
	v_cndmask_b32_e64 v22, 0, -1, vcc_lo
	v_cmp_le_u32_e32 vcc_lo, s57, v11
	v_cndmask_b32_e64 v23, 0, -1, vcc_lo
	;; [unrolled: 2-line block ×4, first 2 shown]
	v_cmp_eq_u32_e32 vcc_lo, s57, v11
	v_cndmask_b32_e32 v11, v23, v22, vcc_lo
	v_add_co_u32 v22, vcc_lo, v17, 1
	v_add_co_ci_u32_e64 v23, null, 0, v18, vcc_lo
	v_cmp_eq_u32_e32 vcc_lo, s57, v12
	v_xor_b32_e32 v12, s54, v21
	v_cndmask_b32_e32 v2, v24, v2, vcc_lo
	v_cmp_ne_u32_e32 vcc_lo, 0, v11
	v_cmp_ne_u32_e64 s0, 0, v2
	v_cndmask_b32_e32 v2, v22, v19, vcc_lo
	v_cndmask_b32_e32 v11, v23, v20, vcc_lo
	v_cndmask_b32_e64 v2, v17, v2, s0
	v_cndmask_b32_e64 v11, v18, v11, s0
	v_xor_b32_e32 v2, v2, v12
	v_xor_b32_e32 v17, v11, v12
	v_sub_co_u32 v11, vcc_lo, v2, v12
	v_sub_co_ci_u32_e64 v12, null, v17, v12, vcc_lo
                                        ; implicit-def: $vgpr17
.LBB59_17:                              ;   in Loop: Header=BB59_3 Depth=1
	s_andn2_saveexec_b32 s0, s53
	s_cbranch_execz .LBB59_19
; %bb.18:                               ;   in Loop: Header=BB59_3 Depth=1
	v_rcp_iflag_f32_e32 v2, v15
	s_sub_i32 s53, 0, s46
	v_mul_f32_e32 v2, 0x4f7ffffe, v2
	v_cvt_u32_f32_e32 v2, v2
	v_mul_lo_u32 v11, s53, v2
	v_mul_hi_u32 v11, v2, v11
	v_add_nc_u32_e32 v2, v2, v11
	v_mul_hi_u32 v2, v17, v2
	v_mul_lo_u32 v11, v2, s46
	v_add_nc_u32_e32 v12, 1, v2
	v_sub_nc_u32_e32 v11, v17, v11
	v_subrev_nc_u32_e32 v17, s46, v11
	v_cmp_le_u32_e32 vcc_lo, s46, v11
	v_cndmask_b32_e32 v11, v11, v17, vcc_lo
	v_cndmask_b32_e32 v2, v2, v12, vcc_lo
	v_cmp_le_u32_e32 vcc_lo, s46, v11
	v_add_nc_u32_e32 v12, 1, v2
	v_cndmask_b32_e32 v11, v2, v12, vcc_lo
	v_mov_b32_e32 v12, v1
.LBB59_19:                              ;   in Loop: Header=BB59_3 Depth=1
	s_or_b32 exec_lo, exec_lo, s0
	v_mul_lo_u32 v2, v12, s46
	v_mul_lo_u32 v19, v11, s47
	v_mad_u64_u32 v[17:18], null, v11, s46, 0
	s_mov_b32 s0, exec_lo
	v_add3_u32 v2, v18, v19, v2
	v_sub_co_u32 v9, vcc_lo, v9, v17
	v_mul_lo_u32 v18, v12, s4
	v_mul_lo_u32 v17, v11, s5
	v_sub_co_ci_u32_e64 v2, null, v10, v2, vcc_lo
	v_add_co_u32 v12, vcc_lo, v3, v9
	v_mad_u64_u32 v[9:10], null, v11, s4, 0
	v_add_co_ci_u32_e64 v2, null, v4, v2, vcc_lo
	v_mul_lo_u32 v19, v12, s7
	v_mad_u64_u32 v[11:12], null, v12, s6, 0
	v_mul_lo_u32 v2, v2, s6
	v_add3_u32 v10, v10, v17, v18
	v_lshlrev_b64 v[9:10], 1, v[9:10]
	v_add3_u32 v12, v12, v19, v2
	v_add_co_u32 v2, vcc_lo, s44, v9
	v_lshlrev_b64 v[11:12], 1, v[11:12]
	v_add_co_ci_u32_e64 v10, null, s45, v10, vcc_lo
	v_add_co_u32 v9, vcc_lo, v2, v11
	v_add_co_ci_u32_e64 v10, null, v10, v12, vcc_lo
	v_add_co_u32 v2, vcc_lo, v7, 3
	global_load_ushort v19, v[9:10], off
	v_add_co_ci_u32_e64 v9, null, 0, v8, vcc_lo
	v_mul_lo_u32 v11, s9, v2
	v_mul_lo_u32 v12, s8, v9
	v_mad_u64_u32 v[9:10], null, s8, v2, 0
	v_add3_u32 v10, v10, v12, v11
	v_add_co_u32 v17, vcc_lo, v3, v9
                                        ; implicit-def: $vgpr11_vgpr12
	v_add_co_ci_u32_e64 v18, null, v4, v10, vcc_lo
	v_or_b32_e32 v2, s47, v18
	v_cmpx_ne_u64_e32 0, v[1:2]
	s_xor_b32 s53, exec_lo, s0
	s_cbranch_execz .LBB59_21
; %bb.20:                               ;   in Loop: Header=BB59_3 Depth=1
	s_ashr_i32 s54, s47, 31
	v_ashrrev_i32_e32 v22, 31, v18
	s_add_u32 s56, s46, s54
	s_mov_b32 s55, s54
	s_addc_u32 s57, s47, s54
	s_xor_b64 s[56:57], s[56:57], s[54:55]
	v_add_co_u32 v12, vcc_lo, v17, v22
	v_cvt_f32_u32_e32 v2, s56
	v_cvt_f32_u32_e32 v11, s57
	s_sub_u32 s63, 0, s56
	s_subb_u32 s64, 0, s57
	v_add_co_ci_u32_e64 v17, null, v18, v22, vcc_lo
	v_fmac_f32_e32 v2, 0x4f800000, v11
	v_xor_b32_e32 v23, v17, v22
	v_rcp_f32_e32 v2, v2
	v_mul_f32_e32 v2, 0x5f7ffffc, v2
	v_mul_f32_e32 v11, 0x2f800000, v2
	v_trunc_f32_e32 v11, v11
	v_fmac_f32_e32 v2, 0xcf800000, v11
	v_cvt_u32_f32_e32 v11, v11
	v_cvt_u32_f32_e32 v2, v2
	v_readfirstlane_b32 s0, v11
	v_readfirstlane_b32 s55, v2
	s_mul_i32 s65, s63, s0
	v_xor_b32_e32 v2, v12, v22
	s_mul_hi_u32 s67, s63, s55
	s_mul_i32 s66, s64, s55
	s_add_i32 s65, s67, s65
	s_mul_i32 s68, s63, s55
	s_add_i32 s65, s65, s66
	s_mul_hi_u32 s67, s55, s68
	s_mul_i32 s70, s55, s65
	s_mul_hi_u32 s69, s0, s68
	s_mul_i32 s66, s0, s68
	s_mul_hi_u32 s68, s55, s65
	s_add_u32 s67, s67, s70
	s_addc_u32 s68, 0, s68
	s_mul_hi_u32 s71, s0, s65
	s_add_u32 s66, s67, s66
	s_mul_i32 s65, s0, s65
	s_addc_u32 s66, s68, s69
	s_addc_u32 s67, s71, 0
	s_add_u32 s65, s66, s65
	s_addc_u32 s66, 0, s67
	s_add_u32 s55, s55, s65
	s_cselect_b32 s65, -1, 0
	s_mul_hi_u32 s67, s63, s55
	s_cmp_lg_u32 s65, 0
	s_mul_i32 s65, s63, s55
	s_addc_u32 s0, s0, s66
	s_mul_i32 s64, s64, s55
	s_mul_i32 s63, s63, s0
	s_mul_hi_u32 s66, s55, s65
	s_add_i32 s63, s67, s63
	s_mul_hi_u32 s67, s0, s65
	s_add_i32 s63, s63, s64
	s_mul_i32 s64, s0, s65
	s_mul_i32 s69, s55, s63
	s_mul_hi_u32 s68, s55, s63
	s_add_u32 s66, s66, s69
	s_addc_u32 s68, 0, s68
	s_mul_hi_u32 s65, s0, s63
	s_add_u32 s64, s66, s64
	s_mul_i32 s63, s0, s63
	s_addc_u32 s64, s68, s67
	s_addc_u32 s65, s65, 0
	s_add_u32 s63, s64, s63
	s_addc_u32 s64, 0, s65
	s_add_u32 s55, s55, s63
	s_cselect_b32 s63, -1, 0
	v_mul_hi_u32 v24, v2, s55
	s_cmp_lg_u32 s63, 0
	v_mad_u64_u32 v[17:18], null, v23, s55, 0
	s_addc_u32 s0, s0, s64
	v_mad_u64_u32 v[11:12], null, v2, s0, 0
	v_mad_u64_u32 v[20:21], null, v23, s0, 0
	v_add_co_u32 v11, vcc_lo, v24, v11
	v_add_co_ci_u32_e64 v12, null, 0, v12, vcc_lo
	v_add_co_u32 v11, vcc_lo, v11, v17
	v_add_co_ci_u32_e32 v11, vcc_lo, v12, v18, vcc_lo
	v_add_co_ci_u32_e32 v12, vcc_lo, 0, v21, vcc_lo
	v_add_co_u32 v17, vcc_lo, v11, v20
	v_add_co_ci_u32_e64 v18, null, 0, v12, vcc_lo
	v_mul_lo_u32 v20, s57, v17
	v_mad_u64_u32 v[11:12], null, s56, v17, 0
	v_mul_lo_u32 v21, s56, v18
	v_sub_co_u32 v2, vcc_lo, v2, v11
	v_add3_u32 v12, v12, v21, v20
	v_sub_nc_u32_e32 v20, v23, v12
	v_sub_co_ci_u32_e64 v12, null, v23, v12, vcc_lo
	v_subrev_co_ci_u32_e64 v11, null, s57, v20, vcc_lo
	v_add_co_u32 v20, s0, v17, 2
	v_add_co_ci_u32_e64 v21, null, 0, v18, s0
	v_sub_co_u32 v24, s0, v2, s56
	v_subrev_co_ci_u32_e64 v11, null, 0, v11, s0
	v_cmp_le_u32_e32 vcc_lo, s56, v24
	v_cndmask_b32_e64 v23, 0, -1, vcc_lo
	v_cmp_le_u32_e32 vcc_lo, s57, v11
	v_cndmask_b32_e64 v24, 0, -1, vcc_lo
	;; [unrolled: 2-line block ×4, first 2 shown]
	v_cmp_eq_u32_e32 vcc_lo, s57, v11
	v_cndmask_b32_e32 v11, v24, v23, vcc_lo
	v_add_co_u32 v23, vcc_lo, v17, 1
	v_add_co_ci_u32_e64 v24, null, 0, v18, vcc_lo
	v_cmp_eq_u32_e32 vcc_lo, s57, v12
	v_xor_b32_e32 v12, s54, v22
	v_cndmask_b32_e32 v2, v25, v2, vcc_lo
	v_cmp_ne_u32_e32 vcc_lo, 0, v11
	v_cmp_ne_u32_e64 s0, 0, v2
	v_cndmask_b32_e32 v2, v23, v20, vcc_lo
	v_cndmask_b32_e32 v11, v24, v21, vcc_lo
	v_cndmask_b32_e64 v2, v17, v2, s0
	v_cndmask_b32_e64 v11, v18, v11, s0
	v_xor_b32_e32 v2, v2, v12
	v_xor_b32_e32 v17, v11, v12
	v_sub_co_u32 v11, vcc_lo, v2, v12
	v_sub_co_ci_u32_e64 v12, null, v17, v12, vcc_lo
                                        ; implicit-def: $vgpr17
.LBB59_21:                              ;   in Loop: Header=BB59_3 Depth=1
	s_andn2_saveexec_b32 s0, s53
	s_cbranch_execz .LBB59_23
; %bb.22:                               ;   in Loop: Header=BB59_3 Depth=1
	v_rcp_iflag_f32_e32 v2, v15
	s_sub_i32 s53, 0, s46
	v_mul_f32_e32 v2, 0x4f7ffffe, v2
	v_cvt_u32_f32_e32 v2, v2
	v_mul_lo_u32 v11, s53, v2
	v_mul_hi_u32 v11, v2, v11
	v_add_nc_u32_e32 v2, v2, v11
	v_mul_hi_u32 v2, v17, v2
	v_mul_lo_u32 v11, v2, s46
	v_add_nc_u32_e32 v12, 1, v2
	v_sub_nc_u32_e32 v11, v17, v11
	v_subrev_nc_u32_e32 v17, s46, v11
	v_cmp_le_u32_e32 vcc_lo, s46, v11
	v_cndmask_b32_e32 v11, v11, v17, vcc_lo
	v_cndmask_b32_e32 v2, v2, v12, vcc_lo
	v_cmp_le_u32_e32 vcc_lo, s46, v11
	v_add_nc_u32_e32 v12, 1, v2
	v_cndmask_b32_e32 v11, v2, v12, vcc_lo
	v_mov_b32_e32 v12, v1
.LBB59_23:                              ;   in Loop: Header=BB59_3 Depth=1
	s_or_b32 exec_lo, exec_lo, s0
	v_mul_lo_u32 v2, v12, s46
	v_mul_lo_u32 v20, v11, s47
	v_mad_u64_u32 v[17:18], null, v11, s46, 0
	s_mov_b32 s0, exec_lo
	v_add3_u32 v2, v18, v20, v2
	v_sub_co_u32 v9, vcc_lo, v9, v17
	v_mul_lo_u32 v18, v12, s4
	v_mul_lo_u32 v17, v11, s5
	v_sub_co_ci_u32_e64 v2, null, v10, v2, vcc_lo
	v_add_co_u32 v12, vcc_lo, v3, v9
	v_mad_u64_u32 v[9:10], null, v11, s4, 0
	v_add_co_ci_u32_e64 v2, null, v4, v2, vcc_lo
	v_mul_lo_u32 v20, v12, s7
	v_mad_u64_u32 v[11:12], null, v12, s6, 0
	v_mul_lo_u32 v2, v2, s6
	v_add3_u32 v10, v10, v17, v18
	v_lshlrev_b64 v[9:10], 1, v[9:10]
	v_add3_u32 v12, v12, v20, v2
	v_add_co_u32 v2, vcc_lo, s44, v9
	v_lshlrev_b64 v[11:12], 1, v[11:12]
	v_add_co_ci_u32_e64 v10, null, s45, v10, vcc_lo
	v_add_co_u32 v9, vcc_lo, v2, v11
	v_add_co_ci_u32_e64 v10, null, v10, v12, vcc_lo
	v_add_co_u32 v2, vcc_lo, v7, 4
	v_add_co_ci_u32_e64 v7, null, 0, v8, vcc_lo
	global_load_ushort v20, v[9:10], off
	v_mul_lo_u32 v9, s9, v2
	v_mul_lo_u32 v10, s8, v7
	v_mad_u64_u32 v[7:8], null, s8, v2, 0
	v_add3_u32 v8, v8, v10, v9
	v_add_co_u32 v11, vcc_lo, v3, v7
                                        ; implicit-def: $vgpr9_vgpr10
	v_add_co_ci_u32_e64 v12, null, v4, v8, vcc_lo
	v_or_b32_e32 v2, s47, v12
	v_cmpx_ne_u64_e32 0, v[1:2]
	s_xor_b32 s53, exec_lo, s0
	s_cbranch_execz .LBB59_25
; %bb.24:                               ;   in Loop: Header=BB59_3 Depth=1
	s_ashr_i32 s54, s47, 31
	v_ashrrev_i32_e32 v15, 31, v12
	s_add_u32 s56, s46, s54
	s_mov_b32 s55, s54
	s_addc_u32 s57, s47, s54
	s_xor_b64 s[56:57], s[56:57], s[54:55]
	v_add_co_u32 v10, vcc_lo, v11, v15
	v_cvt_f32_u32_e32 v2, s56
	v_cvt_f32_u32_e32 v9, s57
	s_sub_u32 s63, 0, s56
	s_subb_u32 s64, 0, s57
	v_add_co_ci_u32_e64 v11, null, v12, v15, vcc_lo
	v_fmac_f32_e32 v2, 0x4f800000, v9
	v_xor_b32_e32 v21, v11, v15
	v_rcp_f32_e32 v2, v2
	v_mul_f32_e32 v2, 0x5f7ffffc, v2
	v_mul_f32_e32 v9, 0x2f800000, v2
	v_trunc_f32_e32 v9, v9
	v_fmac_f32_e32 v2, 0xcf800000, v9
	v_cvt_u32_f32_e32 v9, v9
	v_cvt_u32_f32_e32 v2, v2
	v_readfirstlane_b32 s0, v9
	v_readfirstlane_b32 s55, v2
	s_mul_i32 s65, s63, s0
	v_xor_b32_e32 v2, v10, v15
	s_mul_hi_u32 s67, s63, s55
	s_mul_i32 s66, s64, s55
	s_add_i32 s65, s67, s65
	s_mul_i32 s68, s63, s55
	s_add_i32 s65, s65, s66
	s_mul_hi_u32 s67, s55, s68
	s_mul_i32 s70, s55, s65
	s_mul_hi_u32 s69, s0, s68
	s_mul_i32 s66, s0, s68
	s_mul_hi_u32 s68, s55, s65
	s_add_u32 s67, s67, s70
	s_addc_u32 s68, 0, s68
	s_mul_hi_u32 s71, s0, s65
	s_add_u32 s66, s67, s66
	s_mul_i32 s65, s0, s65
	s_addc_u32 s66, s68, s69
	s_addc_u32 s67, s71, 0
	s_add_u32 s65, s66, s65
	s_addc_u32 s66, 0, s67
	s_add_u32 s55, s55, s65
	s_cselect_b32 s65, -1, 0
	s_mul_hi_u32 s67, s63, s55
	s_cmp_lg_u32 s65, 0
	s_mul_i32 s65, s63, s55
	s_addc_u32 s0, s0, s66
	s_mul_i32 s64, s64, s55
	s_mul_i32 s63, s63, s0
	s_mul_hi_u32 s66, s55, s65
	s_add_i32 s63, s67, s63
	s_mul_hi_u32 s67, s0, s65
	s_add_i32 s63, s63, s64
	s_mul_i32 s64, s0, s65
	s_mul_i32 s69, s55, s63
	s_mul_hi_u32 s68, s55, s63
	s_add_u32 s66, s66, s69
	s_addc_u32 s68, 0, s68
	s_mul_hi_u32 s65, s0, s63
	s_add_u32 s64, s66, s64
	s_mul_i32 s63, s0, s63
	s_addc_u32 s64, s68, s67
	s_addc_u32 s65, s65, 0
	s_add_u32 s63, s64, s63
	s_addc_u32 s64, 0, s65
	s_add_u32 s55, s55, s63
	s_cselect_b32 s63, -1, 0
	v_mul_hi_u32 v22, v2, s55
	s_cmp_lg_u32 s63, 0
	v_mad_u64_u32 v[11:12], null, v21, s55, 0
	s_addc_u32 s0, s0, s64
	v_mad_u64_u32 v[9:10], null, v2, s0, 0
	v_mad_u64_u32 v[17:18], null, v21, s0, 0
	v_add_co_u32 v9, vcc_lo, v22, v9
	v_add_co_ci_u32_e64 v10, null, 0, v10, vcc_lo
	v_add_co_u32 v9, vcc_lo, v9, v11
	v_add_co_ci_u32_e32 v9, vcc_lo, v10, v12, vcc_lo
	v_add_co_ci_u32_e32 v10, vcc_lo, 0, v18, vcc_lo
	v_add_co_u32 v11, vcc_lo, v9, v17
	v_add_co_ci_u32_e64 v12, null, 0, v10, vcc_lo
	v_mul_lo_u32 v17, s57, v11
	v_mad_u64_u32 v[9:10], null, s56, v11, 0
	v_mul_lo_u32 v18, s56, v12
	v_sub_co_u32 v2, vcc_lo, v2, v9
	v_add3_u32 v10, v10, v18, v17
	v_sub_nc_u32_e32 v17, v21, v10
	v_sub_co_ci_u32_e64 v10, null, v21, v10, vcc_lo
	v_subrev_co_ci_u32_e64 v9, null, s57, v17, vcc_lo
	v_add_co_u32 v17, s0, v11, 2
	v_add_co_ci_u32_e64 v18, null, 0, v12, s0
	v_sub_co_u32 v22, s0, v2, s56
	v_subrev_co_ci_u32_e64 v9, null, 0, v9, s0
	v_cmp_le_u32_e32 vcc_lo, s56, v22
	v_cndmask_b32_e64 v21, 0, -1, vcc_lo
	v_cmp_le_u32_e32 vcc_lo, s57, v9
	v_cndmask_b32_e64 v22, 0, -1, vcc_lo
	;; [unrolled: 2-line block ×4, first 2 shown]
	v_cmp_eq_u32_e32 vcc_lo, s57, v9
	v_cndmask_b32_e32 v9, v22, v21, vcc_lo
	v_add_co_u32 v21, vcc_lo, v11, 1
	v_add_co_ci_u32_e64 v22, null, 0, v12, vcc_lo
	v_cmp_eq_u32_e32 vcc_lo, s57, v10
	v_xor_b32_e32 v10, s54, v15
                                        ; implicit-def: $vgpr15
	v_cndmask_b32_e32 v2, v23, v2, vcc_lo
	v_cmp_ne_u32_e32 vcc_lo, 0, v9
	v_cmp_ne_u32_e64 s0, 0, v2
	v_cndmask_b32_e32 v2, v21, v17, vcc_lo
	v_cndmask_b32_e32 v9, v22, v18, vcc_lo
	v_cndmask_b32_e64 v2, v11, v2, s0
	v_cndmask_b32_e64 v9, v12, v9, s0
	v_xor_b32_e32 v2, v2, v10
	v_xor_b32_e32 v11, v9, v10
	v_sub_co_u32 v9, vcc_lo, v2, v10
	v_sub_co_ci_u32_e64 v10, null, v11, v10, vcc_lo
                                        ; implicit-def: $vgpr11
.LBB59_25:                              ;   in Loop: Header=BB59_3 Depth=1
	s_andn2_saveexec_b32 s0, s53
	s_cbranch_execz .LBB59_27
; %bb.26:                               ;   in Loop: Header=BB59_3 Depth=1
	v_rcp_iflag_f32_e32 v2, v15
	s_sub_i32 s53, 0, s46
	v_mul_f32_e32 v2, 0x4f7ffffe, v2
	v_cvt_u32_f32_e32 v2, v2
	v_mul_lo_u32 v9, s53, v2
	v_mul_hi_u32 v9, v2, v9
	v_add_nc_u32_e32 v2, v2, v9
	v_mul_hi_u32 v2, v11, v2
	v_mul_lo_u32 v9, v2, s46
	v_add_nc_u32_e32 v10, 1, v2
	v_sub_nc_u32_e32 v9, v11, v9
	v_subrev_nc_u32_e32 v11, s46, v9
	v_cmp_le_u32_e32 vcc_lo, s46, v9
	v_cndmask_b32_e32 v9, v9, v11, vcc_lo
	v_cndmask_b32_e32 v2, v2, v10, vcc_lo
	v_cmp_le_u32_e32 vcc_lo, s46, v9
	v_add_nc_u32_e32 v10, 1, v2
	v_cndmask_b32_e32 v9, v2, v10, vcc_lo
	v_mov_b32_e32 v10, v1
.LBB59_27:                              ;   in Loop: Header=BB59_3 Depth=1
	s_or_b32 exec_lo, exec_lo, s0
	v_mul_lo_u32 v2, v10, s46
	v_mul_lo_u32 v15, v9, s47
	v_mad_u64_u32 v[11:12], null, v9, s46, 0
	s_mov_b32 s0, exec_lo
	v_add3_u32 v2, v12, v15, v2
	v_sub_co_u32 v7, vcc_lo, v7, v11
	v_mul_lo_u32 v12, v10, s4
	v_mul_lo_u32 v11, v9, s5
	v_sub_co_ci_u32_e64 v2, null, v8, v2, vcc_lo
	v_add_co_u32 v10, vcc_lo, v3, v7
	v_mad_u64_u32 v[7:8], null, v9, s4, 0
	v_add_co_ci_u32_e64 v2, null, v4, v2, vcc_lo
	v_mul_lo_u32 v15, v10, s7
	v_mad_u64_u32 v[9:10], null, v10, s6, 0
	v_mul_lo_u32 v2, v2, s6
	v_add3_u32 v8, v8, v11, v12
	v_lshlrev_b64 v[7:8], 1, v[7:8]
	v_add3_u32 v10, v10, v15, v2
	v_add_co_u32 v2, vcc_lo, s44, v7
	v_lshlrev_b64 v[9:10], 1, v[9:10]
	v_add_co_ci_u32_e64 v8, null, s45, v8, vcc_lo
	v_add_co_u32 v7, vcc_lo, v2, v9
	v_add_co_ci_u32_e64 v8, null, v8, v10, vcc_lo
	v_or_b32_e32 v2, s39, v4
	global_load_ushort v9, v[7:8], off
                                        ; implicit-def: $vgpr7_vgpr8
	v_cmpx_ne_u64_e32 0, v[1:2]
	s_xor_b32 s53, exec_lo, s0
	s_cbranch_execz .LBB59_29
; %bb.28:                               ;   in Loop: Header=BB59_3 Depth=1
	s_ashr_i32 s54, s39, 31
	v_add_co_u32 v8, vcc_lo, v3, v13
	s_add_u32 s56, s38, s54
	s_mov_b32 s55, s54
	s_addc_u32 s57, s39, s54
	v_add_co_ci_u32_e64 v10, null, v4, v13, vcc_lo
	s_xor_b64 s[56:57], s[56:57], s[54:55]
	v_cvt_f32_u32_e32 v2, s56
	v_cvt_f32_u32_e32 v7, s57
	s_sub_u32 s63, 0, s56
	s_subb_u32 s64, 0, s57
	v_xor_b32_e32 v12, v10, v13
	v_fmac_f32_e32 v2, 0x4f800000, v7
	v_rcp_f32_e32 v2, v2
	v_mul_f32_e32 v2, 0x5f7ffffc, v2
	v_mul_f32_e32 v7, 0x2f800000, v2
	v_trunc_f32_e32 v7, v7
	v_fmac_f32_e32 v2, 0xcf800000, v7
	v_cvt_u32_f32_e32 v7, v7
	v_cvt_u32_f32_e32 v2, v2
	v_readfirstlane_b32 s0, v7
	v_readfirstlane_b32 s55, v2
	s_mul_i32 s65, s63, s0
	v_xor_b32_e32 v2, v8, v13
	s_mul_hi_u32 s67, s63, s55
	s_mul_i32 s66, s64, s55
	s_add_i32 s65, s67, s65
	s_mul_i32 s68, s63, s55
	s_add_i32 s65, s65, s66
	s_mul_hi_u32 s67, s55, s68
	s_mul_i32 s70, s55, s65
	s_mul_hi_u32 s69, s0, s68
	s_mul_i32 s66, s0, s68
	s_mul_hi_u32 s68, s55, s65
	s_add_u32 s67, s67, s70
	s_addc_u32 s68, 0, s68
	s_mul_hi_u32 s71, s0, s65
	s_add_u32 s66, s67, s66
	s_mul_i32 s65, s0, s65
	s_addc_u32 s66, s68, s69
	s_addc_u32 s67, s71, 0
	s_add_u32 s65, s66, s65
	s_addc_u32 s66, 0, s67
	s_add_u32 s55, s55, s65
	s_cselect_b32 s65, -1, 0
	s_mul_hi_u32 s67, s63, s55
	s_cmp_lg_u32 s65, 0
	s_mul_i32 s65, s63, s55
	s_addc_u32 s0, s0, s66
	s_mul_i32 s64, s64, s55
	s_mul_i32 s63, s63, s0
	s_mul_hi_u32 s66, s55, s65
	s_add_i32 s63, s67, s63
	s_mul_hi_u32 s67, s0, s65
	s_add_i32 s63, s63, s64
	s_mul_i32 s64, s0, s65
	s_mul_i32 s69, s55, s63
	s_mul_hi_u32 s68, s55, s63
	s_add_u32 s66, s66, s69
	s_addc_u32 s68, 0, s68
	s_mul_hi_u32 s65, s0, s63
	s_add_u32 s64, s66, s64
	s_mul_i32 s63, s0, s63
	s_addc_u32 s64, s68, s67
	s_addc_u32 s65, s65, 0
	s_add_u32 s63, s64, s63
	s_addc_u32 s64, 0, s65
	s_add_u32 s55, s55, s63
	s_cselect_b32 s63, -1, 0
	v_mul_hi_u32 v15, v2, s55
	s_cmp_lg_u32 s63, 0
	v_mad_u64_u32 v[10:11], null, v12, s55, 0
	s_addc_u32 s0, s0, s64
	v_mad_u64_u32 v[7:8], null, v2, s0, 0
	v_mad_u64_u32 v[17:18], null, v12, s0, 0
	v_add_co_u32 v7, vcc_lo, v15, v7
	v_add_co_ci_u32_e64 v8, null, 0, v8, vcc_lo
	v_add_co_u32 v7, vcc_lo, v7, v10
	v_add_co_ci_u32_e32 v7, vcc_lo, v8, v11, vcc_lo
	v_add_co_ci_u32_e32 v8, vcc_lo, 0, v18, vcc_lo
	v_add_co_u32 v10, vcc_lo, v7, v17
	v_add_co_ci_u32_e64 v11, null, 0, v8, vcc_lo
	v_mul_lo_u32 v15, s57, v10
	v_mad_u64_u32 v[7:8], null, s56, v10, 0
	v_mul_lo_u32 v17, s56, v11
	v_sub_co_u32 v2, vcc_lo, v2, v7
	v_add3_u32 v8, v8, v17, v15
	v_sub_nc_u32_e32 v15, v12, v8
	v_sub_co_ci_u32_e64 v8, null, v12, v8, vcc_lo
	v_subrev_co_ci_u32_e64 v7, null, s57, v15, vcc_lo
	v_add_co_u32 v15, s0, v10, 2
	v_add_co_ci_u32_e64 v17, null, 0, v11, s0
	v_sub_co_u32 v18, s0, v2, s56
	v_subrev_co_ci_u32_e64 v7, null, 0, v7, s0
	v_cmp_le_u32_e32 vcc_lo, s56, v18
	v_cndmask_b32_e64 v12, 0, -1, vcc_lo
	v_cmp_le_u32_e32 vcc_lo, s57, v7
	v_cndmask_b32_e64 v18, 0, -1, vcc_lo
	;; [unrolled: 2-line block ×4, first 2 shown]
	v_cmp_eq_u32_e32 vcc_lo, s57, v7
	v_cndmask_b32_e32 v7, v18, v12, vcc_lo
	v_add_co_u32 v12, vcc_lo, v10, 1
	v_add_co_ci_u32_e64 v18, null, 0, v11, vcc_lo
	v_cmp_eq_u32_e32 vcc_lo, s57, v8
	v_xor_b32_e32 v8, s54, v13
	v_cndmask_b32_e32 v2, v21, v2, vcc_lo
	v_cmp_ne_u32_e32 vcc_lo, 0, v7
	v_cmp_ne_u32_e64 s0, 0, v2
	v_cndmask_b32_e32 v2, v12, v15, vcc_lo
	v_cndmask_b32_e32 v7, v18, v17, vcc_lo
	v_cndmask_b32_e64 v2, v10, v2, s0
	v_cndmask_b32_e64 v7, v11, v7, s0
	v_xor_b32_e32 v2, v2, v8
	v_xor_b32_e32 v10, v7, v8
	v_sub_co_u32 v7, vcc_lo, v2, v8
	v_sub_co_ci_u32_e64 v8, null, v10, v8, vcc_lo
.LBB59_29:                              ;   in Loop: Header=BB59_3 Depth=1
	s_andn2_saveexec_b32 s0, s53
	s_cbranch_execz .LBB59_31
; %bb.30:                               ;   in Loop: Header=BB59_3 Depth=1
	v_cvt_f32_u32_e32 v2, s38
	s_sub_i32 s53, 0, s38
	v_rcp_iflag_f32_e32 v2, v2
	v_mul_f32_e32 v2, 0x4f7ffffe, v2
	v_cvt_u32_f32_e32 v2, v2
	v_mul_lo_u32 v7, s53, v2
	v_mul_hi_u32 v7, v2, v7
	v_add_nc_u32_e32 v2, v2, v7
	v_mul_hi_u32 v2, v3, v2
	v_mul_lo_u32 v7, v2, s38
	v_add_nc_u32_e32 v8, 1, v2
	v_sub_nc_u32_e32 v7, v3, v7
	v_subrev_nc_u32_e32 v10, s38, v7
	v_cmp_le_u32_e32 vcc_lo, s38, v7
	v_cndmask_b32_e32 v7, v7, v10, vcc_lo
	v_cndmask_b32_e32 v2, v2, v8, vcc_lo
	v_cmp_le_u32_e32 vcc_lo, s38, v7
	v_add_nc_u32_e32 v8, 1, v2
	v_cndmask_b32_e32 v7, v2, v8, vcc_lo
	v_mov_b32_e32 v8, v1
.LBB59_31:                              ;   in Loop: Header=BB59_3 Depth=1
	s_or_b32 exec_lo, exec_lo, s0
	v_mad_u64_u32 v[10:11], null, s58, v7, v[3:4]
	v_mul_lo_u32 v2, s58, v8
	v_mul_lo_u32 v12, s59, v7
	;; [unrolled: 1-line block ×4, first 2 shown]
	v_mad_u64_u32 v[7:8], null, v7, s20, 0
	s_mov_b32 s0, exec_lo
	v_add3_u32 v2, v12, v11, v2
	v_mul_lo_u32 v12, v10, s23
	v_mad_u64_u32 v[10:11], null, v10, s22, 0
	v_add3_u32 v8, v8, v17, v15
	v_mul_lo_u32 v2, v2, s22
	v_lshlrev_b64 v[7:8], 1, v[7:8]
	v_add3_u32 v11, v11, v12, v2
	v_add_co_u32 v2, vcc_lo, s36, v7
	v_add_co_ci_u32_e64 v8, null, s37, v8, vcc_lo
	v_lshlrev_b64 v[10:11], 1, v[10:11]
	v_add_co_u32 v7, vcc_lo, v2, v10
	v_add_co_ci_u32_e64 v8, null, v8, v11, vcc_lo
	v_mul_lo_u32 v2, s51, v5
	v_mul_lo_u32 v10, s50, v6
                                        ; implicit-def: $vgpr11_vgpr12
	global_load_ushort v15, v[7:8], off
	v_mad_u64_u32 v[7:8], null, s50, v5, 0
	v_add3_u32 v8, v8, v10, v2
	v_add_co_u32 v22, vcc_lo, v3, v7
	v_add_co_ci_u32_e64 v23, null, v4, v8, vcc_lo
	v_or_b32_e32 v2, s29, v23
	v_ashrrev_i32_e32 v21, 31, v23
	v_cmpx_ne_u64_e32 0, v[1:2]
	s_xor_b32 s53, exec_lo, s0
	s_cbranch_execz .LBB59_33
; %bb.32:                               ;   in Loop: Header=BB59_3 Depth=1
	s_ashr_i32 s54, s29, 31
	v_add_co_u32 v11, vcc_lo, v22, v21
	s_add_u32 s56, s28, s54
	s_mov_b32 s55, s54
	s_addc_u32 s57, s29, s54
	v_add_co_ci_u32_e64 v12, null, v23, v21, vcc_lo
	s_xor_b64 s[56:57], s[56:57], s[54:55]
	v_cvt_f32_u32_e32 v2, s56
	v_cvt_f32_u32_e32 v10, s57
	s_sub_u32 s63, 0, s56
	s_subb_u32 s64, 0, s57
	v_xor_b32_e32 v12, v12, v21
	v_fmac_f32_e32 v2, 0x4f800000, v10
	v_rcp_f32_e32 v2, v2
	v_mul_f32_e32 v2, 0x5f7ffffc, v2
	v_mul_f32_e32 v10, 0x2f800000, v2
	v_trunc_f32_e32 v10, v10
	v_fmac_f32_e32 v2, 0xcf800000, v10
	v_cvt_u32_f32_e32 v10, v10
	v_cvt_u32_f32_e32 v2, v2
	v_readfirstlane_b32 s0, v10
	v_readfirstlane_b32 s55, v2
	s_mul_i32 s65, s63, s0
	v_xor_b32_e32 v2, v11, v21
	s_mul_hi_u32 s67, s63, s55
	s_mul_i32 s66, s64, s55
	s_add_i32 s65, s67, s65
	s_mul_i32 s68, s63, s55
	s_add_i32 s65, s65, s66
	s_mul_hi_u32 s67, s55, s68
	s_mul_i32 s70, s55, s65
	s_mul_hi_u32 s69, s0, s68
	s_mul_i32 s66, s0, s68
	s_mul_hi_u32 s68, s55, s65
	s_add_u32 s67, s67, s70
	s_addc_u32 s68, 0, s68
	s_mul_hi_u32 s71, s0, s65
	s_add_u32 s66, s67, s66
	s_mul_i32 s65, s0, s65
	s_addc_u32 s66, s68, s69
	s_addc_u32 s67, s71, 0
	s_add_u32 s65, s66, s65
	s_addc_u32 s66, 0, s67
	s_add_u32 s55, s55, s65
	s_cselect_b32 s65, -1, 0
	s_mul_hi_u32 s67, s63, s55
	s_cmp_lg_u32 s65, 0
	s_mul_i32 s65, s63, s55
	s_addc_u32 s0, s0, s66
	s_mul_i32 s64, s64, s55
	s_mul_i32 s63, s63, s0
	s_mul_hi_u32 s66, s55, s65
	s_add_i32 s63, s67, s63
	s_mul_hi_u32 s67, s0, s65
	s_add_i32 s63, s63, s64
	s_mul_i32 s64, s0, s65
	s_mul_i32 s69, s55, s63
	s_mul_hi_u32 s68, s55, s63
	s_add_u32 s66, s66, s69
	s_addc_u32 s68, 0, s68
	s_mul_hi_u32 s65, s0, s63
	s_add_u32 s64, s66, s64
	s_mul_i32 s63, s0, s63
	s_addc_u32 s64, s68, s67
	s_addc_u32 s65, s65, 0
	s_add_u32 s63, s64, s63
	s_addc_u32 s64, 0, s65
	s_add_u32 s55, s55, s63
	s_cselect_b32 s63, -1, 0
	v_mul_hi_u32 v26, v2, s55
	s_cmp_lg_u32 s63, 0
	v_mad_u64_u32 v[17:18], null, v12, s55, 0
	s_addc_u32 s0, s0, s64
	v_mad_u64_u32 v[10:11], null, v2, s0, 0
	v_mad_u64_u32 v[24:25], null, v12, s0, 0
	v_add_co_u32 v10, vcc_lo, v26, v10
	v_add_co_ci_u32_e64 v11, null, 0, v11, vcc_lo
	v_add_co_u32 v10, vcc_lo, v10, v17
	v_add_co_ci_u32_e32 v10, vcc_lo, v11, v18, vcc_lo
	v_add_co_ci_u32_e32 v11, vcc_lo, 0, v25, vcc_lo
	v_add_co_u32 v17, vcc_lo, v10, v24
	v_add_co_ci_u32_e64 v18, null, 0, v11, vcc_lo
	v_mul_lo_u32 v24, s57, v17
	v_mad_u64_u32 v[10:11], null, s56, v17, 0
	v_mul_lo_u32 v25, s56, v18
	v_sub_co_u32 v2, vcc_lo, v2, v10
	v_add3_u32 v11, v11, v25, v24
	v_sub_nc_u32_e32 v24, v12, v11
	v_sub_co_ci_u32_e64 v11, null, v12, v11, vcc_lo
	v_subrev_co_ci_u32_e64 v10, null, s57, v24, vcc_lo
	v_add_co_u32 v24, s0, v17, 2
	v_add_co_ci_u32_e64 v25, null, 0, v18, s0
	v_sub_co_u32 v26, s0, v2, s56
	v_subrev_co_ci_u32_e64 v10, null, 0, v10, s0
	v_cmp_le_u32_e32 vcc_lo, s56, v26
	v_cndmask_b32_e64 v12, 0, -1, vcc_lo
	v_cmp_le_u32_e32 vcc_lo, s57, v10
	v_cndmask_b32_e64 v26, 0, -1, vcc_lo
	;; [unrolled: 2-line block ×4, first 2 shown]
	v_cmp_eq_u32_e32 vcc_lo, s57, v10
	v_cndmask_b32_e32 v10, v26, v12, vcc_lo
	v_add_co_u32 v12, vcc_lo, v17, 1
	v_add_co_ci_u32_e64 v26, null, 0, v18, vcc_lo
	v_cmp_eq_u32_e32 vcc_lo, s57, v11
	v_cndmask_b32_e32 v2, v27, v2, vcc_lo
	v_cmp_ne_u32_e32 vcc_lo, 0, v10
	v_cmp_ne_u32_e64 s0, 0, v2
	v_cndmask_b32_e32 v2, v12, v24, vcc_lo
	v_cndmask_b32_e32 v10, v26, v25, vcc_lo
	v_xor_b32_e32 v12, s54, v21
	v_cndmask_b32_e64 v2, v17, v2, s0
	v_cndmask_b32_e64 v10, v18, v10, s0
	v_xor_b32_e32 v2, v2, v12
	v_xor_b32_e32 v10, v10, v12
	v_sub_co_u32 v11, vcc_lo, v2, v12
	v_sub_co_ci_u32_e64 v12, null, v10, v12, vcc_lo
.LBB59_33:                              ;   in Loop: Header=BB59_3 Depth=1
	s_or_saveexec_b32 s0, s53
	v_cvt_f32_u32_e32 v29, s28
	s_xor_b32 exec_lo, exec_lo, s0
	s_cbranch_execz .LBB59_35
; %bb.34:                               ;   in Loop: Header=BB59_3 Depth=1
	v_rcp_iflag_f32_e32 v2, v29
	s_sub_i32 s53, 0, s28
	v_mul_f32_e32 v2, 0x4f7ffffe, v2
	v_cvt_u32_f32_e32 v2, v2
	v_mul_lo_u32 v10, s53, v2
	v_mul_hi_u32 v10, v2, v10
	v_add_nc_u32_e32 v2, v2, v10
	v_mul_hi_u32 v2, v22, v2
	v_mul_lo_u32 v10, v2, s28
	v_add_nc_u32_e32 v11, 1, v2
	v_sub_nc_u32_e32 v10, v22, v10
	v_subrev_nc_u32_e32 v12, s28, v10
	v_cmp_le_u32_e32 vcc_lo, s28, v10
	v_cndmask_b32_e32 v10, v10, v12, vcc_lo
	v_cndmask_b32_e32 v2, v2, v11, vcc_lo
	v_mov_b32_e32 v12, v1
	v_cmp_le_u32_e32 vcc_lo, s28, v10
	v_add_nc_u32_e32 v11, 1, v2
	v_cndmask_b32_e32 v11, v2, v11, vcc_lo
.LBB59_35:                              ;   in Loop: Header=BB59_3 Depth=1
	s_or_b32 exec_lo, exec_lo, s0
	s_waitcnt vmcnt(4)
	v_cvt_f32_f16_e32 v26, v14
	v_mul_lo_u32 v2, v12, s28
	v_mul_lo_u32 v10, v11, s29
	v_mad_u64_u32 v[24:25], null, v11, s28, 0
	s_waitcnt vmcnt(0)
	v_cvt_f32_f16_e32 v30, v15
	v_sub_f32_e32 v28, 1.0, v26
	v_fma_mix_f32 v18, -v19, v19, s62 op_sel_hi:[1,1,0]
	v_cvt_f32_f16_e32 v9, v9
	v_mul_lo_u32 v33, v12, s12
	v_mul_lo_u32 v34, v11, s13
	v_add3_u32 v2, v25, v10, v2
	v_mul_f32_e32 v10, v28, v30
	v_sub_co_u32 v24, vcc_lo, v7, v24
	v_mad_u64_u32 v[11:12], null, v11, s12, 0
	v_sub_co_ci_u32_e64 v2, null, v8, v2, vcc_lo
	v_mul_f32_e32 v18, v18, v10
	v_add_co_u32 v24, vcc_lo, v3, v24
	v_add_co_ci_u32_e64 v2, null, v4, v2, vcc_lo
	v_mul_f32_e32 v31, v18, v9
	v_lshlrev_b64 v[9:10], 1, v[5:6]
	v_alignbit_b32 v5, v6, v5, 31
	v_mul_lo_u32 v2, v2, s14
	v_mul_lo_u32 v32, v24, s15
	v_mad_u64_u32 v[24:25], null, v24, s14, 0
	v_mul_lo_u32 v35, s8, v5
	v_mul_lo_u32 v36, s9, v9
	v_mad_u64_u32 v[5:6], null, s8, v9, s[8:9]
	v_cvt_f32_f16_e32 v17, v16
	v_add3_u32 v12, v12, v34, v33
	v_add3_u32 v25, v25, v32, v2
	s_mov_b32 s0, exec_lo
	v_sub_f32_e32 v27, 1.0, v17
	v_lshlrev_b64 v[11:12], 1, v[11:12]
	v_add3_u32 v6, v36, v6, v35
	v_mul_f32_e32 v27, v27, v31
	v_lshlrev_b64 v[31:32], 1, v[24:25]
	v_add_co_u32 v24, vcc_lo, v3, v5
	v_add_co_ci_u32_e64 v25, null, v4, v6, vcc_lo
	v_add_co_u32 v11, vcc_lo, s2, v11
	v_add_co_ci_u32_e64 v12, null, s3, v12, vcc_lo
	v_fma_mixlo_f16 v27, v27, v16, 0 op_sel_hi:[0,1,0]
	v_add_co_u32 v11, vcc_lo, v11, v31
	v_or_b32_e32 v2, s29, v25
	v_add_co_ci_u32_e64 v12, null, v12, v32, vcc_lo
	v_ashrrev_i32_e32 v16, 31, v25
	global_store_short v[11:12], v27, off
                                        ; implicit-def: $vgpr11_vgpr12
	v_cmpx_ne_u64_e32 0, v[1:2]
	s_xor_b32 s53, exec_lo, s0
	s_cbranch_execz .LBB59_37
; %bb.36:                               ;   in Loop: Header=BB59_3 Depth=1
	s_ashr_i32 s54, s29, 31
	v_add_co_u32 v12, vcc_lo, v24, v16
	s_add_u32 s56, s28, s54
	s_mov_b32 s55, s54
	s_addc_u32 s57, s29, s54
	v_add_co_ci_u32_e64 v31, null, v25, v16, vcc_lo
	s_xor_b64 s[56:57], s[56:57], s[54:55]
	v_cvt_f32_u32_e32 v2, s56
	v_cvt_f32_u32_e32 v11, s57
	s_sub_u32 s63, 0, s56
	s_subb_u32 s64, 0, s57
	v_xor_b32_e32 v35, v31, v16
	v_fmac_f32_e32 v2, 0x4f800000, v11
	v_rcp_f32_e32 v2, v2
	v_mul_f32_e32 v2, 0x5f7ffffc, v2
	v_mul_f32_e32 v11, 0x2f800000, v2
	v_trunc_f32_e32 v11, v11
	v_fmac_f32_e32 v2, 0xcf800000, v11
	v_cvt_u32_f32_e32 v11, v11
	v_cvt_u32_f32_e32 v2, v2
	v_readfirstlane_b32 s0, v11
	v_readfirstlane_b32 s55, v2
	s_mul_i32 s65, s63, s0
	v_xor_b32_e32 v2, v12, v16
	s_mul_hi_u32 s67, s63, s55
	s_mul_i32 s66, s64, s55
	s_add_i32 s65, s67, s65
	s_mul_i32 s68, s63, s55
	s_add_i32 s65, s65, s66
	s_mul_hi_u32 s67, s55, s68
	s_mul_i32 s70, s55, s65
	s_mul_hi_u32 s69, s0, s68
	s_mul_i32 s66, s0, s68
	s_mul_hi_u32 s68, s55, s65
	s_add_u32 s67, s67, s70
	s_addc_u32 s68, 0, s68
	s_mul_hi_u32 s71, s0, s65
	s_add_u32 s66, s67, s66
	s_mul_i32 s65, s0, s65
	s_addc_u32 s66, s68, s69
	s_addc_u32 s67, s71, 0
	s_add_u32 s65, s66, s65
	s_addc_u32 s66, 0, s67
	s_add_u32 s55, s55, s65
	s_cselect_b32 s65, -1, 0
	s_mul_hi_u32 s67, s63, s55
	s_cmp_lg_u32 s65, 0
	s_mul_i32 s65, s63, s55
	s_addc_u32 s0, s0, s66
	s_mul_i32 s64, s64, s55
	s_mul_i32 s63, s63, s0
	s_mul_hi_u32 s66, s55, s65
	s_add_i32 s63, s67, s63
	s_mul_hi_u32 s67, s0, s65
	s_add_i32 s63, s63, s64
	s_mul_i32 s64, s0, s65
	s_mul_i32 s69, s55, s63
	s_mul_hi_u32 s68, s55, s63
	s_add_u32 s66, s66, s69
	s_addc_u32 s68, 0, s68
	s_mul_hi_u32 s65, s0, s63
	s_add_u32 s64, s66, s64
	s_mul_i32 s63, s0, s63
	s_addc_u32 s64, s68, s67
	s_addc_u32 s65, s65, 0
	s_add_u32 s63, s64, s63
	s_addc_u32 s64, 0, s65
	s_add_u32 s55, s55, s63
	s_cselect_b32 s63, -1, 0
	v_mul_hi_u32 v36, v2, s55
	s_cmp_lg_u32 s63, 0
	v_mad_u64_u32 v[31:32], null, v35, s55, 0
	s_addc_u32 s0, s0, s64
	v_mad_u64_u32 v[11:12], null, v2, s0, 0
	v_mad_u64_u32 v[33:34], null, v35, s0, 0
	v_add_co_u32 v11, vcc_lo, v36, v11
	v_add_co_ci_u32_e64 v12, null, 0, v12, vcc_lo
	v_add_co_u32 v11, vcc_lo, v11, v31
	v_add_co_ci_u32_e32 v11, vcc_lo, v12, v32, vcc_lo
	v_add_co_ci_u32_e32 v12, vcc_lo, 0, v34, vcc_lo
	v_add_co_u32 v31, vcc_lo, v11, v33
	v_add_co_ci_u32_e64 v32, null, 0, v12, vcc_lo
	v_mul_lo_u32 v33, s57, v31
	v_mad_u64_u32 v[11:12], null, s56, v31, 0
	v_mul_lo_u32 v34, s56, v32
	v_sub_co_u32 v2, vcc_lo, v2, v11
	v_add3_u32 v12, v12, v34, v33
	v_sub_nc_u32_e32 v33, v35, v12
	v_sub_co_ci_u32_e64 v12, null, v35, v12, vcc_lo
	v_subrev_co_ci_u32_e64 v11, null, s57, v33, vcc_lo
	v_add_co_u32 v33, s0, v31, 2
	v_add_co_ci_u32_e64 v34, null, 0, v32, s0
	v_sub_co_u32 v36, s0, v2, s56
	v_subrev_co_ci_u32_e64 v11, null, 0, v11, s0
	v_cmp_le_u32_e32 vcc_lo, s56, v36
	v_cndmask_b32_e64 v35, 0, -1, vcc_lo
	v_cmp_le_u32_e32 vcc_lo, s57, v11
	v_cndmask_b32_e64 v36, 0, -1, vcc_lo
	;; [unrolled: 2-line block ×4, first 2 shown]
	v_cmp_eq_u32_e32 vcc_lo, s57, v11
	v_cndmask_b32_e32 v11, v36, v35, vcc_lo
	v_add_co_u32 v35, vcc_lo, v31, 1
	v_add_co_ci_u32_e64 v36, null, 0, v32, vcc_lo
	v_cmp_eq_u32_e32 vcc_lo, s57, v12
	v_xor_b32_e32 v12, s54, v16
	v_cndmask_b32_e32 v2, v37, v2, vcc_lo
	v_cmp_ne_u32_e32 vcc_lo, 0, v11
	v_cmp_ne_u32_e64 s0, 0, v2
	v_cndmask_b32_e32 v2, v35, v33, vcc_lo
	v_cndmask_b32_e32 v11, v36, v34, vcc_lo
	v_cndmask_b32_e64 v2, v31, v2, s0
	v_cndmask_b32_e64 v11, v32, v11, s0
	v_xor_b32_e32 v2, v2, v12
	v_xor_b32_e32 v31, v11, v12
	v_sub_co_u32 v11, vcc_lo, v2, v12
	v_sub_co_ci_u32_e64 v12, null, v31, v12, vcc_lo
.LBB59_37:                              ;   in Loop: Header=BB59_3 Depth=1
	s_andn2_saveexec_b32 s0, s53
	s_cbranch_execz .LBB59_39
; %bb.38:                               ;   in Loop: Header=BB59_3 Depth=1
	v_rcp_iflag_f32_e32 v2, v29
	s_sub_i32 s53, 0, s28
	v_mul_f32_e32 v2, 0x4f7ffffe, v2
	v_cvt_u32_f32_e32 v2, v2
	v_mul_lo_u32 v11, s53, v2
	v_mul_hi_u32 v11, v2, v11
	v_add_nc_u32_e32 v2, v2, v11
	v_mul_hi_u32 v2, v24, v2
	v_mul_lo_u32 v11, v2, s28
	v_add_nc_u32_e32 v12, 1, v2
	v_sub_nc_u32_e32 v11, v24, v11
	v_subrev_nc_u32_e32 v31, s28, v11
	v_cmp_le_u32_e32 vcc_lo, s28, v11
	v_cndmask_b32_e32 v11, v11, v31, vcc_lo
	v_cndmask_b32_e32 v2, v2, v12, vcc_lo
	v_cmp_le_u32_e32 vcc_lo, s28, v11
	v_add_nc_u32_e32 v12, 1, v2
	v_cndmask_b32_e32 v11, v2, v12, vcc_lo
	v_mov_b32_e32 v12, v1
.LBB59_39:                              ;   in Loop: Header=BB59_3 Depth=1
	s_or_b32 exec_lo, exec_lo, s0
	v_mul_lo_u32 v2, v12, s28
	v_mul_lo_u32 v33, v11, s29
	v_mad_u64_u32 v[31:32], null, v11, s28, 0
	v_cvt_f32_f16_e32 v19, v19
	v_cvt_f32_f16_e32 v20, v20
	s_mov_b32 s0, exec_lo
	v_sub_f32_e32 v19, v20, v19
	v_add3_u32 v2, v32, v33, v2
	v_sub_co_u32 v31, vcc_lo, v5, v31
	v_mul_lo_u32 v32, v11, s13
	v_mul_f32_e32 v30, v19, v30
	v_sub_co_ci_u32_e64 v2, null, v6, v2, vcc_lo
	v_add_co_u32 v20, vcc_lo, v3, v31
	v_mul_lo_u32 v31, v12, s12
	v_add_co_ci_u32_e64 v2, null, v4, v2, vcc_lo
	v_add_co_u32 v9, vcc_lo, v9, 2
	v_mad_u64_u32 v[11:12], null, v11, s12, 0
	v_add_co_ci_u32_e64 v10, null, 0, v10, vcc_lo
	v_mul_lo_u32 v33, v20, s15
	v_mul_lo_u32 v2, v2, s14
	v_mad_u64_u32 v[19:20], null, v20, s14, 0
	v_mul_lo_u32 v34, s9, v9
	v_mul_lo_u32 v35, s8, v10
	v_mad_u64_u32 v[9:10], null, s8, v9, 0
	v_add3_u32 v12, v12, v32, v31
	v_mul_f32_e32 v28, v28, v30
	v_add3_u32 v20, v20, v33, v2
	v_lshlrev_b64 v[11:12], 1, v[11:12]
	v_add3_u32 v10, v10, v35, v34
	v_lshlrev_b64 v[30:31], 1, v[19:20]
	v_add_co_u32 v20, vcc_lo, v3, v9
	v_fma_mixlo_f16 v28, v28, v26, 0
	v_add_co_ci_u32_e64 v26, null, v4, v10, vcc_lo
	v_add_co_u32 v11, vcc_lo, s2, v11
	v_add_co_ci_u32_e64 v12, null, s3, v12, vcc_lo
	v_or_b32_e32 v2, s29, v26
	v_add_co_u32 v11, vcc_lo, v11, v30
	v_add_co_ci_u32_e64 v12, null, v12, v31, vcc_lo
	v_ashrrev_i32_e32 v19, 31, v26
	global_store_short v[11:12], v28, off
                                        ; implicit-def: $vgpr11_vgpr12
	v_cmpx_ne_u64_e32 0, v[1:2]
	s_xor_b32 s53, exec_lo, s0
	s_cbranch_execz .LBB59_41
; %bb.40:                               ;   in Loop: Header=BB59_3 Depth=1
	s_ashr_i32 s54, s29, 31
	v_add_co_u32 v12, vcc_lo, v20, v19
	s_add_u32 s56, s28, s54
	s_mov_b32 s55, s54
	s_addc_u32 s57, s29, s54
	v_add_co_ci_u32_e64 v29, null, v26, v19, vcc_lo
	s_xor_b64 s[56:57], s[56:57], s[54:55]
	v_cvt_f32_u32_e32 v2, s56
	v_cvt_f32_u32_e32 v11, s57
	s_sub_u32 s63, 0, s56
	s_subb_u32 s64, 0, s57
	v_xor_b32_e32 v33, v29, v19
	v_fmac_f32_e32 v2, 0x4f800000, v11
	v_rcp_f32_e32 v2, v2
	v_mul_f32_e32 v2, 0x5f7ffffc, v2
	v_mul_f32_e32 v11, 0x2f800000, v2
	v_trunc_f32_e32 v11, v11
	v_fmac_f32_e32 v2, 0xcf800000, v11
	v_cvt_u32_f32_e32 v11, v11
	v_cvt_u32_f32_e32 v2, v2
	v_readfirstlane_b32 s0, v11
	v_readfirstlane_b32 s55, v2
	s_mul_i32 s65, s63, s0
	v_xor_b32_e32 v2, v12, v19
	s_mul_hi_u32 s67, s63, s55
	s_mul_i32 s66, s64, s55
	s_add_i32 s65, s67, s65
	s_mul_i32 s68, s63, s55
	s_add_i32 s65, s65, s66
	s_mul_hi_u32 s67, s55, s68
	s_mul_i32 s70, s55, s65
	s_mul_hi_u32 s69, s0, s68
	s_mul_i32 s66, s0, s68
	s_mul_hi_u32 s68, s55, s65
	s_add_u32 s67, s67, s70
	s_addc_u32 s68, 0, s68
	s_mul_hi_u32 s71, s0, s65
	s_add_u32 s66, s67, s66
	s_mul_i32 s65, s0, s65
	s_addc_u32 s66, s68, s69
	s_addc_u32 s67, s71, 0
	s_add_u32 s65, s66, s65
	s_addc_u32 s66, 0, s67
	s_add_u32 s55, s55, s65
	s_cselect_b32 s65, -1, 0
	s_mul_hi_u32 s67, s63, s55
	s_cmp_lg_u32 s65, 0
	s_mul_i32 s65, s63, s55
	s_addc_u32 s0, s0, s66
	s_mul_i32 s64, s64, s55
	s_mul_i32 s63, s63, s0
	s_mul_hi_u32 s66, s55, s65
	s_add_i32 s63, s67, s63
	s_mul_hi_u32 s67, s0, s65
	s_add_i32 s63, s63, s64
	s_mul_i32 s64, s0, s65
	s_mul_i32 s69, s55, s63
	s_mul_hi_u32 s68, s55, s63
	s_add_u32 s66, s66, s69
	s_addc_u32 s68, 0, s68
	s_mul_hi_u32 s65, s0, s63
	s_add_u32 s64, s66, s64
	s_mul_i32 s63, s0, s63
	s_addc_u32 s64, s68, s67
	s_addc_u32 s65, s65, 0
	s_add_u32 s63, s64, s63
	s_addc_u32 s64, 0, s65
	s_add_u32 s55, s55, s63
	s_cselect_b32 s63, -1, 0
	v_mul_hi_u32 v34, v2, s55
	s_cmp_lg_u32 s63, 0
	v_mad_u64_u32 v[29:30], null, v33, s55, 0
	s_addc_u32 s0, s0, s64
	v_mad_u64_u32 v[11:12], null, v2, s0, 0
	v_mad_u64_u32 v[31:32], null, v33, s0, 0
	v_add_co_u32 v11, vcc_lo, v34, v11
	v_add_co_ci_u32_e64 v12, null, 0, v12, vcc_lo
	v_add_co_u32 v11, vcc_lo, v11, v29
	v_add_co_ci_u32_e32 v11, vcc_lo, v12, v30, vcc_lo
	v_add_co_ci_u32_e32 v12, vcc_lo, 0, v32, vcc_lo
	v_add_co_u32 v29, vcc_lo, v11, v31
	v_add_co_ci_u32_e64 v30, null, 0, v12, vcc_lo
	v_mul_lo_u32 v31, s57, v29
	v_mad_u64_u32 v[11:12], null, s56, v29, 0
	v_mul_lo_u32 v32, s56, v30
	v_sub_co_u32 v2, vcc_lo, v2, v11
	v_add3_u32 v12, v12, v32, v31
	v_sub_nc_u32_e32 v31, v33, v12
	v_sub_co_ci_u32_e64 v12, null, v33, v12, vcc_lo
	v_subrev_co_ci_u32_e64 v11, null, s57, v31, vcc_lo
	v_add_co_u32 v31, s0, v29, 2
	v_add_co_ci_u32_e64 v32, null, 0, v30, s0
	v_sub_co_u32 v34, s0, v2, s56
	v_subrev_co_ci_u32_e64 v11, null, 0, v11, s0
	v_cmp_le_u32_e32 vcc_lo, s56, v34
	v_cndmask_b32_e64 v33, 0, -1, vcc_lo
	v_cmp_le_u32_e32 vcc_lo, s57, v11
	v_cndmask_b32_e64 v34, 0, -1, vcc_lo
	;; [unrolled: 2-line block ×4, first 2 shown]
	v_cmp_eq_u32_e32 vcc_lo, s57, v11
	v_cndmask_b32_e32 v11, v34, v33, vcc_lo
	v_add_co_u32 v33, vcc_lo, v29, 1
	v_add_co_ci_u32_e64 v34, null, 0, v30, vcc_lo
	v_cmp_eq_u32_e32 vcc_lo, s57, v12
	v_xor_b32_e32 v12, s54, v19
	v_cndmask_b32_e32 v2, v35, v2, vcc_lo
	v_cmp_ne_u32_e32 vcc_lo, 0, v11
	v_cmp_ne_u32_e64 s0, 0, v2
	v_cndmask_b32_e32 v2, v33, v31, vcc_lo
	v_cndmask_b32_e32 v11, v34, v32, vcc_lo
	v_cndmask_b32_e64 v2, v29, v2, s0
	v_cndmask_b32_e64 v11, v30, v11, s0
	v_xor_b32_e32 v2, v2, v12
	v_xor_b32_e32 v29, v11, v12
	v_sub_co_u32 v11, vcc_lo, v2, v12
	v_sub_co_ci_u32_e64 v12, null, v29, v12, vcc_lo
                                        ; implicit-def: $vgpr29
.LBB59_41:                              ;   in Loop: Header=BB59_3 Depth=1
	s_andn2_saveexec_b32 s0, s53
	s_cbranch_execz .LBB59_43
; %bb.42:                               ;   in Loop: Header=BB59_3 Depth=1
	v_rcp_iflag_f32_e32 v2, v29
	s_sub_i32 s53, 0, s28
	v_mul_f32_e32 v2, 0x4f7ffffe, v2
	v_cvt_u32_f32_e32 v2, v2
	v_mul_lo_u32 v11, s53, v2
	v_mul_hi_u32 v11, v2, v11
	v_add_nc_u32_e32 v2, v2, v11
	v_mul_hi_u32 v2, v20, v2
	v_mul_lo_u32 v11, v2, s28
	v_add_nc_u32_e32 v12, 1, v2
	v_sub_nc_u32_e32 v11, v20, v11
	v_subrev_nc_u32_e32 v29, s28, v11
	v_cmp_le_u32_e32 vcc_lo, s28, v11
	v_cndmask_b32_e32 v11, v11, v29, vcc_lo
	v_cndmask_b32_e32 v2, v2, v12, vcc_lo
	v_cmp_le_u32_e32 vcc_lo, s28, v11
	v_add_nc_u32_e32 v12, 1, v2
	v_cndmask_b32_e32 v11, v2, v12, vcc_lo
	v_mov_b32_e32 v12, v1
.LBB59_43:                              ;   in Loop: Header=BB59_3 Depth=1
	s_or_b32 exec_lo, exec_lo, s0
	v_mul_lo_u32 v2, v12, s28
	v_mul_lo_u32 v31, v11, s29
	v_mad_u64_u32 v[29:30], null, v11, s28, 0
	v_mul_lo_u32 v32, v11, s13
	s_mov_b32 s0, exec_lo
	v_add3_u32 v2, v30, v31, v2
	v_mul_lo_u32 v31, v12, s12
	v_sub_co_u32 v12, vcc_lo, v9, v29
	v_sub_co_ci_u32_e64 v2, null, v10, v2, vcc_lo
	v_add_co_u32 v29, vcc_lo, v3, v12
	v_mad_u64_u32 v[11:12], null, v11, s12, 0
	v_add_co_ci_u32_e64 v2, null, v4, v2, vcc_lo
	v_mul_lo_u32 v33, v29, s15
	v_mad_u64_u32 v[29:30], null, v29, s14, 0
	v_mul_lo_u32 v2, v2, s14
	v_add3_u32 v12, v12, v32, v31
	v_cvt_f16_f32_e32 v31, v18
	v_lshlrev_b64 v[11:12], 1, v[11:12]
	v_add3_u32 v30, v30, v33, v2
	v_or_b32_e32 v2, s35, v23
	v_add_co_u32 v11, vcc_lo, s2, v11
	v_lshlrev_b64 v[29:30], 1, v[29:30]
	v_add_co_ci_u32_e64 v12, null, s3, v12, vcc_lo
	v_add_co_u32 v11, vcc_lo, v11, v29
	v_add_co_ci_u32_e64 v12, null, v12, v30, vcc_lo
	global_store_short v[11:12], v31, off
                                        ; implicit-def: $vgpr11_vgpr12
	v_cmpx_ne_u64_e32 0, v[1:2]
	s_xor_b32 s53, exec_lo, s0
	s_cbranch_execz .LBB59_45
; %bb.44:                               ;   in Loop: Header=BB59_3 Depth=1
	s_ashr_i32 s54, s35, 31
	v_add_co_u32 v12, vcc_lo, v22, v21
	s_add_u32 s56, s34, s54
	s_mov_b32 s55, s54
	s_addc_u32 s57, s35, s54
	v_add_co_ci_u32_e64 v22, null, v23, v21, vcc_lo
	s_xor_b64 s[56:57], s[56:57], s[54:55]
	v_cvt_f32_u32_e32 v2, s56
	v_cvt_f32_u32_e32 v11, s57
	s_sub_u32 s63, 0, s56
	s_subb_u32 s64, 0, s57
	v_xor_b32_e32 v31, v22, v21
	v_fmac_f32_e32 v2, 0x4f800000, v11
	v_rcp_f32_e32 v2, v2
	v_mul_f32_e32 v2, 0x5f7ffffc, v2
	v_mul_f32_e32 v11, 0x2f800000, v2
	v_trunc_f32_e32 v11, v11
	v_fmac_f32_e32 v2, 0xcf800000, v11
	v_cvt_u32_f32_e32 v11, v11
	v_cvt_u32_f32_e32 v2, v2
	v_readfirstlane_b32 s0, v11
	v_readfirstlane_b32 s55, v2
	s_mul_i32 s65, s63, s0
	v_xor_b32_e32 v2, v12, v21
	s_mul_hi_u32 s67, s63, s55
	s_mul_i32 s66, s64, s55
	s_add_i32 s65, s67, s65
	s_mul_i32 s68, s63, s55
	s_add_i32 s65, s65, s66
	s_mul_hi_u32 s67, s55, s68
	s_mul_i32 s70, s55, s65
	s_mul_hi_u32 s69, s0, s68
	s_mul_i32 s66, s0, s68
	s_mul_hi_u32 s68, s55, s65
	s_add_u32 s67, s67, s70
	s_addc_u32 s68, 0, s68
	s_mul_hi_u32 s71, s0, s65
	s_add_u32 s66, s67, s66
	s_mul_i32 s65, s0, s65
	s_addc_u32 s66, s68, s69
	s_addc_u32 s67, s71, 0
	s_add_u32 s65, s66, s65
	s_addc_u32 s66, 0, s67
	s_add_u32 s55, s55, s65
	s_cselect_b32 s65, -1, 0
	s_mul_hi_u32 s67, s63, s55
	s_cmp_lg_u32 s65, 0
	s_mul_i32 s65, s63, s55
	s_addc_u32 s0, s0, s66
	s_mul_i32 s64, s64, s55
	s_mul_i32 s63, s63, s0
	s_mul_hi_u32 s66, s55, s65
	s_add_i32 s63, s67, s63
	s_mul_hi_u32 s67, s0, s65
	s_add_i32 s63, s63, s64
	s_mul_i32 s64, s0, s65
	s_mul_i32 s69, s55, s63
	s_mul_hi_u32 s68, s55, s63
	s_add_u32 s66, s66, s69
	s_addc_u32 s68, 0, s68
	s_mul_hi_u32 s65, s0, s63
	s_add_u32 s64, s66, s64
	s_mul_i32 s63, s0, s63
	s_addc_u32 s64, s68, s67
	s_addc_u32 s65, s65, 0
	s_add_u32 s63, s64, s63
	s_addc_u32 s64, 0, s65
	s_add_u32 s55, s55, s63
	s_cselect_b32 s63, -1, 0
	v_mul_hi_u32 v32, v2, s55
	s_cmp_lg_u32 s63, 0
	v_mad_u64_u32 v[22:23], null, v31, s55, 0
	s_addc_u32 s0, s0, s64
	v_mad_u64_u32 v[11:12], null, v2, s0, 0
	v_mad_u64_u32 v[29:30], null, v31, s0, 0
	v_add_co_u32 v11, vcc_lo, v32, v11
	v_add_co_ci_u32_e64 v12, null, 0, v12, vcc_lo
	v_add_co_u32 v11, vcc_lo, v11, v22
	v_add_co_ci_u32_e32 v11, vcc_lo, v12, v23, vcc_lo
	v_add_co_ci_u32_e32 v12, vcc_lo, 0, v30, vcc_lo
	v_add_co_u32 v22, vcc_lo, v11, v29
	v_add_co_ci_u32_e64 v23, null, 0, v12, vcc_lo
	v_mul_lo_u32 v29, s57, v22
	v_mad_u64_u32 v[11:12], null, s56, v22, 0
	v_mul_lo_u32 v30, s56, v23
	v_sub_co_u32 v2, vcc_lo, v2, v11
	v_add3_u32 v12, v12, v30, v29
	v_sub_nc_u32_e32 v29, v31, v12
	v_sub_co_ci_u32_e64 v12, null, v31, v12, vcc_lo
	v_subrev_co_ci_u32_e64 v11, null, s57, v29, vcc_lo
	v_add_co_u32 v29, s0, v22, 2
	v_add_co_ci_u32_e64 v30, null, 0, v23, s0
	v_sub_co_u32 v32, s0, v2, s56
	v_subrev_co_ci_u32_e64 v11, null, 0, v11, s0
	v_cmp_le_u32_e32 vcc_lo, s56, v32
	v_cndmask_b32_e64 v31, 0, -1, vcc_lo
	v_cmp_le_u32_e32 vcc_lo, s57, v11
	v_cndmask_b32_e64 v32, 0, -1, vcc_lo
	;; [unrolled: 2-line block ×4, first 2 shown]
	v_cmp_eq_u32_e32 vcc_lo, s57, v11
	v_cndmask_b32_e32 v11, v32, v31, vcc_lo
	v_add_co_u32 v31, vcc_lo, v22, 1
	v_add_co_ci_u32_e64 v32, null, 0, v23, vcc_lo
	v_cmp_eq_u32_e32 vcc_lo, s57, v12
	v_xor_b32_e32 v12, s54, v21
	v_cndmask_b32_e32 v2, v33, v2, vcc_lo
	v_cmp_ne_u32_e32 vcc_lo, 0, v11
	v_cmp_ne_u32_e64 s0, 0, v2
	v_cndmask_b32_e32 v2, v31, v29, vcc_lo
	v_cndmask_b32_e32 v11, v32, v30, vcc_lo
	v_cndmask_b32_e64 v2, v22, v2, s0
	v_cndmask_b32_e64 v11, v23, v11, s0
                                        ; implicit-def: $vgpr22
	v_xor_b32_e32 v2, v2, v12
	v_xor_b32_e32 v21, v11, v12
	v_sub_co_u32 v11, vcc_lo, v2, v12
	v_sub_co_ci_u32_e64 v12, null, v21, v12, vcc_lo
.LBB59_45:                              ;   in Loop: Header=BB59_3 Depth=1
	s_or_saveexec_b32 s0, s53
	v_cvt_f32_u32_e32 v21, s34
	s_xor_b32 exec_lo, exec_lo, s0
	s_cbranch_execz .LBB59_47
; %bb.46:                               ;   in Loop: Header=BB59_3 Depth=1
	v_rcp_iflag_f32_e32 v2, v21
	s_sub_i32 s53, 0, s34
	v_mul_f32_e32 v2, 0x4f7ffffe, v2
	v_cvt_u32_f32_e32 v2, v2
	v_mul_lo_u32 v11, s53, v2
	v_mul_hi_u32 v11, v2, v11
	v_add_nc_u32_e32 v2, v2, v11
	v_mul_hi_u32 v2, v22, v2
	v_mul_lo_u32 v11, v2, s34
	v_add_nc_u32_e32 v12, 1, v2
	v_sub_nc_u32_e32 v11, v22, v11
	v_subrev_nc_u32_e32 v22, s34, v11
	v_cmp_le_u32_e32 vcc_lo, s34, v11
	v_cndmask_b32_e32 v11, v11, v22, vcc_lo
	v_cndmask_b32_e32 v2, v2, v12, vcc_lo
	v_cmp_le_u32_e32 vcc_lo, s34, v11
	v_add_nc_u32_e32 v12, 1, v2
	v_cndmask_b32_e32 v11, v2, v12, vcc_lo
	v_mov_b32_e32 v12, v1
.LBB59_47:                              ;   in Loop: Header=BB59_3 Depth=1
	s_or_b32 exec_lo, exec_lo, s0
	v_mul_lo_u32 v2, v12, s34
	v_mul_lo_u32 v29, v11, s35
	v_mad_u64_u32 v[22:23], null, v11, s34, 0
	s_mov_b32 s0, exec_lo
	v_add3_u32 v2, v23, v29, v2
	v_sub_co_u32 v7, vcc_lo, v7, v22
	v_mul_lo_u32 v23, v12, s16
	v_mul_lo_u32 v22, v11, s17
	v_sub_co_ci_u32_e64 v2, null, v8, v2, vcc_lo
	v_add_co_u32 v12, vcc_lo, v3, v7
	v_mad_u64_u32 v[7:8], null, v11, s16, 0
	v_add_co_ci_u32_e64 v2, null, v4, v2, vcc_lo
	v_mul_lo_u32 v29, v12, s19
	v_mad_u64_u32 v[11:12], null, v12, s18, 0
	v_mul_lo_u32 v2, v2, s18
	v_add3_u32 v8, v8, v22, v23
	v_lshlrev_b64 v[7:8], 1, v[7:8]
	v_add3_u32 v12, v12, v29, v2
	v_or_b32_e32 v2, s35, v25
	v_add_co_u32 v7, vcc_lo, s30, v7
	v_lshlrev_b64 v[11:12], 1, v[11:12]
	v_add_co_ci_u32_e64 v8, null, s31, v8, vcc_lo
	v_add_co_u32 v7, vcc_lo, v7, v11
	v_add_co_ci_u32_e64 v8, null, v8, v12, vcc_lo
	global_store_short v[7:8], v27, off
                                        ; implicit-def: $vgpr7_vgpr8
	v_cmpx_ne_u64_e32 0, v[1:2]
	s_xor_b32 s53, exec_lo, s0
	s_cbranch_execz .LBB59_49
; %bb.48:                               ;   in Loop: Header=BB59_3 Depth=1
	s_ashr_i32 s54, s35, 31
	v_add_co_u32 v8, vcc_lo, v24, v16
	s_add_u32 s56, s34, s54
	s_mov_b32 s55, s54
	s_addc_u32 s57, s35, s54
	v_add_co_ci_u32_e64 v11, null, v25, v16, vcc_lo
	s_xor_b64 s[56:57], s[56:57], s[54:55]
	v_cvt_f32_u32_e32 v2, s56
	v_cvt_f32_u32_e32 v7, s57
	s_sub_u32 s63, 0, s56
	s_subb_u32 s64, 0, s57
	v_xor_b32_e32 v24, v11, v16
	v_fmac_f32_e32 v2, 0x4f800000, v7
	v_rcp_f32_e32 v2, v2
	v_mul_f32_e32 v2, 0x5f7ffffc, v2
	v_mul_f32_e32 v7, 0x2f800000, v2
	v_trunc_f32_e32 v7, v7
	v_fmac_f32_e32 v2, 0xcf800000, v7
	v_cvt_u32_f32_e32 v7, v7
	v_cvt_u32_f32_e32 v2, v2
	v_readfirstlane_b32 s0, v7
	v_readfirstlane_b32 s55, v2
	s_mul_i32 s65, s63, s0
	v_xor_b32_e32 v2, v8, v16
	s_mul_hi_u32 s67, s63, s55
	s_mul_i32 s66, s64, s55
	s_add_i32 s65, s67, s65
	s_mul_i32 s68, s63, s55
	s_add_i32 s65, s65, s66
	s_mul_hi_u32 s67, s55, s68
	s_mul_i32 s70, s55, s65
	s_mul_hi_u32 s69, s0, s68
	s_mul_i32 s66, s0, s68
	s_mul_hi_u32 s68, s55, s65
	s_add_u32 s67, s67, s70
	s_addc_u32 s68, 0, s68
	s_mul_hi_u32 s71, s0, s65
	s_add_u32 s66, s67, s66
	s_mul_i32 s65, s0, s65
	s_addc_u32 s66, s68, s69
	s_addc_u32 s67, s71, 0
	s_add_u32 s65, s66, s65
	s_addc_u32 s66, 0, s67
	s_add_u32 s55, s55, s65
	s_cselect_b32 s65, -1, 0
	s_mul_hi_u32 s67, s63, s55
	s_cmp_lg_u32 s65, 0
	s_mul_i32 s65, s63, s55
	s_addc_u32 s0, s0, s66
	s_mul_i32 s64, s64, s55
	s_mul_i32 s63, s63, s0
	s_mul_hi_u32 s66, s55, s65
	s_add_i32 s63, s67, s63
	s_mul_hi_u32 s67, s0, s65
	s_add_i32 s63, s63, s64
	s_mul_i32 s64, s0, s65
	s_mul_i32 s69, s55, s63
	s_mul_hi_u32 s68, s55, s63
	s_add_u32 s66, s66, s69
	s_addc_u32 s68, 0, s68
	s_mul_hi_u32 s65, s0, s63
	s_add_u32 s64, s66, s64
	s_mul_i32 s63, s0, s63
	s_addc_u32 s64, s68, s67
	s_addc_u32 s65, s65, 0
	s_add_u32 s63, s64, s63
	s_addc_u32 s64, 0, s65
	s_add_u32 s55, s55, s63
	s_cselect_b32 s63, -1, 0
	v_mul_hi_u32 v25, v2, s55
	s_cmp_lg_u32 s63, 0
	v_mad_u64_u32 v[11:12], null, v24, s55, 0
	s_addc_u32 s0, s0, s64
	v_mad_u64_u32 v[7:8], null, v2, s0, 0
	v_mad_u64_u32 v[22:23], null, v24, s0, 0
	v_add_co_u32 v7, vcc_lo, v25, v7
	v_add_co_ci_u32_e64 v8, null, 0, v8, vcc_lo
	v_add_co_u32 v7, vcc_lo, v7, v11
	v_add_co_ci_u32_e32 v7, vcc_lo, v8, v12, vcc_lo
	v_add_co_ci_u32_e32 v8, vcc_lo, 0, v23, vcc_lo
	v_add_co_u32 v11, vcc_lo, v7, v22
	v_add_co_ci_u32_e64 v12, null, 0, v8, vcc_lo
	v_mul_lo_u32 v22, s57, v11
	v_mad_u64_u32 v[7:8], null, s56, v11, 0
	v_mul_lo_u32 v23, s56, v12
	v_sub_co_u32 v2, vcc_lo, v2, v7
	v_add3_u32 v8, v8, v23, v22
	v_sub_nc_u32_e32 v22, v24, v8
	v_sub_co_ci_u32_e64 v8, null, v24, v8, vcc_lo
	v_subrev_co_ci_u32_e64 v7, null, s57, v22, vcc_lo
	v_add_co_u32 v22, s0, v11, 2
	v_add_co_ci_u32_e64 v23, null, 0, v12, s0
	v_sub_co_u32 v25, s0, v2, s56
	v_subrev_co_ci_u32_e64 v7, null, 0, v7, s0
	v_cmp_le_u32_e32 vcc_lo, s56, v25
	v_cndmask_b32_e64 v24, 0, -1, vcc_lo
	v_cmp_le_u32_e32 vcc_lo, s57, v7
	v_cndmask_b32_e64 v25, 0, -1, vcc_lo
	;; [unrolled: 2-line block ×4, first 2 shown]
	v_cmp_eq_u32_e32 vcc_lo, s57, v7
	v_cndmask_b32_e32 v7, v25, v24, vcc_lo
	v_add_co_u32 v24, vcc_lo, v11, 1
	v_add_co_ci_u32_e64 v25, null, 0, v12, vcc_lo
	v_cmp_eq_u32_e32 vcc_lo, s57, v8
	v_xor_b32_e32 v8, s54, v16
	v_cndmask_b32_e32 v2, v27, v2, vcc_lo
	v_cmp_ne_u32_e32 vcc_lo, 0, v7
	v_cmp_ne_u32_e64 s0, 0, v2
	v_cndmask_b32_e32 v2, v24, v22, vcc_lo
	v_cndmask_b32_e32 v7, v25, v23, vcc_lo
                                        ; implicit-def: $vgpr24
	v_cndmask_b32_e64 v2, v11, v2, s0
	v_cndmask_b32_e64 v7, v12, v7, s0
	v_xor_b32_e32 v2, v2, v8
	v_xor_b32_e32 v11, v7, v8
	v_sub_co_u32 v7, vcc_lo, v2, v8
	v_sub_co_ci_u32_e64 v8, null, v11, v8, vcc_lo
.LBB59_49:                              ;   in Loop: Header=BB59_3 Depth=1
	s_andn2_saveexec_b32 s0, s53
	s_cbranch_execz .LBB59_51
; %bb.50:                               ;   in Loop: Header=BB59_3 Depth=1
	v_rcp_iflag_f32_e32 v2, v21
	s_sub_i32 s53, 0, s34
	v_mul_f32_e32 v2, 0x4f7ffffe, v2
	v_cvt_u32_f32_e32 v2, v2
	v_mul_lo_u32 v7, s53, v2
	v_mul_hi_u32 v7, v2, v7
	v_add_nc_u32_e32 v2, v2, v7
	v_mul_hi_u32 v2, v24, v2
	v_mul_lo_u32 v7, v2, s34
	v_add_nc_u32_e32 v8, 1, v2
	v_sub_nc_u32_e32 v7, v24, v7
	v_subrev_nc_u32_e32 v11, s34, v7
	v_cmp_le_u32_e32 vcc_lo, s34, v7
	v_cndmask_b32_e32 v7, v7, v11, vcc_lo
	v_cndmask_b32_e32 v2, v2, v8, vcc_lo
	v_cmp_le_u32_e32 vcc_lo, s34, v7
	v_add_nc_u32_e32 v8, 1, v2
	v_cndmask_b32_e32 v7, v2, v8, vcc_lo
	v_mov_b32_e32 v8, v1
.LBB59_51:                              ;   in Loop: Header=BB59_3 Depth=1
	s_or_b32 exec_lo, exec_lo, s0
	v_mul_lo_u32 v2, v8, s34
	v_mul_lo_u32 v16, v7, s35
	v_mad_u64_u32 v[11:12], null, v7, s34, 0
	s_mov_b32 s0, exec_lo
	v_add3_u32 v2, v12, v16, v2
	v_sub_co_u32 v5, vcc_lo, v5, v11
	v_mul_lo_u32 v12, v8, s16
	v_mul_lo_u32 v11, v7, s17
	v_sub_co_ci_u32_e64 v2, null, v6, v2, vcc_lo
	v_add_co_u32 v8, vcc_lo, v3, v5
	v_mad_u64_u32 v[5:6], null, v7, s16, 0
	v_add_co_ci_u32_e64 v2, null, v4, v2, vcc_lo
	v_mul_lo_u32 v16, v8, s19
	v_mad_u64_u32 v[7:8], null, v8, s18, 0
	v_mul_lo_u32 v2, v2, s18
	v_add3_u32 v6, v6, v11, v12
	v_lshlrev_b64 v[5:6], 1, v[5:6]
	v_add3_u32 v8, v8, v16, v2
	v_or_b32_e32 v2, s35, v26
	v_add_co_u32 v5, vcc_lo, s30, v5
	v_lshlrev_b64 v[7:8], 1, v[7:8]
	v_add_co_ci_u32_e64 v6, null, s31, v6, vcc_lo
	v_add_co_u32 v5, vcc_lo, v5, v7
	v_add_co_ci_u32_e64 v6, null, v6, v8, vcc_lo
	global_store_short v[5:6], v28, off
                                        ; implicit-def: $vgpr5_vgpr6
	v_cmpx_ne_u64_e32 0, v[1:2]
	s_xor_b32 s53, exec_lo, s0
	s_cbranch_execz .LBB59_53
; %bb.52:                               ;   in Loop: Header=BB59_3 Depth=1
	s_ashr_i32 s54, s35, 31
	v_add_co_u32 v6, vcc_lo, v20, v19
	s_add_u32 s56, s34, s54
	s_mov_b32 s55, s54
	s_addc_u32 s57, s35, s54
	v_add_co_ci_u32_e64 v7, null, v26, v19, vcc_lo
	s_xor_b64 s[56:57], s[56:57], s[54:55]
	v_cvt_f32_u32_e32 v2, s56
	v_cvt_f32_u32_e32 v5, s57
	s_sub_u32 s63, 0, s56
	s_subb_u32 s64, 0, s57
	v_xor_b32_e32 v16, v7, v19
	v_fmac_f32_e32 v2, 0x4f800000, v5
	v_rcp_f32_e32 v2, v2
	v_mul_f32_e32 v2, 0x5f7ffffc, v2
	v_mul_f32_e32 v5, 0x2f800000, v2
	v_trunc_f32_e32 v5, v5
	v_fmac_f32_e32 v2, 0xcf800000, v5
	v_cvt_u32_f32_e32 v5, v5
	v_cvt_u32_f32_e32 v2, v2
	v_readfirstlane_b32 s0, v5
	v_readfirstlane_b32 s55, v2
	s_mul_i32 s65, s63, s0
	v_xor_b32_e32 v2, v6, v19
	s_mul_hi_u32 s67, s63, s55
	s_mul_i32 s66, s64, s55
	s_add_i32 s65, s67, s65
	s_mul_i32 s68, s63, s55
	s_add_i32 s65, s65, s66
	s_mul_hi_u32 s67, s55, s68
	s_mul_i32 s70, s55, s65
	s_mul_hi_u32 s69, s0, s68
	s_mul_i32 s66, s0, s68
	s_mul_hi_u32 s68, s55, s65
	s_add_u32 s67, s67, s70
	s_addc_u32 s68, 0, s68
	s_mul_hi_u32 s71, s0, s65
	s_add_u32 s66, s67, s66
	s_mul_i32 s65, s0, s65
	s_addc_u32 s66, s68, s69
	s_addc_u32 s67, s71, 0
	s_add_u32 s65, s66, s65
	s_addc_u32 s66, 0, s67
	s_add_u32 s55, s55, s65
	s_cselect_b32 s65, -1, 0
	s_mul_hi_u32 s67, s63, s55
	s_cmp_lg_u32 s65, 0
	s_mul_i32 s65, s63, s55
	s_addc_u32 s0, s0, s66
	s_mul_i32 s64, s64, s55
	s_mul_i32 s63, s63, s0
	s_mul_hi_u32 s66, s55, s65
	s_add_i32 s63, s67, s63
	s_mul_hi_u32 s67, s0, s65
	s_add_i32 s63, s63, s64
	s_mul_i32 s64, s0, s65
	s_mul_i32 s69, s55, s63
	s_mul_hi_u32 s68, s55, s63
	s_add_u32 s66, s66, s69
	s_addc_u32 s68, 0, s68
	s_mul_hi_u32 s65, s0, s63
	s_add_u32 s64, s66, s64
	s_mul_i32 s63, s0, s63
	s_addc_u32 s64, s68, s67
	s_addc_u32 s65, s65, 0
	s_add_u32 s63, s64, s63
	s_addc_u32 s64, 0, s65
	s_add_u32 s55, s55, s63
	s_cselect_b32 s63, -1, 0
	v_mul_hi_u32 v20, v2, s55
	s_cmp_lg_u32 s63, 0
	v_mad_u64_u32 v[7:8], null, v16, s55, 0
	s_addc_u32 s0, s0, s64
	v_mad_u64_u32 v[5:6], null, v2, s0, 0
	v_mad_u64_u32 v[11:12], null, v16, s0, 0
	v_add_co_u32 v5, vcc_lo, v20, v5
	v_add_co_ci_u32_e64 v6, null, 0, v6, vcc_lo
	v_add_co_u32 v5, vcc_lo, v5, v7
	v_add_co_ci_u32_e32 v5, vcc_lo, v6, v8, vcc_lo
	v_add_co_ci_u32_e32 v6, vcc_lo, 0, v12, vcc_lo
	v_add_co_u32 v7, vcc_lo, v5, v11
	v_add_co_ci_u32_e64 v8, null, 0, v6, vcc_lo
	v_mul_lo_u32 v11, s57, v7
	v_mad_u64_u32 v[5:6], null, s56, v7, 0
	v_mul_lo_u32 v12, s56, v8
	v_sub_co_u32 v2, vcc_lo, v2, v5
	v_add3_u32 v6, v6, v12, v11
	v_sub_nc_u32_e32 v11, v16, v6
	v_sub_co_ci_u32_e64 v6, null, v16, v6, vcc_lo
	v_subrev_co_ci_u32_e64 v5, null, s57, v11, vcc_lo
	v_add_co_u32 v11, s0, v7, 2
	v_add_co_ci_u32_e64 v12, null, 0, v8, s0
	v_sub_co_u32 v20, s0, v2, s56
	v_subrev_co_ci_u32_e64 v5, null, 0, v5, s0
	v_cmp_le_u32_e32 vcc_lo, s56, v20
	v_cndmask_b32_e64 v16, 0, -1, vcc_lo
	v_cmp_le_u32_e32 vcc_lo, s57, v5
	v_cndmask_b32_e64 v20, 0, -1, vcc_lo
	;; [unrolled: 2-line block ×4, first 2 shown]
	v_cmp_eq_u32_e32 vcc_lo, s57, v5
	v_cndmask_b32_e32 v5, v20, v16, vcc_lo
	v_add_co_u32 v16, vcc_lo, v7, 1
	v_add_co_ci_u32_e64 v20, null, 0, v8, vcc_lo
	v_cmp_eq_u32_e32 vcc_lo, s57, v6
	v_xor_b32_e32 v6, s54, v19
	v_cndmask_b32_e32 v2, v21, v2, vcc_lo
	v_cmp_ne_u32_e32 vcc_lo, 0, v5
                                        ; implicit-def: $vgpr21
	v_cmp_ne_u32_e64 s0, 0, v2
	v_cndmask_b32_e32 v2, v16, v11, vcc_lo
	v_cndmask_b32_e32 v5, v20, v12, vcc_lo
                                        ; implicit-def: $vgpr20
	v_cndmask_b32_e64 v2, v7, v2, s0
	v_cndmask_b32_e64 v5, v8, v5, s0
	v_xor_b32_e32 v2, v2, v6
	v_xor_b32_e32 v7, v5, v6
	v_sub_co_u32 v5, vcc_lo, v2, v6
	v_sub_co_ci_u32_e64 v6, null, v7, v6, vcc_lo
.LBB59_53:                              ;   in Loop: Header=BB59_3 Depth=1
	s_andn2_saveexec_b32 s0, s53
	s_cbranch_execz .LBB59_55
; %bb.54:                               ;   in Loop: Header=BB59_3 Depth=1
	v_rcp_iflag_f32_e32 v2, v21
	s_sub_i32 s53, 0, s34
	v_mul_f32_e32 v2, 0x4f7ffffe, v2
	v_cvt_u32_f32_e32 v2, v2
	v_mul_lo_u32 v5, s53, v2
	v_mul_hi_u32 v5, v2, v5
	v_add_nc_u32_e32 v2, v2, v5
	v_mul_hi_u32 v2, v20, v2
	v_mul_lo_u32 v5, v2, s34
	v_add_nc_u32_e32 v6, 1, v2
	v_sub_nc_u32_e32 v5, v20, v5
	v_subrev_nc_u32_e32 v7, s34, v5
	v_cmp_le_u32_e32 vcc_lo, s34, v5
	v_cndmask_b32_e32 v5, v5, v7, vcc_lo
	v_cndmask_b32_e32 v2, v2, v6, vcc_lo
	v_cmp_le_u32_e32 vcc_lo, s34, v5
	v_add_nc_u32_e32 v6, 1, v2
	v_cndmask_b32_e32 v5, v2, v6, vcc_lo
	v_mov_b32_e32 v6, v1
.LBB59_55:                              ;   in Loop: Header=BB59_3 Depth=1
	s_or_b32 exec_lo, exec_lo, s0
	v_mul_lo_u32 v2, v6, s34
	v_mul_lo_u32 v11, v5, s35
	v_mad_u64_u32 v[7:8], null, v5, s34, 0
	s_mov_b32 s0, exec_lo
	v_add3_u32 v2, v8, v11, v2
	v_mul_lo_u32 v11, v6, s16
	v_sub_co_u32 v6, vcc_lo, v9, v7
	v_mul_lo_u32 v9, v5, s17
	v_sub_co_ci_u32_e64 v2, null, v10, v2, vcc_lo
	v_add_co_u32 v7, vcc_lo, v3, v6
	v_mad_u64_u32 v[5:6], null, v5, s16, 0
	v_add_co_ci_u32_e64 v2, null, v4, v2, vcc_lo
	v_mul_lo_u32 v10, v7, s19
	v_mad_u64_u32 v[7:8], null, v7, s18, 0
	v_mul_lo_u32 v2, v2, s18
	v_add3_u32 v6, v6, v9, v11
	v_fma_mixlo_f16 v9, v18, v17, 0
	v_lshlrev_b64 v[5:6], 1, v[5:6]
	v_add3_u32 v8, v8, v10, v2
	v_or_b32_e32 v2, s43, v4
	v_add_co_u32 v5, vcc_lo, s30, v5
	v_lshlrev_b64 v[7:8], 1, v[7:8]
	v_add_co_ci_u32_e64 v6, null, s31, v6, vcc_lo
	v_add_co_u32 v5, vcc_lo, v5, v7
	v_add_co_ci_u32_e64 v6, null, v6, v8, vcc_lo
	global_store_short v[5:6], v9, off
                                        ; implicit-def: $vgpr5_vgpr6
	v_cmpx_ne_u64_e32 0, v[1:2]
	s_xor_b32 s53, exec_lo, s0
	s_cbranch_execz .LBB59_57
; %bb.56:                               ;   in Loop: Header=BB59_3 Depth=1
	s_ashr_i32 s54, s43, 31
	v_add_co_u32 v6, vcc_lo, v3, v13
	s_add_u32 s56, s42, s54
	s_mov_b32 s55, s54
	s_addc_u32 s57, s43, s54
	v_add_co_ci_u32_e64 v7, null, v4, v13, vcc_lo
	s_xor_b64 s[56:57], s[56:57], s[54:55]
	v_cvt_f32_u32_e32 v2, s56
	v_cvt_f32_u32_e32 v5, s57
	s_sub_u32 s63, 0, s56
	s_subb_u32 s64, 0, s57
	v_xor_b32_e32 v11, v7, v13
	v_fmac_f32_e32 v2, 0x4f800000, v5
	v_rcp_f32_e32 v2, v2
	v_mul_f32_e32 v2, 0x5f7ffffc, v2
	v_mul_f32_e32 v5, 0x2f800000, v2
	v_trunc_f32_e32 v5, v5
	v_fmac_f32_e32 v2, 0xcf800000, v5
	v_cvt_u32_f32_e32 v5, v5
	v_cvt_u32_f32_e32 v2, v2
	v_readfirstlane_b32 s0, v5
	v_readfirstlane_b32 s55, v2
	s_mul_i32 s65, s63, s0
	v_xor_b32_e32 v2, v6, v13
	s_mul_hi_u32 s67, s63, s55
	s_mul_i32 s66, s64, s55
	s_add_i32 s65, s67, s65
	s_mul_i32 s68, s63, s55
	s_add_i32 s65, s65, s66
	s_mul_hi_u32 s67, s55, s68
	s_mul_i32 s70, s55, s65
	s_mul_hi_u32 s69, s0, s68
	s_mul_i32 s66, s0, s68
	s_mul_hi_u32 s68, s55, s65
	s_add_u32 s67, s67, s70
	s_addc_u32 s68, 0, s68
	s_mul_hi_u32 s71, s0, s65
	s_add_u32 s66, s67, s66
	s_mul_i32 s65, s0, s65
	s_addc_u32 s66, s68, s69
	s_addc_u32 s67, s71, 0
	s_add_u32 s65, s66, s65
	s_addc_u32 s66, 0, s67
	s_add_u32 s55, s55, s65
	s_cselect_b32 s65, -1, 0
	s_mul_hi_u32 s67, s63, s55
	s_cmp_lg_u32 s65, 0
	s_mul_i32 s65, s63, s55
	s_addc_u32 s0, s0, s66
	s_mul_i32 s64, s64, s55
	s_mul_i32 s63, s63, s0
	s_mul_hi_u32 s66, s55, s65
	s_add_i32 s63, s67, s63
	s_mul_hi_u32 s67, s0, s65
	s_add_i32 s63, s63, s64
	s_mul_i32 s64, s0, s65
	s_mul_i32 s69, s55, s63
	s_mul_hi_u32 s68, s55, s63
	s_add_u32 s66, s66, s69
	s_addc_u32 s68, 0, s68
	s_mul_hi_u32 s65, s0, s63
	s_add_u32 s64, s66, s64
	s_mul_i32 s63, s0, s63
	s_addc_u32 s64, s68, s67
	s_addc_u32 s65, s65, 0
	s_add_u32 s63, s64, s63
	s_addc_u32 s64, 0, s65
	s_add_u32 s55, s55, s63
	s_cselect_b32 s63, -1, 0
	v_mul_hi_u32 v12, v2, s55
	s_cmp_lg_u32 s63, 0
	v_mad_u64_u32 v[7:8], null, v11, s55, 0
	s_addc_u32 s0, s0, s64
	v_mad_u64_u32 v[5:6], null, v2, s0, 0
	v_mad_u64_u32 v[9:10], null, v11, s0, 0
	v_add_co_u32 v5, vcc_lo, v12, v5
	v_add_co_ci_u32_e64 v6, null, 0, v6, vcc_lo
	v_add_co_u32 v5, vcc_lo, v5, v7
	v_add_co_ci_u32_e32 v5, vcc_lo, v6, v8, vcc_lo
	v_add_co_ci_u32_e32 v6, vcc_lo, 0, v10, vcc_lo
	v_add_co_u32 v7, vcc_lo, v5, v9
	v_add_co_ci_u32_e64 v8, null, 0, v6, vcc_lo
	v_mul_lo_u32 v9, s57, v7
	v_mad_u64_u32 v[5:6], null, s56, v7, 0
	v_mul_lo_u32 v10, s56, v8
	v_sub_co_u32 v2, vcc_lo, v2, v5
	v_add3_u32 v6, v6, v10, v9
	v_sub_nc_u32_e32 v9, v11, v6
	v_sub_co_ci_u32_e64 v6, null, v11, v6, vcc_lo
	v_subrev_co_ci_u32_e64 v5, null, s57, v9, vcc_lo
	v_add_co_u32 v9, s0, v7, 2
	v_add_co_ci_u32_e64 v10, null, 0, v8, s0
	v_sub_co_u32 v12, s0, v2, s56
	v_subrev_co_ci_u32_e64 v5, null, 0, v5, s0
	v_cmp_le_u32_e32 vcc_lo, s56, v12
	v_cndmask_b32_e64 v11, 0, -1, vcc_lo
	v_cmp_le_u32_e32 vcc_lo, s57, v5
	v_cndmask_b32_e64 v12, 0, -1, vcc_lo
	;; [unrolled: 2-line block ×4, first 2 shown]
	v_cmp_eq_u32_e32 vcc_lo, s57, v5
	v_cndmask_b32_e32 v5, v12, v11, vcc_lo
	v_add_co_u32 v11, vcc_lo, v7, 1
	v_add_co_ci_u32_e64 v12, null, 0, v8, vcc_lo
	v_cmp_eq_u32_e32 vcc_lo, s57, v6
	v_xor_b32_e32 v6, s54, v13
	v_cndmask_b32_e32 v2, v16, v2, vcc_lo
	v_cmp_ne_u32_e32 vcc_lo, 0, v5
	v_cmp_ne_u32_e64 s0, 0, v2
	v_cndmask_b32_e32 v2, v11, v9, vcc_lo
	v_cndmask_b32_e32 v5, v12, v10, vcc_lo
	v_cndmask_b32_e64 v2, v7, v2, s0
	v_cndmask_b32_e64 v5, v8, v5, s0
	v_xor_b32_e32 v2, v2, v6
	v_xor_b32_e32 v7, v5, v6
	v_sub_co_u32 v5, vcc_lo, v2, v6
	v_sub_co_ci_u32_e64 v6, null, v7, v6, vcc_lo
.LBB59_57:                              ;   in Loop: Header=BB59_3 Depth=1
	s_andn2_saveexec_b32 s0, s53
	s_cbranch_execz .LBB59_2
; %bb.58:                               ;   in Loop: Header=BB59_3 Depth=1
	v_cvt_f32_u32_e32 v2, s42
	s_sub_i32 s53, 0, s42
	v_rcp_iflag_f32_e32 v2, v2
	v_mul_f32_e32 v2, 0x4f7ffffe, v2
	v_cvt_u32_f32_e32 v2, v2
	v_mul_lo_u32 v5, s53, v2
	v_mul_hi_u32 v5, v2, v5
	v_add_nc_u32_e32 v2, v2, v5
	v_mul_hi_u32 v2, v3, v2
	v_mul_lo_u32 v5, v2, s42
	v_add_nc_u32_e32 v6, 1, v2
	v_sub_nc_u32_e32 v5, v3, v5
	v_subrev_nc_u32_e32 v7, s42, v5
	v_cmp_le_u32_e32 vcc_lo, s42, v5
	v_cndmask_b32_e32 v5, v5, v7, vcc_lo
	v_cndmask_b32_e32 v2, v2, v6, vcc_lo
	v_cmp_le_u32_e32 vcc_lo, s42, v5
	v_add_nc_u32_e32 v6, 1, v2
	v_cndmask_b32_e32 v5, v2, v6, vcc_lo
	v_mov_b32_e32 v6, v1
	s_branch .LBB59_2
.LBB59_59:
	s_endpgm
	.section	.rodata,"a",@progbits
	.p2align	6, 0x0
	.amdhsa_kernel _ZN2at6native12_GLOBAL__N_16kernel17gru_cell_backwardIN3c104HalfEflLi2EEEvNS_4cuda6detail10TensorInfoIT_T1_EESB_SB_SB_SB_SA_SA_
		.amdhsa_group_segment_fixed_size 0
		.amdhsa_private_segment_fixed_size 0
		.amdhsa_kernarg_size 2352
		.amdhsa_user_sgpr_count 6
		.amdhsa_user_sgpr_private_segment_buffer 1
		.amdhsa_user_sgpr_dispatch_ptr 0
		.amdhsa_user_sgpr_queue_ptr 0
		.amdhsa_user_sgpr_kernarg_segment_ptr 1
		.amdhsa_user_sgpr_dispatch_id 0
		.amdhsa_user_sgpr_flat_scratch_init 0
		.amdhsa_user_sgpr_private_segment_size 0
		.amdhsa_wavefront_size32 1
		.amdhsa_uses_dynamic_stack 0
		.amdhsa_system_sgpr_private_segment_wavefront_offset 0
		.amdhsa_system_sgpr_workgroup_id_x 1
		.amdhsa_system_sgpr_workgroup_id_y 0
		.amdhsa_system_sgpr_workgroup_id_z 0
		.amdhsa_system_sgpr_workgroup_info 0
		.amdhsa_system_vgpr_workitem_id 0
		.amdhsa_next_free_vgpr 38
		.amdhsa_next_free_sgpr 72
		.amdhsa_reserve_vcc 1
		.amdhsa_reserve_flat_scratch 0
		.amdhsa_float_round_mode_32 0
		.amdhsa_float_round_mode_16_64 0
		.amdhsa_float_denorm_mode_32 3
		.amdhsa_float_denorm_mode_16_64 3
		.amdhsa_dx10_clamp 1
		.amdhsa_ieee_mode 1
		.amdhsa_fp16_overflow 0
		.amdhsa_workgroup_processor_mode 1
		.amdhsa_memory_ordered 1
		.amdhsa_forward_progress 1
		.amdhsa_shared_vgpr_count 0
		.amdhsa_exception_fp_ieee_invalid_op 0
		.amdhsa_exception_fp_denorm_src 0
		.amdhsa_exception_fp_ieee_div_zero 0
		.amdhsa_exception_fp_ieee_overflow 0
		.amdhsa_exception_fp_ieee_underflow 0
		.amdhsa_exception_fp_ieee_inexact 0
		.amdhsa_exception_int_div_zero 0
	.end_amdhsa_kernel
	.section	.text._ZN2at6native12_GLOBAL__N_16kernel17gru_cell_backwardIN3c104HalfEflLi2EEEvNS_4cuda6detail10TensorInfoIT_T1_EESB_SB_SB_SB_SA_SA_,"axG",@progbits,_ZN2at6native12_GLOBAL__N_16kernel17gru_cell_backwardIN3c104HalfEflLi2EEEvNS_4cuda6detail10TensorInfoIT_T1_EESB_SB_SB_SB_SA_SA_,comdat
.Lfunc_end59:
	.size	_ZN2at6native12_GLOBAL__N_16kernel17gru_cell_backwardIN3c104HalfEflLi2EEEvNS_4cuda6detail10TensorInfoIT_T1_EESB_SB_SB_SB_SA_SA_, .Lfunc_end59-_ZN2at6native12_GLOBAL__N_16kernel17gru_cell_backwardIN3c104HalfEflLi2EEEvNS_4cuda6detail10TensorInfoIT_T1_EESB_SB_SB_SB_SA_SA_
                                        ; -- End function
	.set _ZN2at6native12_GLOBAL__N_16kernel17gru_cell_backwardIN3c104HalfEflLi2EEEvNS_4cuda6detail10TensorInfoIT_T1_EESB_SB_SB_SB_SA_SA_.num_vgpr, 38
	.set _ZN2at6native12_GLOBAL__N_16kernel17gru_cell_backwardIN3c104HalfEflLi2EEEvNS_4cuda6detail10TensorInfoIT_T1_EESB_SB_SB_SB_SA_SA_.num_agpr, 0
	.set _ZN2at6native12_GLOBAL__N_16kernel17gru_cell_backwardIN3c104HalfEflLi2EEEvNS_4cuda6detail10TensorInfoIT_T1_EESB_SB_SB_SB_SA_SA_.numbered_sgpr, 72
	.set _ZN2at6native12_GLOBAL__N_16kernel17gru_cell_backwardIN3c104HalfEflLi2EEEvNS_4cuda6detail10TensorInfoIT_T1_EESB_SB_SB_SB_SA_SA_.num_named_barrier, 0
	.set _ZN2at6native12_GLOBAL__N_16kernel17gru_cell_backwardIN3c104HalfEflLi2EEEvNS_4cuda6detail10TensorInfoIT_T1_EESB_SB_SB_SB_SA_SA_.private_seg_size, 0
	.set _ZN2at6native12_GLOBAL__N_16kernel17gru_cell_backwardIN3c104HalfEflLi2EEEvNS_4cuda6detail10TensorInfoIT_T1_EESB_SB_SB_SB_SA_SA_.uses_vcc, 1
	.set _ZN2at6native12_GLOBAL__N_16kernel17gru_cell_backwardIN3c104HalfEflLi2EEEvNS_4cuda6detail10TensorInfoIT_T1_EESB_SB_SB_SB_SA_SA_.uses_flat_scratch, 0
	.set _ZN2at6native12_GLOBAL__N_16kernel17gru_cell_backwardIN3c104HalfEflLi2EEEvNS_4cuda6detail10TensorInfoIT_T1_EESB_SB_SB_SB_SA_SA_.has_dyn_sized_stack, 0
	.set _ZN2at6native12_GLOBAL__N_16kernel17gru_cell_backwardIN3c104HalfEflLi2EEEvNS_4cuda6detail10TensorInfoIT_T1_EESB_SB_SB_SB_SA_SA_.has_recursion, 0
	.set _ZN2at6native12_GLOBAL__N_16kernel17gru_cell_backwardIN3c104HalfEflLi2EEEvNS_4cuda6detail10TensorInfoIT_T1_EESB_SB_SB_SB_SA_SA_.has_indirect_call, 0
	.section	.AMDGPU.csdata,"",@progbits
; Kernel info:
; codeLenInByte = 13812
; TotalNumSgprs: 74
; NumVgprs: 38
; ScratchSize: 0
; MemoryBound: 0
; FloatMode: 240
; IeeeMode: 1
; LDSByteSize: 0 bytes/workgroup (compile time only)
; SGPRBlocks: 0
; VGPRBlocks: 4
; NumSGPRsForWavesPerEU: 74
; NumVGPRsForWavesPerEU: 38
; Occupancy: 16
; WaveLimiterHint : 1
; COMPUTE_PGM_RSRC2:SCRATCH_EN: 0
; COMPUTE_PGM_RSRC2:USER_SGPR: 6
; COMPUTE_PGM_RSRC2:TRAP_HANDLER: 0
; COMPUTE_PGM_RSRC2:TGID_X_EN: 1
; COMPUTE_PGM_RSRC2:TGID_Y_EN: 0
; COMPUTE_PGM_RSRC2:TGID_Z_EN: 0
; COMPUTE_PGM_RSRC2:TIDIG_COMP_CNT: 0
	.section	.text._ZN2at6native12_GLOBAL__N_16kernel17gru_cell_backwardIN3c108BFloat16EfiLi1EEEvNS_4cuda6detail10TensorInfoIT_T1_EESB_SB_SB_SB_SA_SA_,"axG",@progbits,_ZN2at6native12_GLOBAL__N_16kernel17gru_cell_backwardIN3c108BFloat16EfiLi1EEEvNS_4cuda6detail10TensorInfoIT_T1_EESB_SB_SB_SB_SA_SA_,comdat
	.globl	_ZN2at6native12_GLOBAL__N_16kernel17gru_cell_backwardIN3c108BFloat16EfiLi1EEEvNS_4cuda6detail10TensorInfoIT_T1_EESB_SB_SB_SB_SA_SA_ ; -- Begin function _ZN2at6native12_GLOBAL__N_16kernel17gru_cell_backwardIN3c108BFloat16EfiLi1EEEvNS_4cuda6detail10TensorInfoIT_T1_EESB_SB_SB_SB_SA_SA_
	.p2align	8
	.type	_ZN2at6native12_GLOBAL__N_16kernel17gru_cell_backwardIN3c108BFloat16EfiLi1EEEvNS_4cuda6detail10TensorInfoIT_T1_EESB_SB_SB_SB_SA_SA_,@function
_ZN2at6native12_GLOBAL__N_16kernel17gru_cell_backwardIN3c108BFloat16EfiLi1EEEvNS_4cuda6detail10TensorInfoIT_T1_EESB_SB_SB_SB_SA_SA_: ; @_ZN2at6native12_GLOBAL__N_16kernel17gru_cell_backwardIN3c108BFloat16EfiLi1EEEvNS_4cuda6detail10TensorInfoIT_T1_EESB_SB_SB_SB_SA_SA_
; %bb.0:
	s_clause 0x1
	s_load_dword s7, s[4:5], 0x44c
	s_load_dwordx2 s[2:3], s[4:5], 0x438
	s_add_u32 s0, s4, 0x440
	s_addc_u32 s1, s5, 0
	s_waitcnt lgkmcnt(0)
	s_and_b32 s19, s7, 0xffff
	v_mad_u64_u32 v[0:1], null, s6, s19, v[0:1]
	s_mov_b32 s6, exec_lo
	v_cmpx_gt_i32_e64 s3, v0
	s_cbranch_execz .LBB60_3
; %bb.1:
	s_abs_i32 s16, s2
	s_clause 0x3
	s_load_dwordx2 s[6:7], s[4:5], 0x1b0
	s_load_dword s22, s[4:5], 0x21c
	s_load_dwordx2 s[8:9], s[4:5], 0x288
	s_load_dword s23, s[4:5], 0x2f4
	s_load_dword s0, s[0:1], 0x0
	v_cvt_f32_u32_e32 v1, s16
	s_sub_i32 s14, 0, s16
	s_clause 0x3
	s_load_dwordx2 s[10:11], s[4:5], 0x0
	s_load_dword s1, s[4:5], 0x6c
	s_load_dwordx2 s[12:13], s[4:5], 0xd8
	s_load_dword s17, s[4:5], 0x144
	s_mov_b32 s18, 0
	s_lshl_b32 s20, s2, 2
	v_rcp_iflag_f32_e32 v1, v1
	s_lshl_b32 s21, s2, 1
	v_mul_f32_e32 v1, 0x4f7ffffe, v1
	s_waitcnt lgkmcnt(0)
	v_mul_lo_u32 v3, v0, s23
	s_mul_i32 s19, s0, s19
	v_cvt_u32_f32_e32 v2, v1
	s_mul_i32 s23, s19, s23
	v_mul_lo_u32 v1, s14, v2
	s_clause 0x1
	s_load_dwordx2 s[14:15], s[4:5], 0x360
	s_load_dword s4, s[4:5], 0x3cc
	s_ashr_i32 s5, s2, 31
	v_mul_hi_u32 v4, v2, v1
	v_mul_lo_u32 v1, v0, s22
	s_mul_i32 s22, s19, s22
	v_add_nc_u32_e32 v5, v2, v4
.LBB60_2:                               ; =>This Inner Loop Header: Depth=1
	v_sub_nc_u32_e32 v4, 0, v0
	v_ashrrev_i32_e32 v6, 31, v0
	v_ashrrev_i32_e32 v2, 31, v1
	v_max_i32_e32 v4, v0, v4
	v_xor_b32_e32 v16, s5, v6
	v_lshlrev_b64 v[6:7], 1, v[1:2]
	v_mul_hi_u32 v2, v4, v5
	v_lshlrev_b32_e32 v8, 2, v16
	v_add_co_u32 v6, vcc_lo, s6, v6
	v_add_co_ci_u32_e64 v7, null, s7, v7, vcc_lo
	global_load_ushort v21, v[6:7], off
	v_mul_lo_u32 v6, v2, s16
	v_add_nc_u32_e32 v7, 1, v2
	v_sub_nc_u32_e32 v4, v4, v6
	v_subrev_nc_u32_e32 v6, s16, v4
	v_cmp_le_u32_e32 vcc_lo, s16, v4
	v_cndmask_b32_e32 v2, v2, v7, vcc_lo
	v_cndmask_b32_e32 v4, v4, v6, vcc_lo
	v_add_nc_u32_e32 v6, 1, v2
	v_cmp_le_u32_e32 vcc_lo, s16, v4
	v_cndmask_b32_e32 v2, v2, v6, vcc_lo
	v_xor_b32_e32 v2, v2, v16
	v_lshlrev_b32_e32 v4, 2, v2
	v_sub_nc_u32_e32 v17, v2, v16
	v_lshlrev_b32_e32 v2, 1, v2
	v_sub_nc_u32_e32 v4, v4, v8
	v_mad_u64_u32 v[6:7], null, s20, v17, v[0:1]
	v_or_b32_e32 v7, 1, v4
	v_or_b32_e32 v10, 2, v4
	;; [unrolled: 1-line block ×3, first 2 shown]
	v_add_nc_u32_e32 v4, 4, v4
	s_waitcnt lgkmcnt(0)
	v_mul_lo_u32 v6, v6, s4
	v_mad_u64_u32 v[8:9], null, s2, v7, v[0:1]
	v_mad_u64_u32 v[9:10], null, s2, v10, v[0:1]
	;; [unrolled: 1-line block ×4, first 2 shown]
	v_ashrrev_i32_e32 v7, 31, v6
	v_mul_lo_u32 v8, v8, s4
	v_mul_lo_u32 v12, v9, s4
	v_ashrrev_i32_e32 v4, 31, v3
	v_mul_lo_u32 v10, v10, s4
	v_lshlrev_b64 v[6:7], 1, v[6:7]
	v_mul_lo_u32 v14, v11, s4
	v_add_nc_u32_e32 v1, s22, v1
	v_ashrrev_i32_e32 v9, 31, v8
	v_ashrrev_i32_e32 v13, 31, v12
	v_add_co_u32 v6, vcc_lo, s14, v6
	v_ashrrev_i32_e32 v11, 31, v10
	v_ashrrev_i32_e32 v15, 31, v14
	v_lshlrev_b64 v[12:13], 1, v[12:13]
	v_add_co_ci_u32_e64 v7, null, s15, v7, vcc_lo
	v_lshlrev_b64 v[10:11], 1, v[10:11]
	v_lshlrev_b64 v[14:15], 1, v[14:15]
	;; [unrolled: 1-line block ×3, first 2 shown]
	v_add_co_u32 v12, vcc_lo, s14, v12
	v_add_co_ci_u32_e64 v13, null, s15, v13, vcc_lo
	v_add_co_u32 v10, vcc_lo, s14, v10
	v_add_co_ci_u32_e64 v11, null, s15, v11, vcc_lo
	;; [unrolled: 2-line block ×4, first 2 shown]
	s_clause 0x4
	global_load_ushort v22, v[14:15], off
	global_load_ushort v23, v[12:13], off
	;; [unrolled: 1-line block ×5, first 2 shown]
	v_lshlrev_b64 v[6:7], 1, v[3:4]
	v_lshlrev_b32_e32 v4, 1, v16
	v_mad_u64_u32 v[8:9], null, s21, v17, v[0:1]
	v_add_nc_u32_e32 v3, s23, v3
	v_sub_nc_u32_e32 v2, v2, v4
	v_add_co_u32 v6, vcc_lo, s8, v6
	v_add_co_ci_u32_e64 v7, null, s9, v7, vcc_lo
	v_or_b32_e32 v4, 1, v2
	v_add_nc_u32_e32 v2, 2, v2
	v_mul_lo_u32 v9, v8, s1
	v_mul_lo_u32 v11, v8, s17
	v_mad_u64_u32 v[13:14], null, s2, v4, v[0:1]
	v_mad_u64_u32 v[14:15], null, s2, v2, v[0:1]
	v_add_nc_u32_e32 v0, s19, v0
	v_ashrrev_i32_e32 v10, 31, v9
	v_ashrrev_i32_e32 v12, 31, v11
	v_mul_lo_u32 v8, v13, s1
	v_mul_lo_u32 v13, v13, s17
	v_mul_lo_u32 v15, v14, s1
	v_mul_lo_u32 v17, v14, s17
	v_lshlrev_b64 v[19:20], 1, v[9:10]
	v_cmp_le_i32_e32 vcc_lo, s3, v0
	v_lshlrev_b64 v[10:11], 1, v[11:12]
	v_ashrrev_i32_e32 v9, 31, v8
	v_ashrrev_i32_e32 v14, 31, v13
	;; [unrolled: 1-line block ×4, first 2 shown]
	s_or_b32 s18, vcc_lo, s18
	v_lshlrev_b64 v[8:9], 1, v[8:9]
	v_add_co_u32 v19, vcc_lo, s10, v19
	v_lshlrev_b64 v[15:16], 1, v[15:16]
	v_add_co_ci_u32_e64 v20, null, s11, v20, vcc_lo
	v_add_co_u32 v10, vcc_lo, s12, v10
	v_lshlrev_b64 v[12:13], 1, v[13:14]
	v_add_co_ci_u32_e64 v11, null, s13, v11, vcc_lo
	v_lshlrev_b64 v[17:18], 1, v[17:18]
	v_add_co_u32 v8, vcc_lo, s10, v8
	v_add_co_ci_u32_e64 v9, null, s11, v9, vcc_lo
	v_add_co_u32 v14, vcc_lo, s10, v15
	v_add_co_ci_u32_e64 v15, null, s11, v16, vcc_lo
	;; [unrolled: 2-line block ×4, first 2 shown]
	s_waitcnt vmcnt(5)
	v_lshlrev_b32_e32 v2, 16, v21
	s_waitcnt vmcnt(4)
	v_lshlrev_b32_e32 v22, 16, v22
	;; [unrolled: 2-line block ×6, first 2 shown]
	v_sub_f32_e32 v18, v18, v4
	v_sub_f32_e32 v24, 1.0, v21
	v_mul_f32_e32 v25, v21, v2
	v_fma_f32 v4, -v4, v4, 1.0
	v_sub_f32_e32 v26, 1.0, v23
	v_mul_f32_e32 v18, v18, v2
	v_mul_f32_e32 v2, v24, v2
	v_bfe_u32 v27, v25, 16, 1
	v_cmp_o_f32_e32 vcc_lo, v25, v25
	v_mul_f32_e32 v18, v24, v18
	v_mul_f32_e32 v2, v4, v2
	v_add3_u32 v4, v25, v27, 0x7fff
	v_mul_f32_e32 v18, v18, v21
	v_mul_f32_e32 v21, v2, v22
	;; [unrolled: 1-line block ×3, first 2 shown]
	v_bfe_u32 v24, v2, 16, 1
	v_lshrrev_b32_e32 v4, 16, v4
	v_bfe_u32 v25, v18, 16, 1
	v_mul_f32_e32 v21, v26, v21
	v_bfe_u32 v26, v22, 16, 1
	v_add3_u32 v24, v2, v24, 0x7fff
	v_cndmask_b32_e32 v4, 0x7fc0, v4, vcc_lo
	v_cmp_o_f32_e32 vcc_lo, v2, v2
	v_mul_f32_e32 v21, v21, v23
	v_add3_u32 v23, v18, v25, 0x7fff
	v_lshrrev_b32_e32 v24, 16, v24
	v_add3_u32 v2, v22, v26, 0x7fff
	v_cmp_o_f32_e64 s0, v18, v18
	v_bfe_u32 v25, v21, 16, 1
	v_lshrrev_b32_e32 v23, 16, v23
	v_cndmask_b32_e32 v18, 0x7fc0, v24, vcc_lo
	v_lshrrev_b32_e32 v2, 16, v2
	v_cmp_o_f32_e32 vcc_lo, v22, v22
	v_add3_u32 v22, v21, v25, 0x7fff
	v_cndmask_b32_e64 v23, 0x7fc0, v23, s0
	v_cndmask_b32_e32 v2, 0x7fc0, v2, vcc_lo
	v_lshrrev_b32_e32 v22, 16, v22
	v_cmp_o_f32_e32 vcc_lo, v21, v21
	v_cndmask_b32_e32 v21, 0x7fc0, v22, vcc_lo
	global_store_short v[19:20], v21, off
	global_store_short v[8:9], v23, off
	;; [unrolled: 1-line block ×7, first 2 shown]
	s_andn2_b32 exec_lo, exec_lo, s18
	s_cbranch_execnz .LBB60_2
.LBB60_3:
	s_endpgm
	.section	.rodata,"a",@progbits
	.p2align	6, 0x0
	.amdhsa_kernel _ZN2at6native12_GLOBAL__N_16kernel17gru_cell_backwardIN3c108BFloat16EfiLi1EEEvNS_4cuda6detail10TensorInfoIT_T1_EESB_SB_SB_SB_SA_SA_
		.amdhsa_group_segment_fixed_size 0
		.amdhsa_private_segment_fixed_size 0
		.amdhsa_kernarg_size 1344
		.amdhsa_user_sgpr_count 6
		.amdhsa_user_sgpr_private_segment_buffer 1
		.amdhsa_user_sgpr_dispatch_ptr 0
		.amdhsa_user_sgpr_queue_ptr 0
		.amdhsa_user_sgpr_kernarg_segment_ptr 1
		.amdhsa_user_sgpr_dispatch_id 0
		.amdhsa_user_sgpr_flat_scratch_init 0
		.amdhsa_user_sgpr_private_segment_size 0
		.amdhsa_wavefront_size32 1
		.amdhsa_uses_dynamic_stack 0
		.amdhsa_system_sgpr_private_segment_wavefront_offset 0
		.amdhsa_system_sgpr_workgroup_id_x 1
		.amdhsa_system_sgpr_workgroup_id_y 0
		.amdhsa_system_sgpr_workgroup_id_z 0
		.amdhsa_system_sgpr_workgroup_info 0
		.amdhsa_system_vgpr_workitem_id 0
		.amdhsa_next_free_vgpr 28
		.amdhsa_next_free_sgpr 24
		.amdhsa_reserve_vcc 1
		.amdhsa_reserve_flat_scratch 0
		.amdhsa_float_round_mode_32 0
		.amdhsa_float_round_mode_16_64 0
		.amdhsa_float_denorm_mode_32 3
		.amdhsa_float_denorm_mode_16_64 3
		.amdhsa_dx10_clamp 1
		.amdhsa_ieee_mode 1
		.amdhsa_fp16_overflow 0
		.amdhsa_workgroup_processor_mode 1
		.amdhsa_memory_ordered 1
		.amdhsa_forward_progress 1
		.amdhsa_shared_vgpr_count 0
		.amdhsa_exception_fp_ieee_invalid_op 0
		.amdhsa_exception_fp_denorm_src 0
		.amdhsa_exception_fp_ieee_div_zero 0
		.amdhsa_exception_fp_ieee_overflow 0
		.amdhsa_exception_fp_ieee_underflow 0
		.amdhsa_exception_fp_ieee_inexact 0
		.amdhsa_exception_int_div_zero 0
	.end_amdhsa_kernel
	.section	.text._ZN2at6native12_GLOBAL__N_16kernel17gru_cell_backwardIN3c108BFloat16EfiLi1EEEvNS_4cuda6detail10TensorInfoIT_T1_EESB_SB_SB_SB_SA_SA_,"axG",@progbits,_ZN2at6native12_GLOBAL__N_16kernel17gru_cell_backwardIN3c108BFloat16EfiLi1EEEvNS_4cuda6detail10TensorInfoIT_T1_EESB_SB_SB_SB_SA_SA_,comdat
.Lfunc_end60:
	.size	_ZN2at6native12_GLOBAL__N_16kernel17gru_cell_backwardIN3c108BFloat16EfiLi1EEEvNS_4cuda6detail10TensorInfoIT_T1_EESB_SB_SB_SB_SA_SA_, .Lfunc_end60-_ZN2at6native12_GLOBAL__N_16kernel17gru_cell_backwardIN3c108BFloat16EfiLi1EEEvNS_4cuda6detail10TensorInfoIT_T1_EESB_SB_SB_SB_SA_SA_
                                        ; -- End function
	.set _ZN2at6native12_GLOBAL__N_16kernel17gru_cell_backwardIN3c108BFloat16EfiLi1EEEvNS_4cuda6detail10TensorInfoIT_T1_EESB_SB_SB_SB_SA_SA_.num_vgpr, 28
	.set _ZN2at6native12_GLOBAL__N_16kernel17gru_cell_backwardIN3c108BFloat16EfiLi1EEEvNS_4cuda6detail10TensorInfoIT_T1_EESB_SB_SB_SB_SA_SA_.num_agpr, 0
	.set _ZN2at6native12_GLOBAL__N_16kernel17gru_cell_backwardIN3c108BFloat16EfiLi1EEEvNS_4cuda6detail10TensorInfoIT_T1_EESB_SB_SB_SB_SA_SA_.numbered_sgpr, 24
	.set _ZN2at6native12_GLOBAL__N_16kernel17gru_cell_backwardIN3c108BFloat16EfiLi1EEEvNS_4cuda6detail10TensorInfoIT_T1_EESB_SB_SB_SB_SA_SA_.num_named_barrier, 0
	.set _ZN2at6native12_GLOBAL__N_16kernel17gru_cell_backwardIN3c108BFloat16EfiLi1EEEvNS_4cuda6detail10TensorInfoIT_T1_EESB_SB_SB_SB_SA_SA_.private_seg_size, 0
	.set _ZN2at6native12_GLOBAL__N_16kernel17gru_cell_backwardIN3c108BFloat16EfiLi1EEEvNS_4cuda6detail10TensorInfoIT_T1_EESB_SB_SB_SB_SA_SA_.uses_vcc, 1
	.set _ZN2at6native12_GLOBAL__N_16kernel17gru_cell_backwardIN3c108BFloat16EfiLi1EEEvNS_4cuda6detail10TensorInfoIT_T1_EESB_SB_SB_SB_SA_SA_.uses_flat_scratch, 0
	.set _ZN2at6native12_GLOBAL__N_16kernel17gru_cell_backwardIN3c108BFloat16EfiLi1EEEvNS_4cuda6detail10TensorInfoIT_T1_EESB_SB_SB_SB_SA_SA_.has_dyn_sized_stack, 0
	.set _ZN2at6native12_GLOBAL__N_16kernel17gru_cell_backwardIN3c108BFloat16EfiLi1EEEvNS_4cuda6detail10TensorInfoIT_T1_EESB_SB_SB_SB_SA_SA_.has_recursion, 0
	.set _ZN2at6native12_GLOBAL__N_16kernel17gru_cell_backwardIN3c108BFloat16EfiLi1EEEvNS_4cuda6detail10TensorInfoIT_T1_EESB_SB_SB_SB_SA_SA_.has_indirect_call, 0
	.section	.AMDGPU.csdata,"",@progbits
; Kernel info:
; codeLenInByte = 1344
; TotalNumSgprs: 26
; NumVgprs: 28
; ScratchSize: 0
; MemoryBound: 0
; FloatMode: 240
; IeeeMode: 1
; LDSByteSize: 0 bytes/workgroup (compile time only)
; SGPRBlocks: 0
; VGPRBlocks: 3
; NumSGPRsForWavesPerEU: 26
; NumVGPRsForWavesPerEU: 28
; Occupancy: 16
; WaveLimiterHint : 1
; COMPUTE_PGM_RSRC2:SCRATCH_EN: 0
; COMPUTE_PGM_RSRC2:USER_SGPR: 6
; COMPUTE_PGM_RSRC2:TRAP_HANDLER: 0
; COMPUTE_PGM_RSRC2:TGID_X_EN: 1
; COMPUTE_PGM_RSRC2:TGID_Y_EN: 0
; COMPUTE_PGM_RSRC2:TGID_Z_EN: 0
; COMPUTE_PGM_RSRC2:TIDIG_COMP_CNT: 0
	.section	.text._ZN2at6native12_GLOBAL__N_16kernel17gru_cell_backwardIN3c108BFloat16EfiLi2EEEvNS_4cuda6detail10TensorInfoIT_T1_EESB_SB_SB_SB_SA_SA_,"axG",@progbits,_ZN2at6native12_GLOBAL__N_16kernel17gru_cell_backwardIN3c108BFloat16EfiLi2EEEvNS_4cuda6detail10TensorInfoIT_T1_EESB_SB_SB_SB_SA_SA_,comdat
	.globl	_ZN2at6native12_GLOBAL__N_16kernel17gru_cell_backwardIN3c108BFloat16EfiLi2EEEvNS_4cuda6detail10TensorInfoIT_T1_EESB_SB_SB_SB_SA_SA_ ; -- Begin function _ZN2at6native12_GLOBAL__N_16kernel17gru_cell_backwardIN3c108BFloat16EfiLi2EEEvNS_4cuda6detail10TensorInfoIT_T1_EESB_SB_SB_SB_SA_SA_
	.p2align	8
	.type	_ZN2at6native12_GLOBAL__N_16kernel17gru_cell_backwardIN3c108BFloat16EfiLi2EEEvNS_4cuda6detail10TensorInfoIT_T1_EESB_SB_SB_SB_SA_SA_,@function
_ZN2at6native12_GLOBAL__N_16kernel17gru_cell_backwardIN3c108BFloat16EfiLi2EEEvNS_4cuda6detail10TensorInfoIT_T1_EESB_SB_SB_SB_SA_SA_: ; @_ZN2at6native12_GLOBAL__N_16kernel17gru_cell_backwardIN3c108BFloat16EfiLi2EEEvNS_4cuda6detail10TensorInfoIT_T1_EESB_SB_SB_SB_SA_SA_
; %bb.0:
	s_clause 0x1
	s_load_dword s2, s[4:5], 0x44c
	s_load_dwordx2 s[8:9], s[4:5], 0x438
	s_add_u32 s0, s4, 0x440
	s_addc_u32 s1, s5, 0
	s_mov_b32 s3, exec_lo
	s_waitcnt lgkmcnt(0)
	s_and_b32 s2, s2, 0xffff
	v_mad_u64_u32 v[0:1], null, s6, s2, v[0:1]
	v_cmpx_gt_i32_e64 s9, v0
	s_cbranch_execz .LBB61_3
; %bb.1:
	s_clause 0x2
	s_load_dword s3, s[4:5], 0x36c
	s_load_dword s26, s[4:5], 0xc
	;; [unrolled: 1-line block ×4, first 2 shown]
	s_clause 0x3
	s_load_dword s28, s[4:5], 0xe4
	s_load_dwordx2 s[6:7], s[4:5], 0x144
	s_load_dwordx2 s[10:11], s[4:5], 0x1b0
	s_load_dword s0, s[4:5], 0x294
	s_abs_i32 s27, s8
	s_clause 0x7
	s_load_dwordx2 s[12:13], s[4:5], 0x0
	s_load_dwordx2 s[14:15], s[4:5], 0x6c
	;; [unrolled: 1-line block ×8, first 2 shown]
	v_cvt_f32_u32_e32 v1, s27
	s_sub_i32 s1, 0, s27
	s_ashr_i32 s36, s8, 31
	s_mov_b32 s37, 0
	s_lshl_b32 s43, s8, 2
	v_rcp_iflag_f32_e32 v1, v1
	s_lshl_b32 s44, s8, 1
	s_waitcnt lgkmcnt(0)
	s_abs_i32 s29, s3
	s_abs_i32 s33, s26
	v_cvt_f32_u32_e32 v2, s29
	s_abs_i32 s30, s45
	s_abs_i32 s34, s28
	v_cvt_f32_u32_e32 v3, s30
	v_cvt_f32_u32_e32 v4, s33
	v_rcp_iflag_f32_e32 v2, v2
	s_abs_i32 s35, s0
	v_cvt_f32_u32_e32 v5, s34
	v_cvt_f32_u32_e32 v7, s35
	v_rcp_iflag_f32_e32 v3, v3
	v_rcp_iflag_f32_e32 v4, v4
	v_mul_f32_e32 v1, 0x4f7ffffe, v1
	v_rcp_iflag_f32_e32 v5, v5
	v_rcp_iflag_f32_e32 v7, v7
	s_mul_i32 s31, s31, s2
	v_mul_f32_e32 v2, 0x4f7ffffe, v2
	v_cvt_u32_f32_e32 v1, v1
	s_sub_i32 s2, 0, s30
	s_ashr_i32 s38, s3, 31
	v_mul_f32_e32 v3, 0x4f7ffffe, v3
	v_cvt_u32_f32_e32 v2, v2
	v_mul_f32_e32 v4, 0x4f7ffffe, v4
	v_mul_lo_u32 v6, s1, v1
	s_sub_i32 s1, 0, s29
	v_mul_f32_e32 v5, 0x4f7ffffe, v5
	v_mul_f32_e32 v7, 0x4f7ffffe, v7
	v_mul_lo_u32 v8, s1, v2
	v_cvt_u32_f32_e32 v3, v3
	v_cvt_u32_f32_e32 v4, v4
	;; [unrolled: 1-line block ×4, first 2 shown]
	s_sub_i32 s1, 0, s33
	v_mul_lo_u32 v9, s2, v3
	s_sub_i32 s2, 0, s34
	v_mul_lo_u32 v10, s1, v4
	s_sub_i32 s1, 0, s35
	v_mul_hi_u32 v6, v1, v6
	v_mul_lo_u32 v11, s2, v5
	v_mul_hi_u32 v8, v2, v8
	v_mul_lo_u32 v12, s1, v7
	v_mul_hi_u32 v9, v3, v9
	s_ashr_i32 s39, s45, 31
	s_ashr_i32 s40, s26, 31
	;; [unrolled: 1-line block ×3, first 2 shown]
	v_add_nc_u32_e32 v1, v1, v6
	v_mul_hi_u32 v6, v4, v10
	v_mul_hi_u32 v10, v5, v11
	v_add_nc_u32_e32 v2, v2, v8
	v_mul_hi_u32 v8, v7, v12
	v_add_nc_u32_e32 v3, v3, v9
	s_ashr_i32 s42, s0, 31
	s_sub_i32 s45, 0, s45
	s_sub_i32 s46, 0, s0
	v_add_nc_u32_e32 v4, v4, v6
	v_add_nc_u32_e32 v5, v5, v10
	;; [unrolled: 1-line block ×3, first 2 shown]
.LBB61_2:                               ; =>This Inner Loop Header: Depth=1
	v_sub_nc_u32_e32 v7, 0, v0
	v_ashrrev_i32_e32 v8, 31, v0
	v_max_i32_e32 v7, v0, v7
	v_xor_b32_e32 v9, s36, v8
	v_xor_b32_e32 v10, s39, v8
	;; [unrolled: 1-line block ×3, first 2 shown]
	v_mul_hi_u32 v11, v7, v1
	v_mul_hi_u32 v12, v7, v3
	v_lshlrev_b32_e32 v13, 2, v9
	v_mul_lo_u32 v14, v11, s27
	v_mul_lo_u32 v15, v12, s30
	v_add_nc_u32_e32 v16, 1, v11
	v_add_nc_u32_e32 v17, 1, v12
	v_sub_nc_u32_e32 v14, v7, v14
	v_sub_nc_u32_e32 v15, v7, v15
	v_subrev_nc_u32_e32 v18, s27, v14
	v_cmp_le_u32_e32 vcc_lo, s27, v14
	v_cmp_le_u32_e64 s0, s30, v15
	v_cndmask_b32_e32 v11, v11, v16, vcc_lo
	v_subrev_nc_u32_e32 v16, s30, v15
	v_cndmask_b32_e32 v14, v14, v18, vcc_lo
	v_cndmask_b32_e64 v12, v12, v17, s0
	v_add_nc_u32_e32 v17, 1, v11
	v_cndmask_b32_e64 v15, v15, v16, s0
	v_cmp_le_u32_e32 vcc_lo, s27, v14
	v_add_nc_u32_e32 v16, 1, v12
	v_cndmask_b32_e32 v11, v11, v17, vcc_lo
	v_cmp_le_u32_e32 vcc_lo, s30, v15
	v_xor_b32_e32 v21, v11, v9
	v_cndmask_b32_e32 v12, v12, v16, vcc_lo
	v_sub_nc_u32_e32 v22, v21, v9
	v_xor_b32_e32 v11, v12, v10
	v_lshlrev_b32_e32 v12, 2, v21
	v_lshlrev_b32_e32 v9, 1, v9
	v_mul_lo_u32 v15, s43, v22
	v_sub_nc_u32_e32 v14, v11, v10
	v_sub_nc_u32_e32 v12, v12, v13
	v_mad_u64_u32 v[10:11], null, s45, v14, v[0:1]
	v_or_b32_e32 v11, 1, v12
	v_add_nc_u32_e32 v17, v0, v15
	v_or_b32_e32 v13, 2, v12
	v_or_b32_e32 v16, 3, v12
	v_add_nc_u32_e32 v12, 4, v12
	v_mul_lo_u32 v18, s8, v11
	v_mul_lo_u32 v10, v10, s19
	v_ashrrev_i32_e32 v17, 31, v17
	v_mul_lo_u32 v13, s8, v13
	v_mul_lo_u32 v16, s8, v16
	;; [unrolled: 1-line block ×3, first 2 shown]
	v_add_nc_u32_e32 v19, v0, v18
	v_mad_u64_u32 v[10:11], null, v14, s18, v[10:11]
	v_add3_u32 v11, v17, v15, v0
	v_xor_b32_e32 v14, s38, v17
	v_ashrrev_i32_e32 v19, 31, v19
	v_add_nc_u32_e32 v20, v0, v13
	v_add_nc_u32_e32 v23, v0, v16
	v_xor_b32_e32 v17, v11, v17
	v_ashrrev_i32_e32 v11, 31, v10
	v_add3_u32 v27, v19, v18, v0
	v_add_nc_u32_e32 v24, v0, v12
	v_ashrrev_i32_e32 v20, 31, v20
	v_mul_hi_u32 v25, v17, v2
	v_lshlrev_b64 v[10:11], 1, v[10:11]
	v_ashrrev_i32_e32 v23, 31, v23
	v_xor_b32_e32 v26, s38, v19
	v_xor_b32_e32 v19, v27, v19
	v_ashrrev_i32_e32 v24, 31, v24
	v_add3_u32 v29, v20, v13, v0
	v_add_co_u32 v10, vcc_lo, s10, v10
	v_mul_lo_u32 v27, v25, s29
	v_add3_u32 v31, v23, v16, v0
	v_add_co_ci_u32_e64 v11, null, s11, v11, vcc_lo
	v_xor_b32_e32 v28, s38, v20
	v_xor_b32_e32 v30, s38, v23
	v_add3_u32 v33, v24, v12, v0
	v_xor_b32_e32 v20, v29, v20
	v_xor_b32_e32 v23, v31, v23
	v_mul_hi_u32 v31, v19, v2
	global_load_ushort v10, v[10:11], off
	v_sub_nc_u32_e32 v11, v17, v27
	v_xor_b32_e32 v32, s38, v24
	v_xor_b32_e32 v24, v33, v24
	v_mul_hi_u32 v33, v20, v2
	v_add_nc_u32_e32 v29, 1, v25
	v_subrev_nc_u32_e32 v42, s29, v11
	v_cmp_le_u32_e32 vcc_lo, s29, v11
	v_mul_lo_u32 v17, v31, s29
	v_mul_hi_u32 v34, v23, v2
	v_mul_hi_u32 v35, v24, v2
	v_add_nc_u32_e32 v27, 1, v31
	v_cndmask_b32_e32 v25, v25, v29, vcc_lo
	v_cndmask_b32_e32 v11, v11, v42, vcc_lo
	v_mul_lo_u32 v36, v33, s29
	v_add_nc_u32_e32 v37, 1, v33
	v_sub_nc_u32_e32 v17, v19, v17
	v_add_nc_u32_e32 v29, 1, v25
	v_cmp_le_u32_e32 vcc_lo, s29, v11
	v_mul_lo_u32 v38, v34, s29
	v_mul_lo_u32 v40, v35, s29
	v_add_nc_u32_e32 v39, 1, v34
	v_sub_nc_u32_e32 v19, v20, v36
	v_cndmask_b32_e32 v11, v25, v29, vcc_lo
	v_cmp_le_u32_e32 vcc_lo, s29, v17
	v_subrev_nc_u32_e32 v25, s29, v17
	v_add_nc_u32_e32 v41, 1, v35
	v_sub_nc_u32_e32 v20, v23, v38
	v_sub_nc_u32_e32 v23, v24, v40
	v_cndmask_b32_e32 v24, v31, v27, vcc_lo
	v_cmp_le_u32_e64 s0, s29, v19
	v_subrev_nc_u32_e32 v29, s29, v19
	v_cndmask_b32_e32 v17, v17, v25, vcc_lo
	v_cmp_le_u32_e64 s1, s29, v20
	v_cmp_le_u32_e64 s2, s29, v23
	v_cndmask_b32_e64 v27, v33, v37, s0
	v_subrev_nc_u32_e32 v33, s29, v20
	v_xor_b32_e32 v11, v11, v14
	v_add_nc_u32_e32 v25, 1, v24
	v_cndmask_b32_e64 v19, v19, v29, s0
	v_cmp_le_u32_e32 vcc_lo, s29, v17
	v_cndmask_b32_e64 v31, v34, v39, s1
	v_cndmask_b32_e64 v34, v35, v41, s2
	v_subrev_nc_u32_e32 v35, s29, v23
	v_add_nc_u32_e32 v29, 1, v27
	v_cndmask_b32_e64 v20, v20, v33, s1
	v_sub_nc_u32_e32 v14, v11, v14
	v_cndmask_b32_e32 v11, v24, v25, vcc_lo
	v_cmp_le_u32_e32 vcc_lo, s29, v19
	v_add_nc_u32_e32 v33, 1, v31
	v_cndmask_b32_e64 v23, v23, v35, s2
	v_add_nc_u32_e32 v35, 1, v34
	v_xor_b32_e32 v11, v11, v26
	v_cndmask_b32_e32 v17, v27, v29, vcc_lo
	v_cmp_le_u32_e32 vcc_lo, s29, v20
	v_sub_nc_u32_e32 v24, v11, v26
	v_xor_b32_e32 v17, v17, v28
	v_cndmask_b32_e32 v19, v31, v33, vcc_lo
	v_cmp_le_u32_e32 vcc_lo, s29, v23
	v_mul_lo_u32 v23, v14, s3
	v_sub_nc_u32_e32 v25, v17, v28
	v_xor_b32_e32 v19, v19, v30
	v_cndmask_b32_e32 v20, v34, v35, vcc_lo
	v_mul_lo_u32 v17, v25, s3
	v_sub_nc_u32_e32 v19, v19, v30
	v_xor_b32_e32 v20, v20, v32
	v_sub_nc_u32_e32 v11, v15, v23
	v_mul_lo_u32 v15, v24, s3
	v_sub_nc_u32_e32 v26, v20, v32
	v_mul_lo_u32 v20, v19, s3
	v_add_nc_u32_e32 v11, v0, v11
	v_sub_nc_u32_e32 v13, v13, v17
	v_mul_lo_u32 v23, v26, s3
	v_sub_nc_u32_e32 v15, v18, v15
	v_mul_lo_u32 v11, v11, s5
	v_add_nc_u32_e32 v17, v0, v13
	v_sub_nc_u32_e32 v16, v16, v20
	v_add_nc_u32_e32 v15, v0, v15
	v_sub_nc_u32_e32 v12, v12, v23
	v_add_nc_u32_e32 v16, v0, v16
	v_mul_lo_u32 v13, v15, s5
	v_add_nc_u32_e32 v18, v0, v12
	v_mad_u64_u32 v[11:12], null, v14, s4, v[11:12]
	v_mul_lo_u32 v14, v17, s5
	v_mul_lo_u32 v15, v16, s5
	;; [unrolled: 1-line block ×3, first 2 shown]
	v_ashrrev_i32_e32 v12, 31, v11
	v_mad_u64_u32 v[17:18], null, v24, s4, v[13:14]
	v_mad_u64_u32 v[13:14], null, v25, s4, v[14:15]
	;; [unrolled: 1-line block ×3, first 2 shown]
	v_lshlrev_b64 v[11:12], 1, v[11:12]
	v_mad_u64_u32 v[15:16], null, v26, s4, v[16:17]
	v_ashrrev_i32_e32 v14, 31, v13
	v_ashrrev_i32_e32 v18, 31, v17
	;; [unrolled: 1-line block ×3, first 2 shown]
	v_add_co_u32 v11, vcc_lo, s24, v11
	v_lshlrev_b64 v[13:14], 1, v[13:14]
	v_ashrrev_i32_e32 v16, 31, v15
	v_lshlrev_b64 v[19:20], 1, v[19:20]
	v_add_co_ci_u32_e64 v12, null, s25, v12, vcc_lo
	v_lshlrev_b64 v[17:18], 1, v[17:18]
	v_lshlrev_b64 v[15:16], 1, v[15:16]
	v_add_co_u32 v13, vcc_lo, s24, v13
	v_add_co_ci_u32_e64 v14, null, s25, v14, vcc_lo
	v_add_co_u32 v19, vcc_lo, s24, v19
	v_add_co_ci_u32_e64 v20, null, s25, v20, vcc_lo
	;; [unrolled: 2-line block ×4, first 2 shown]
	s_clause 0x4
	global_load_ushort v24, v[15:16], off
	global_load_ushort v25, v[13:14], off
	;; [unrolled: 1-line block ×5, first 2 shown]
	v_mul_hi_u32 v11, v7, v6
	v_mul_lo_u32 v12, v11, s35
	v_add_nc_u32_e32 v13, 1, v11
	v_sub_nc_u32_e32 v7, v7, v12
	v_subrev_nc_u32_e32 v12, s35, v7
	v_cmp_le_u32_e32 vcc_lo, s35, v7
	v_cndmask_b32_e32 v11, v11, v13, vcc_lo
	v_cndmask_b32_e32 v7, v7, v12, vcc_lo
	v_mul_lo_u32 v13, s44, v22
	v_add_nc_u32_e32 v12, 1, v11
	v_cmp_le_u32_e32 vcc_lo, s35, v7
	v_cndmask_b32_e32 v7, v11, v12, vcc_lo
	v_lshlrev_b32_e32 v11, 1, v21
	v_xor_b32_e32 v7, v7, v8
	v_sub_nc_u32_e32 v9, v11, v9
	v_add_nc_u32_e32 v11, v0, v13
	v_sub_nc_u32_e32 v12, v7, v8
	v_mad_u64_u32 v[7:8], null, s46, v12, v[0:1]
	v_or_b32_e32 v8, 1, v9
	v_add_nc_u32_e32 v9, 2, v9
	v_mul_lo_u32 v14, s8, v8
	v_mul_lo_u32 v7, v7, s23
	;; [unrolled: 1-line block ×3, first 2 shown]
	v_ashrrev_i32_e32 v9, 31, v11
	v_add_nc_u32_e32 v11, v0, v14
	v_mad_u64_u32 v[7:8], null, v12, s22, v[7:8]
	v_add3_u32 v8, v9, v13, v0
	v_xor_b32_e32 v12, s40, v9
	v_add_nc_u32_e32 v16, v0, v15
	v_xor_b32_e32 v17, s41, v9
	v_ashrrev_i32_e32 v11, 31, v11
	v_xor_b32_e32 v9, v8, v9
	v_ashrrev_i32_e32 v8, 31, v7
	v_ashrrev_i32_e32 v16, 31, v16
	v_add3_u32 v20, v11, v14, v0
	v_mul_hi_u32 v18, v9, v4
	v_mul_hi_u32 v23, v9, v5
	v_add3_u32 v22, v16, v15, v0
	v_xor_b32_e32 v19, s40, v11
	v_xor_b32_e32 v29, s41, v11
	;; [unrolled: 1-line block ×5, first 2 shown]
	v_mul_lo_u32 v20, v18, s33
	v_xor_b32_e32 v16, v22, v16
	v_lshlrev_b64 v[7:8], 1, v[7:8]
	v_mul_lo_u32 v31, v23, s34
	v_mul_hi_u32 v33, v11, v4
	v_add_nc_u32_e32 v22, 1, v18
	v_mul_hi_u32 v34, v16, v4
	v_mul_hi_u32 v35, v11, v5
	v_sub_nc_u32_e32 v20, v9, v20
	v_add_co_u32 v7, vcc_lo, s20, v7
	v_add_co_ci_u32_e64 v8, null, s21, v8, vcc_lo
	v_sub_nc_u32_e32 v9, v9, v31
	v_subrev_nc_u32_e32 v44, s33, v20
	v_cmp_le_u32_e32 vcc_lo, s33, v20
	v_mul_lo_u32 v31, v33, s33
	v_mul_lo_u32 v38, v34, s33
	v_mul_hi_u32 v36, v16, v5
	v_add_nc_u32_e32 v32, 1, v23
	v_cndmask_b32_e32 v18, v18, v22, vcc_lo
	v_cmp_le_u32_e64 s0, s34, v9
	v_cndmask_b32_e32 v20, v20, v44, vcc_lo
	v_mul_lo_u32 v40, v35, s34
	v_sub_nc_u32_e32 v31, v11, v31
	v_sub_nc_u32_e32 v38, v16, v38
	v_cndmask_b32_e64 v22, v23, v32, s0
	v_subrev_nc_u32_e32 v23, s34, v9
	v_add_nc_u32_e32 v32, 1, v18
	v_cmp_le_u32_e32 vcc_lo, s33, v20
	v_mul_lo_u32 v42, v36, s34
	v_add_nc_u32_e32 v37, 1, v33
	v_add_nc_u32_e32 v39, 1, v34
	v_cndmask_b32_e64 v9, v9, v23, s0
	v_cndmask_b32_e32 v18, v18, v32, vcc_lo
	v_cmp_le_u32_e32 vcc_lo, s33, v31
	v_subrev_nc_u32_e32 v32, s33, v31
	v_cmp_le_u32_e64 s0, s33, v38
	v_add_nc_u32_e32 v23, 1, v22
	v_sub_nc_u32_e32 v11, v11, v40
	v_sub_nc_u32_e32 v16, v16, v42
	v_cndmask_b32_e32 v20, v33, v37, vcc_lo
	v_cndmask_b32_e64 v33, v34, v39, s0
	v_subrev_nc_u32_e32 v34, s33, v38
	v_cmp_le_u32_e64 s1, s34, v9
	v_cndmask_b32_e32 v31, v31, v32, vcc_lo
	v_add_nc_u32_e32 v41, 1, v35
	v_add_nc_u32_e32 v43, 1, v36
	v_cmp_le_u32_e64 s2, s34, v16
	v_cndmask_b32_e64 v9, v22, v23, s1
	v_cmp_le_u32_e64 s1, s34, v11
	v_subrev_nc_u32_e32 v23, s34, v11
	v_xor_b32_e32 v18, v18, v12
	v_add_nc_u32_e32 v32, 1, v20
	v_cndmask_b32_e64 v34, v38, v34, s0
	v_cmp_le_u32_e32 vcc_lo, s33, v31
	v_cndmask_b32_e64 v22, v35, v41, s1
	v_cndmask_b32_e64 v35, v36, v43, s2
	v_subrev_nc_u32_e32 v36, s34, v16
	v_add_nc_u32_e32 v37, 1, v33
	v_cndmask_b32_e64 v11, v11, v23, s1
	v_sub_nc_u32_e32 v12, v18, v12
	v_cndmask_b32_e32 v18, v20, v32, vcc_lo
	v_cmp_le_u32_e32 vcc_lo, s33, v34
	v_xor_b32_e32 v9, v9, v17
	v_add_nc_u32_e32 v23, 1, v22
	v_cndmask_b32_e64 v16, v16, v36, s2
	v_add_nc_u32_e32 v36, 1, v35
	v_cndmask_b32_e32 v20, v33, v37, vcc_lo
	v_cmp_le_u32_e32 vcc_lo, s34, v11
	v_sub_nc_u32_e32 v17, v9, v17
	v_xor_b32_e32 v18, v18, v19
	v_xor_b32_e32 v20, v20, v21
	v_cndmask_b32_e32 v9, v22, v23, vcc_lo
	v_cmp_le_u32_e32 vcc_lo, s34, v16
	v_mul_lo_u32 v16, v12, s26
	v_mul_lo_u32 v22, v17, s28
	v_sub_nc_u32_e32 v18, v18, v19
	v_xor_b32_e32 v9, v9, v29
	v_cndmask_b32_e32 v11, v35, v36, vcc_lo
	v_sub_nc_u32_e32 v20, v20, v21
	v_sub_nc_u32_e32 v23, v9, v29
	v_xor_b32_e32 v11, v11, v30
	v_sub_nc_u32_e32 v9, v13, v16
	v_mul_lo_u32 v16, v20, s26
	v_mul_lo_u32 v19, v23, s28
	v_sub_nc_u32_e32 v29, v11, v30
	v_sub_nc_u32_e32 v11, v13, v22
	v_mul_lo_u32 v13, v18, s26
	v_add_nc_u32_e32 v9, v0, v9
	v_mul_lo_u32 v21, v29, s28
	v_add_nc_u32_e32 v11, v0, v11
	v_sub_nc_u32_e32 v16, v15, v16
	v_mul_lo_u32 v9, v9, s15
	v_sub_nc_u32_e32 v13, v14, v13
	v_sub_nc_u32_e32 v14, v14, v19
	v_mul_lo_u32 v11, v11, s7
	v_sub_nc_u32_e32 v15, v15, v21
	v_add_nc_u32_e32 v16, v0, v16
	v_add_nc_u32_e32 v19, v0, v13
	s_waitcnt vmcnt(5)
	v_mad_u64_u32 v[12:13], null, v12, s14, v[9:10]
	v_add_nc_u32_e32 v21, v0, v14
	v_add_nc_u32_e32 v22, v0, v15
	v_mul_lo_u32 v9, v19, s15
	v_add_nc_u32_e32 v0, s31, v0
	v_mad_u64_u32 v[14:15], null, v17, s6, v[11:12]
	v_mul_lo_u32 v11, v16, s15
	v_mul_lo_u32 v16, v21, s7
	;; [unrolled: 1-line block ×3, first 2 shown]
	v_mad_u64_u32 v[18:19], null, v18, s14, v[9:10]
	v_ashrrev_i32_e32 v13, 31, v12
	v_ashrrev_i32_e32 v15, 31, v14
	v_cmp_le_i32_e32 vcc_lo, s9, v0
	v_mad_u64_u32 v[20:21], null, v20, s14, v[11:12]
	v_mad_u64_u32 v[22:23], null, v23, s6, v[16:17]
	;; [unrolled: 1-line block ×3, first 2 shown]
	v_ashrrev_i32_e32 v19, 31, v18
	v_lshlrev_b64 v[11:12], 1, v[12:13]
	v_ashrrev_i32_e32 v21, 31, v20
	v_lshlrev_b64 v[13:14], 1, v[14:15]
	v_ashrrev_i32_e32 v23, 31, v22
	v_lshlrev_b64 v[18:19], 1, v[18:19]
	v_ashrrev_i32_e32 v17, 31, v16
	s_or_b32 s37, vcc_lo, s37
	v_add_co_u32 v11, vcc_lo, s12, v11
	v_lshlrev_b64 v[20:21], 1, v[20:21]
	v_add_co_ci_u32_e64 v12, null, s13, v12, vcc_lo
	v_add_co_u32 v13, vcc_lo, s16, v13
	v_lshlrev_b64 v[22:23], 1, v[22:23]
	v_add_co_ci_u32_e64 v14, null, s17, v14, vcc_lo
	v_lshlrev_b64 v[15:16], 1, v[16:17]
	v_add_co_u32 v17, vcc_lo, s12, v18
	v_add_co_ci_u32_e64 v18, null, s13, v19, vcc_lo
	v_add_co_u32 v19, vcc_lo, s12, v20
	v_add_co_ci_u32_e64 v20, null, s13, v21, vcc_lo
	;; [unrolled: 2-line block ×3, first 2 shown]
	v_lshlrev_b32_e32 v9, 16, v10
	v_add_co_u32 v15, vcc_lo, s16, v15
	v_add_co_ci_u32_e64 v16, null, s17, v16, vcc_lo
	s_waitcnt vmcnt(4)
	v_lshlrev_b32_e32 v24, 16, v24
	s_waitcnt vmcnt(3)
	v_lshlrev_b32_e32 v10, 16, v25
	;; [unrolled: 2-line block ×5, first 2 shown]
	v_sub_f32_e32 v23, v23, v10
	v_sub_f32_e32 v27, 1.0, v25
	v_mul_f32_e32 v28, v25, v9
	v_fma_f32 v10, -v10, v10, 1.0
	v_sub_f32_e32 v29, 1.0, v26
	v_mul_f32_e32 v23, v23, v9
	v_mul_f32_e32 v9, v27, v9
	v_bfe_u32 v30, v28, 16, 1
	v_cmp_o_f32_e32 vcc_lo, v28, v28
	v_mul_f32_e32 v23, v27, v23
	v_mul_f32_e32 v9, v10, v9
	v_add3_u32 v10, v28, v30, 0x7fff
	v_mul_f32_e32 v23, v23, v25
	v_mul_f32_e32 v24, v9, v24
	v_mul_f32_e32 v25, v9, v26
	v_bfe_u32 v27, v9, 16, 1
	v_lshrrev_b32_e32 v10, 16, v10
	v_bfe_u32 v28, v23, 16, 1
	v_mul_f32_e32 v24, v29, v24
	v_bfe_u32 v29, v25, 16, 1
	v_add3_u32 v27, v9, v27, 0x7fff
	v_cndmask_b32_e32 v10, 0x7fc0, v10, vcc_lo
	v_cmp_o_f32_e32 vcc_lo, v9, v9
	v_mul_f32_e32 v24, v24, v26
	v_add3_u32 v26, v23, v28, 0x7fff
	v_lshrrev_b32_e32 v27, 16, v27
	v_add3_u32 v9, v25, v29, 0x7fff
	v_cmp_o_f32_e64 s0, v23, v23
	v_bfe_u32 v28, v24, 16, 1
	v_lshrrev_b32_e32 v26, 16, v26
	v_cndmask_b32_e32 v23, 0x7fc0, v27, vcc_lo
	v_lshrrev_b32_e32 v9, 16, v9
	v_cmp_o_f32_e32 vcc_lo, v25, v25
	v_add3_u32 v25, v24, v28, 0x7fff
	v_cndmask_b32_e64 v26, 0x7fc0, v26, s0
	v_cndmask_b32_e32 v9, 0x7fc0, v9, vcc_lo
	v_lshrrev_b32_e32 v25, 16, v25
	v_cmp_o_f32_e32 vcc_lo, v24, v24
	v_cndmask_b32_e32 v24, 0x7fc0, v25, vcc_lo
	global_store_short v[11:12], v24, off
	global_store_short v[17:18], v26, off
	;; [unrolled: 1-line block ×7, first 2 shown]
	s_andn2_b32 exec_lo, exec_lo, s37
	s_cbranch_execnz .LBB61_2
.LBB61_3:
	s_endpgm
	.section	.rodata,"a",@progbits
	.p2align	6, 0x0
	.amdhsa_kernel _ZN2at6native12_GLOBAL__N_16kernel17gru_cell_backwardIN3c108BFloat16EfiLi2EEEvNS_4cuda6detail10TensorInfoIT_T1_EESB_SB_SB_SB_SA_SA_
		.amdhsa_group_segment_fixed_size 0
		.amdhsa_private_segment_fixed_size 0
		.amdhsa_kernarg_size 1344
		.amdhsa_user_sgpr_count 6
		.amdhsa_user_sgpr_private_segment_buffer 1
		.amdhsa_user_sgpr_dispatch_ptr 0
		.amdhsa_user_sgpr_queue_ptr 0
		.amdhsa_user_sgpr_kernarg_segment_ptr 1
		.amdhsa_user_sgpr_dispatch_id 0
		.amdhsa_user_sgpr_flat_scratch_init 0
		.amdhsa_user_sgpr_private_segment_size 0
		.amdhsa_wavefront_size32 1
		.amdhsa_uses_dynamic_stack 0
		.amdhsa_system_sgpr_private_segment_wavefront_offset 0
		.amdhsa_system_sgpr_workgroup_id_x 1
		.amdhsa_system_sgpr_workgroup_id_y 0
		.amdhsa_system_sgpr_workgroup_id_z 0
		.amdhsa_system_sgpr_workgroup_info 0
		.amdhsa_system_vgpr_workitem_id 0
		.amdhsa_next_free_vgpr 45
		.amdhsa_next_free_sgpr 47
		.amdhsa_reserve_vcc 1
		.amdhsa_reserve_flat_scratch 0
		.amdhsa_float_round_mode_32 0
		.amdhsa_float_round_mode_16_64 0
		.amdhsa_float_denorm_mode_32 3
		.amdhsa_float_denorm_mode_16_64 3
		.amdhsa_dx10_clamp 1
		.amdhsa_ieee_mode 1
		.amdhsa_fp16_overflow 0
		.amdhsa_workgroup_processor_mode 1
		.amdhsa_memory_ordered 1
		.amdhsa_forward_progress 1
		.amdhsa_shared_vgpr_count 0
		.amdhsa_exception_fp_ieee_invalid_op 0
		.amdhsa_exception_fp_denorm_src 0
		.amdhsa_exception_fp_ieee_div_zero 0
		.amdhsa_exception_fp_ieee_overflow 0
		.amdhsa_exception_fp_ieee_underflow 0
		.amdhsa_exception_fp_ieee_inexact 0
		.amdhsa_exception_int_div_zero 0
	.end_amdhsa_kernel
	.section	.text._ZN2at6native12_GLOBAL__N_16kernel17gru_cell_backwardIN3c108BFloat16EfiLi2EEEvNS_4cuda6detail10TensorInfoIT_T1_EESB_SB_SB_SB_SA_SA_,"axG",@progbits,_ZN2at6native12_GLOBAL__N_16kernel17gru_cell_backwardIN3c108BFloat16EfiLi2EEEvNS_4cuda6detail10TensorInfoIT_T1_EESB_SB_SB_SB_SA_SA_,comdat
.Lfunc_end61:
	.size	_ZN2at6native12_GLOBAL__N_16kernel17gru_cell_backwardIN3c108BFloat16EfiLi2EEEvNS_4cuda6detail10TensorInfoIT_T1_EESB_SB_SB_SB_SA_SA_, .Lfunc_end61-_ZN2at6native12_GLOBAL__N_16kernel17gru_cell_backwardIN3c108BFloat16EfiLi2EEEvNS_4cuda6detail10TensorInfoIT_T1_EESB_SB_SB_SB_SA_SA_
                                        ; -- End function
	.set _ZN2at6native12_GLOBAL__N_16kernel17gru_cell_backwardIN3c108BFloat16EfiLi2EEEvNS_4cuda6detail10TensorInfoIT_T1_EESB_SB_SB_SB_SA_SA_.num_vgpr, 45
	.set _ZN2at6native12_GLOBAL__N_16kernel17gru_cell_backwardIN3c108BFloat16EfiLi2EEEvNS_4cuda6detail10TensorInfoIT_T1_EESB_SB_SB_SB_SA_SA_.num_agpr, 0
	.set _ZN2at6native12_GLOBAL__N_16kernel17gru_cell_backwardIN3c108BFloat16EfiLi2EEEvNS_4cuda6detail10TensorInfoIT_T1_EESB_SB_SB_SB_SA_SA_.numbered_sgpr, 47
	.set _ZN2at6native12_GLOBAL__N_16kernel17gru_cell_backwardIN3c108BFloat16EfiLi2EEEvNS_4cuda6detail10TensorInfoIT_T1_EESB_SB_SB_SB_SA_SA_.num_named_barrier, 0
	.set _ZN2at6native12_GLOBAL__N_16kernel17gru_cell_backwardIN3c108BFloat16EfiLi2EEEvNS_4cuda6detail10TensorInfoIT_T1_EESB_SB_SB_SB_SA_SA_.private_seg_size, 0
	.set _ZN2at6native12_GLOBAL__N_16kernel17gru_cell_backwardIN3c108BFloat16EfiLi2EEEvNS_4cuda6detail10TensorInfoIT_T1_EESB_SB_SB_SB_SA_SA_.uses_vcc, 1
	.set _ZN2at6native12_GLOBAL__N_16kernel17gru_cell_backwardIN3c108BFloat16EfiLi2EEEvNS_4cuda6detail10TensorInfoIT_T1_EESB_SB_SB_SB_SA_SA_.uses_flat_scratch, 0
	.set _ZN2at6native12_GLOBAL__N_16kernel17gru_cell_backwardIN3c108BFloat16EfiLi2EEEvNS_4cuda6detail10TensorInfoIT_T1_EESB_SB_SB_SB_SA_SA_.has_dyn_sized_stack, 0
	.set _ZN2at6native12_GLOBAL__N_16kernel17gru_cell_backwardIN3c108BFloat16EfiLi2EEEvNS_4cuda6detail10TensorInfoIT_T1_EESB_SB_SB_SB_SA_SA_.has_recursion, 0
	.set _ZN2at6native12_GLOBAL__N_16kernel17gru_cell_backwardIN3c108BFloat16EfiLi2EEEvNS_4cuda6detail10TensorInfoIT_T1_EESB_SB_SB_SB_SA_SA_.has_indirect_call, 0
	.section	.AMDGPU.csdata,"",@progbits
; Kernel info:
; codeLenInByte = 3024
; TotalNumSgprs: 49
; NumVgprs: 45
; ScratchSize: 0
; MemoryBound: 0
; FloatMode: 240
; IeeeMode: 1
; LDSByteSize: 0 bytes/workgroup (compile time only)
; SGPRBlocks: 0
; VGPRBlocks: 5
; NumSGPRsForWavesPerEU: 49
; NumVGPRsForWavesPerEU: 45
; Occupancy: 16
; WaveLimiterHint : 1
; COMPUTE_PGM_RSRC2:SCRATCH_EN: 0
; COMPUTE_PGM_RSRC2:USER_SGPR: 6
; COMPUTE_PGM_RSRC2:TRAP_HANDLER: 0
; COMPUTE_PGM_RSRC2:TGID_X_EN: 1
; COMPUTE_PGM_RSRC2:TGID_Y_EN: 0
; COMPUTE_PGM_RSRC2:TGID_Z_EN: 0
; COMPUTE_PGM_RSRC2:TIDIG_COMP_CNT: 0
	.section	.text._ZN2at6native12_GLOBAL__N_16kernel17gru_cell_backwardIN3c108BFloat16EflLi1EEEvNS_4cuda6detail10TensorInfoIT_T1_EESB_SB_SB_SB_SA_SA_,"axG",@progbits,_ZN2at6native12_GLOBAL__N_16kernel17gru_cell_backwardIN3c108BFloat16EflLi1EEEvNS_4cuda6detail10TensorInfoIT_T1_EESB_SB_SB_SB_SA_SA_,comdat
	.globl	_ZN2at6native12_GLOBAL__N_16kernel17gru_cell_backwardIN3c108BFloat16EflLi1EEEvNS_4cuda6detail10TensorInfoIT_T1_EESB_SB_SB_SB_SA_SA_ ; -- Begin function _ZN2at6native12_GLOBAL__N_16kernel17gru_cell_backwardIN3c108BFloat16EflLi1EEEvNS_4cuda6detail10TensorInfoIT_T1_EESB_SB_SB_SB_SA_SA_
	.p2align	8
	.type	_ZN2at6native12_GLOBAL__N_16kernel17gru_cell_backwardIN3c108BFloat16EflLi1EEEvNS_4cuda6detail10TensorInfoIT_T1_EESB_SB_SB_SB_SA_SA_,@function
_ZN2at6native12_GLOBAL__N_16kernel17gru_cell_backwardIN3c108BFloat16EflLi1EEEvNS_4cuda6detail10TensorInfoIT_T1_EESB_SB_SB_SB_SA_SA_: ; @_ZN2at6native12_GLOBAL__N_16kernel17gru_cell_backwardIN3c108BFloat16EflLi1EEEvNS_4cuda6detail10TensorInfoIT_T1_EESB_SB_SB_SB_SA_SA_
; %bb.0:
	s_clause 0x1
	s_load_dword s2, s[4:5], 0x83c
	s_load_dwordx4 s[8:11], s[4:5], 0x820
	v_mov_b32_e32 v1, 0
	s_add_u32 s0, s4, 0x830
	s_addc_u32 s1, s5, 0
	s_waitcnt lgkmcnt(0)
	s_and_b32 s22, s2, 0xffff
	s_mov_b32 s2, exec_lo
	v_mad_u64_u32 v[3:4], null, s6, s22, v[0:1]
	v_mov_b32_e32 v4, v1
	v_cmpx_gt_i64_e64 s[10:11], v[3:4]
	s_cbranch_execz .LBB62_7
; %bb.1:
	s_clause 0x1
	s_load_dwordx2 s[24:25], s[4:5], 0x410
	s_load_dwordx2 s[26:27], s[4:5], 0x5b0
	v_cvt_f32_u32_e32 v0, s8
	s_load_dword s0, s[0:1], 0x0
	s_clause 0x7
	s_load_dwordx2 s[28:29], s[4:5], 0x340
	s_load_dwordx2 s[34:35], s[4:5], 0x4e0
	;; [unrolled: 1-line block ×8, first 2 shown]
	s_mov_b32 s1, 0
	s_lshl_b64 s[18:19], s[8:9], 2
	v_rcp_iflag_f32_e32 v0, v0
	s_lshl_b64 s[20:21], s[8:9], 1
	v_mul_f32_e32 v0, 0x4f7ffffe, v0
	s_waitcnt lgkmcnt(0)
	v_mul_lo_u32 v2, 0, s24
	v_mul_lo_u32 v9, v3, s25
	v_mad_u64_u32 v[5:6], null, v3, s24, 0
	v_mul_lo_u32 v10, 0, s26
	v_mul_lo_u32 v11, v3, s27
	v_mad_u64_u32 v[7:8], null, v3, s26, 0
	v_cvt_u32_f32_e32 v0, v0
	s_mul_i32 s30, s0, s22
	v_add3_u32 v6, v6, v9, v2
	s_mul_i32 s0, s30, s25
	s_sub_i32 s25, 0, s8
	s_mul_hi_u32 s22, s30, s24
	v_mul_lo_u32 v2, s25, v0
	v_add3_u32 v8, v8, v11, v10
	v_lshlrev_b64 v[5:6], 1, v[5:6]
	s_add_i32 s23, s22, s0
	s_mul_i32 s22, s30, s24
	s_mul_i32 s0, s30, s27
	v_lshlrev_b64 v[7:8], 1, v[7:8]
	s_mul_hi_u32 s24, s30, s26
	v_mul_hi_u32 v2, v0, v2
	v_add_co_u32 v5, vcc_lo, s28, v5
	v_add_co_ci_u32_e64 v6, null, s29, v6, vcc_lo
	v_add_co_u32 v7, vcc_lo, s34, v7
	v_add_co_ci_u32_e64 v8, null, s35, v8, vcc_lo
	v_add_nc_u32_e32 v0, v0, v2
	s_add_i32 s25, s24, s0
	s_mul_i32 s24, s30, s26
	s_lshl_b64 s[22:23], s[22:23], 1
	s_lshl_b64 s[24:25], s[24:25], 1
	s_ashr_i32 s26, s9, 31
	s_branch .LBB62_3
.LBB62_2:                               ;   in Loop: Header=BB62_3 Depth=1
	s_or_b32 exec_lo, exec_lo, s0
	v_lshlrev_b64 v[11:12], 2, v[9:10]
	v_mad_u64_u32 v[13:14], null, s18, v9, v[3:4]
	v_mul_lo_u32 v2, s18, v10
	v_mul_lo_u32 v17, s19, v9
	v_or_b32_e32 v15, 1, v11
	v_mul_lo_u32 v22, s8, v12
	v_or_b32_e32 v18, 2, v11
	v_add_co_u32 v20, vcc_lo, v11, 4
	v_mul_lo_u32 v19, s9, v15
	v_mad_u64_u32 v[15:16], null, s8, v15, v[3:4]
	v_add3_u32 v2, v17, v14, v2
	v_add_co_ci_u32_e64 v21, null, 0, v12, vcc_lo
	v_mul_lo_u32 v24, s9, v18
	v_or_b32_e32 v11, 3, v11
	v_mul_lo_u32 v28, s9, v20
	v_add3_u32 v12, v19, v16, v22
	v_mad_u64_u32 v[16:17], null, s8, v18, v[3:4]
	v_mul_lo_u32 v27, s8, v21
	v_mad_u64_u32 v[18:19], null, s8, v20, v[3:4]
	v_mul_lo_u32 v23, v13, s5
	v_mul_lo_u32 v2, v2, s4
	;; [unrolled: 1-line block ×3, first 2 shown]
	v_mad_u64_u32 v[12:13], null, v13, s4, 0
	v_add3_u32 v17, v24, v17, v22
	v_mul_lo_u32 v24, s9, v11
	v_mad_u64_u32 v[20:21], null, s8, v11, v[3:4]
	v_mul_lo_u32 v25, v15, s5
	v_mad_u64_u32 v[14:15], null, v15, s4, 0
	v_add3_u32 v19, v28, v19, v27
	v_add3_u32 v13, v13, v23, v2
	v_mul_lo_u32 v11, v17, s4
	v_add3_u32 v2, v24, v21, v22
	v_mul_lo_u32 v23, v18, s5
	v_mul_lo_u32 v22, v19, s4
	v_add3_u32 v15, v15, v25, v26
	v_mul_lo_u32 v25, v16, s5
	v_mad_u64_u32 v[16:17], null, v16, s4, 0
	v_mad_u64_u32 v[18:19], null, v18, s4, 0
	v_mul_lo_u32 v2, v2, s4
	v_mul_lo_u32 v24, v20, s5
	v_mad_u64_u32 v[20:21], null, v20, s4, 0
	v_add3_u32 v17, v17, v25, v11
	v_lshlrev_b64 v[14:15], 1, v[14:15]
	v_add3_u32 v19, v19, v23, v22
	v_lshlrev_b64 v[11:12], 1, v[12:13]
	v_lshlrev_b64 v[16:17], 1, v[16:17]
	v_add3_u32 v21, v21, v24, v2
	v_add_co_u32 v13, vcc_lo, s16, v14
	v_lshlrev_b64 v[18:19], 1, v[18:19]
	v_add_co_ci_u32_e64 v14, null, s17, v15, vcc_lo
	v_lshlrev_b64 v[20:21], 1, v[20:21]
	v_add_co_u32 v15, vcc_lo, s16, v16
	v_add_co_ci_u32_e64 v16, null, s17, v17, vcc_lo
	v_add_co_u32 v17, vcc_lo, s16, v18
	global_load_ushort v2, v[13:14], off
	v_add_co_ci_u32_e64 v18, null, s17, v19, vcc_lo
	v_add_co_u32 v13, vcc_lo, s16, v20
	v_add_co_ci_u32_e64 v14, null, s17, v21, vcc_lo
	global_load_ushort v21, v[5:6], off
	s_clause 0x2
	global_load_ushort v22, v[17:18], off
	global_load_ushort v23, v[15:16], off
	;; [unrolled: 1-line block ×3, first 2 shown]
	v_add_co_u32 v11, vcc_lo, s16, v11
	v_add_co_ci_u32_e64 v12, null, s17, v12, vcc_lo
	v_lshlrev_b64 v[13:14], 1, v[9:10]
	v_mul_lo_u32 v15, s20, v10
	v_add_co_u32 v5, vcc_lo, v5, s22
	global_load_ushort v25, v[11:12], off
	v_mad_u64_u32 v[11:12], null, s20, v9, v[3:4]
	v_mul_lo_u32 v9, s21, v9
	v_or_b32_e32 v16, 1, v13
	v_add_co_ci_u32_e64 v6, null, s23, v6, vcc_lo
	v_add_co_u32 v18, vcc_lo, v13, 2
	v_mul_lo_u32 v17, s8, v14
	v_add_co_ci_u32_e64 v19, null, 0, v14, vcc_lo
	v_add3_u32 v20, v9, v12, v15
	v_mul_lo_u32 v28, s9, v16
	v_mad_u64_u32 v[13:14], null, s8, v16, v[3:4]
	v_mul_lo_u32 v26, v11, s7
	v_mad_u64_u32 v[9:10], null, v11, s6, 0
	v_mad_u64_u32 v[15:16], null, s8, v18, v[3:4]
	v_mul_lo_u32 v19, s8, v19
	v_mul_lo_u32 v29, s9, v18
	;; [unrolled: 1-line block ×3, first 2 shown]
	v_add3_u32 v28, v28, v14, v17
	v_mul_lo_u32 v27, v11, s15
	v_mad_u64_u32 v[11:12], null, v11, s14, 0
	v_mul_lo_u32 v31, v20, s14
	v_mul_lo_u32 v32, v13, s7
	v_mad_u64_u32 v[17:18], null, v13, s6, 0
	v_add3_u32 v29, v29, v16, v19
	v_add3_u32 v10, v10, v26, v30
	v_mul_lo_u32 v26, v28, s6
	v_mul_lo_u32 v33, v15, s7
	v_mad_u64_u32 v[19:20], null, v15, s6, 0
	v_mul_lo_u32 v34, v13, s15
	v_mad_u64_u32 v[13:14], null, v13, s14, 0
	v_add3_u32 v12, v12, v27, v31
	v_mul_lo_u32 v27, v29, s6
	v_mul_lo_u32 v28, v28, s14
	v_add3_u32 v18, v18, v32, v26
	v_mul_lo_u32 v35, v15, s15
	v_mad_u64_u32 v[15:16], null, v15, s14, 0
	v_mul_lo_u32 v29, v29, s14
	v_lshlrev_b64 v[9:10], 1, v[9:10]
	v_add3_u32 v20, v20, v33, v27
	v_add3_u32 v14, v14, v34, v28
	v_lshlrev_b64 v[11:12], 1, v[11:12]
	v_lshlrev_b64 v[17:18], 1, v[17:18]
	v_add_co_u32 v3, vcc_lo, v3, s30
	v_add3_u32 v16, v16, v35, v29
	v_add_co_u32 v9, s0, s2, v9
	v_lshlrev_b64 v[19:20], 1, v[19:20]
	v_add_co_ci_u32_e64 v10, null, s3, v10, s0
	v_add_co_u32 v11, s0, s12, v11
	v_lshlrev_b64 v[13:14], 1, v[13:14]
	v_add_co_ci_u32_e64 v12, null, s13, v12, s0
	v_lshlrev_b64 v[15:16], 1, v[15:16]
	v_add_co_u32 v17, s0, s2, v17
	v_add_co_ci_u32_e64 v18, null, s3, v18, s0
	v_add_co_u32 v19, s0, s2, v19
	v_add_co_ci_u32_e64 v20, null, s3, v20, s0
	;; [unrolled: 2-line block ×4, first 2 shown]
	v_add_co_ci_u32_e64 v4, null, 0, v4, vcc_lo
	v_cmp_le_i64_e32 vcc_lo, s[10:11], v[3:4]
	s_or_b32 s1, vcc_lo, s1
	s_waitcnt vmcnt(5)
	v_lshlrev_b32_e32 v2, 16, v2
	s_waitcnt vmcnt(4)
	v_lshlrev_b32_e32 v21, 16, v21
	v_sub_f32_e32 v26, 1.0, v2
	s_waitcnt vmcnt(2)
	v_lshlrev_b32_e32 v23, 16, v23
	s_waitcnt vmcnt(1)
	v_lshlrev_b32_e32 v24, 16, v24
	v_lshlrev_b32_e32 v22, 16, v22
	v_mul_f32_e32 v28, v26, v21
	v_fma_f32 v27, -v23, v23, 1.0
	v_sub_f32_e32 v23, v24, v23
	s_waitcnt vmcnt(0)
	v_lshlrev_b32_e32 v25, 16, v25
	v_mul_f32_e32 v24, v27, v28
	v_mul_f32_e32 v27, v2, v21
	;; [unrolled: 1-line block ×3, first 2 shown]
	v_sub_f32_e32 v28, 1.0, v25
	v_mul_f32_e32 v22, v24, v22
	v_bfe_u32 v23, v27, 16, 1
	v_mul_f32_e32 v21, v26, v21
	v_cmp_o_f32_e64 s0, v27, v27
	v_mul_f32_e32 v22, v28, v22
	v_add3_u32 v23, v27, v23, 0x7fff
	v_mul_f32_e32 v2, v21, v2
	v_mul_f32_e32 v21, v24, v25
	;; [unrolled: 1-line block ×3, first 2 shown]
	v_lshrrev_b32_e32 v23, 16, v23
	v_bfe_u32 v26, v2, 16, 1
	v_bfe_u32 v25, v24, 16, 1
	;; [unrolled: 1-line block ×4, first 2 shown]
	v_cndmask_b32_e64 v23, 0x7fc0, v23, s0
	v_add3_u32 v26, v2, v26, 0x7fff
	v_cmp_o_f32_e64 s0, v2, v2
	v_add3_u32 v25, v24, v25, 0x7fff
	v_add3_u32 v29, v22, v29, 0x7fff
	;; [unrolled: 1-line block ×3, first 2 shown]
	v_lshrrev_b32_e32 v26, 16, v26
	v_lshrrev_b32_e32 v25, 16, v25
	;; [unrolled: 1-line block ×4, first 2 shown]
	v_cndmask_b32_e64 v2, 0x7fc0, v26, s0
	v_cmp_o_f32_e64 s0, v22, v22
	v_cndmask_b32_e64 v22, 0x7fc0, v27, s0
	v_cmp_o_f32_e64 s0, v24, v24
	;; [unrolled: 2-line block ×3, first 2 shown]
	v_cndmask_b32_e64 v21, 0x7fc0, v28, s0
	global_store_short v[9:10], v22, off
	global_store_short v[17:18], v2, off
	;; [unrolled: 1-line block ×7, first 2 shown]
	v_add_co_u32 v7, s0, v7, s24
	v_add_co_ci_u32_e64 v8, null, s25, v8, s0
	s_andn2_b32 exec_lo, exec_lo, s1
	s_cbranch_execz .LBB62_7
.LBB62_3:                               ; =>This Inner Loop Header: Depth=1
	v_or_b32_e32 v2, s9, v4
                                        ; implicit-def: $vgpr9_vgpr10
	s_mov_b32 s0, exec_lo
	v_cmpx_ne_u64_e32 0, v[1:2]
	s_xor_b32 s31, exec_lo, s0
	s_cbranch_execz .LBB62_5
; %bb.4:                                ;   in Loop: Header=BB62_3 Depth=1
	s_add_u32 s28, s8, s26
	s_mov_b32 s27, s26
	s_addc_u32 s29, s9, s26
	v_ashrrev_i32_e32 v15, 31, v4
	s_xor_b64 s[28:29], s[28:29], s[26:27]
	v_cvt_f32_u32_e32 v2, s28
	v_cvt_f32_u32_e32 v9, s29
	s_sub_u32 s0, 0, s28
	s_subb_u32 s34, 0, s29
	v_add_co_u32 v10, vcc_lo, v3, v15
	v_fmac_f32_e32 v2, 0x4f800000, v9
	v_xor_b32_e32 v16, v10, v15
	v_rcp_f32_e32 v2, v2
	v_mul_f32_e32 v2, 0x5f7ffffc, v2
	v_mul_f32_e32 v9, 0x2f800000, v2
	v_trunc_f32_e32 v9, v9
	v_fmac_f32_e32 v2, 0xcf800000, v9
	v_cvt_u32_f32_e32 v9, v9
	v_cvt_u32_f32_e32 v2, v2
	v_readfirstlane_b32 s27, v9
	v_readfirstlane_b32 s33, v2
	s_mul_i32 s35, s0, s27
	v_add_co_ci_u32_e64 v2, null, v4, v15, vcc_lo
	s_mul_hi_u32 s37, s0, s33
	s_mul_i32 s36, s34, s33
	s_add_i32 s35, s37, s35
	s_mul_i32 s38, s0, s33
	s_add_i32 s35, s35, s36
	s_mul_hi_u32 s37, s33, s38
	s_mul_i32 s40, s33, s35
	s_mul_hi_u32 s39, s27, s38
	s_mul_i32 s36, s27, s38
	s_mul_hi_u32 s38, s33, s35
	s_add_u32 s37, s37, s40
	s_addc_u32 s38, 0, s38
	s_mul_hi_u32 s41, s27, s35
	s_add_u32 s36, s37, s36
	s_mul_i32 s35, s27, s35
	s_addc_u32 s36, s38, s39
	s_addc_u32 s37, s41, 0
	s_add_u32 s35, s36, s35
	s_addc_u32 s36, 0, s37
	s_add_u32 s33, s33, s35
	s_cselect_b32 s35, -1, 0
	s_mul_hi_u32 s37, s0, s33
	s_cmp_lg_u32 s35, 0
	s_mul_i32 s35, s0, s33
	s_addc_u32 s27, s27, s36
	s_mul_i32 s34, s34, s33
	s_mul_i32 s0, s0, s27
	s_mul_hi_u32 s36, s33, s35
	s_add_i32 s0, s37, s0
	s_mul_hi_u32 s37, s27, s35
	s_add_i32 s0, s0, s34
	s_mul_i32 s34, s27, s35
	s_mul_i32 s39, s33, s0
	s_mul_hi_u32 s38, s33, s0
	s_add_u32 s36, s36, s39
	s_addc_u32 s38, 0, s38
	s_mul_hi_u32 s35, s27, s0
	s_add_u32 s34, s36, s34
	s_mul_i32 s0, s27, s0
	s_addc_u32 s34, s38, s37
	s_addc_u32 s35, s35, 0
	s_add_u32 s0, s34, s0
	s_addc_u32 s34, 0, s35
	s_add_u32 s0, s33, s0
	s_cselect_b32 s33, -1, 0
	v_xor_b32_e32 v2, v2, v15
	s_cmp_lg_u32 s33, 0
	v_mul_hi_u32 v17, v16, s0
	s_addc_u32 s27, s27, s34
	v_mad_u64_u32 v[9:10], null, v16, s27, 0
	v_mad_u64_u32 v[11:12], null, v2, s0, 0
	;; [unrolled: 1-line block ×3, first 2 shown]
	v_add_co_u32 v9, vcc_lo, v17, v9
	v_add_co_ci_u32_e64 v10, null, 0, v10, vcc_lo
	v_add_co_u32 v9, vcc_lo, v9, v11
	v_add_co_ci_u32_e32 v9, vcc_lo, v10, v12, vcc_lo
	v_add_co_ci_u32_e32 v10, vcc_lo, 0, v14, vcc_lo
	v_add_co_u32 v11, vcc_lo, v9, v13
	v_add_co_ci_u32_e64 v12, null, 0, v10, vcc_lo
	v_mul_lo_u32 v13, s29, v11
	v_mad_u64_u32 v[9:10], null, s28, v11, 0
	v_mul_lo_u32 v14, s28, v12
	v_sub_co_u32 v9, vcc_lo, v16, v9
	v_add3_u32 v10, v10, v14, v13
	v_add_co_u32 v14, s0, v11, 2
	v_add_co_ci_u32_e64 v16, null, 0, v12, s0
	v_sub_nc_u32_e32 v13, v2, v10
	v_sub_co_u32 v17, s0, v9, s28
	v_sub_co_ci_u32_e64 v2, null, v2, v10, vcc_lo
	v_subrev_co_ci_u32_e64 v13, null, s29, v13, vcc_lo
	v_cmp_le_u32_e32 vcc_lo, s28, v17
	v_subrev_co_ci_u32_e64 v13, null, 0, v13, s0
	v_cndmask_b32_e64 v10, 0, -1, vcc_lo
	v_cmp_le_u32_e32 vcc_lo, s29, v13
	v_cndmask_b32_e64 v17, 0, -1, vcc_lo
	v_cmp_le_u32_e32 vcc_lo, s28, v9
	;; [unrolled: 2-line block ×3, first 2 shown]
	v_cndmask_b32_e64 v18, 0, -1, vcc_lo
	v_cmp_eq_u32_e32 vcc_lo, s29, v13
	v_cndmask_b32_e32 v10, v17, v10, vcc_lo
	v_add_co_u32 v13, vcc_lo, v11, 1
	v_add_co_ci_u32_e64 v17, null, 0, v12, vcc_lo
	v_cmp_eq_u32_e32 vcc_lo, s29, v2
	v_cndmask_b32_e32 v2, v18, v9, vcc_lo
	v_cmp_ne_u32_e32 vcc_lo, 0, v10
	v_xor_b32_e32 v10, s26, v15
	v_cmp_ne_u32_e64 s0, 0, v2
	v_cndmask_b32_e32 v2, v13, v14, vcc_lo
	v_cndmask_b32_e32 v9, v17, v16, vcc_lo
	v_cndmask_b32_e64 v2, v11, v2, s0
	v_cndmask_b32_e64 v9, v12, v9, s0
	v_xor_b32_e32 v2, v2, v10
	v_xor_b32_e32 v11, v9, v10
	v_sub_co_u32 v9, vcc_lo, v2, v10
	v_sub_co_ci_u32_e64 v10, null, v11, v10, vcc_lo
.LBB62_5:                               ;   in Loop: Header=BB62_3 Depth=1
	s_andn2_saveexec_b32 s0, s31
	s_cbranch_execz .LBB62_2
; %bb.6:                                ;   in Loop: Header=BB62_3 Depth=1
	v_mul_hi_u32 v2, v3, v0
	v_mul_lo_u32 v9, v2, s8
	v_add_nc_u32_e32 v10, 1, v2
	v_sub_nc_u32_e32 v9, v3, v9
	v_subrev_nc_u32_e32 v11, s8, v9
	v_cmp_le_u32_e32 vcc_lo, s8, v9
	v_cndmask_b32_e32 v9, v9, v11, vcc_lo
	v_cndmask_b32_e32 v2, v2, v10, vcc_lo
	v_cmp_le_u32_e32 vcc_lo, s8, v9
	v_add_nc_u32_e32 v10, 1, v2
	v_cndmask_b32_e32 v9, v2, v10, vcc_lo
	v_mov_b32_e32 v10, v1
	s_branch .LBB62_2
.LBB62_7:
	s_endpgm
	.section	.rodata,"a",@progbits
	.p2align	6, 0x0
	.amdhsa_kernel _ZN2at6native12_GLOBAL__N_16kernel17gru_cell_backwardIN3c108BFloat16EflLi1EEEvNS_4cuda6detail10TensorInfoIT_T1_EESB_SB_SB_SB_SA_SA_
		.amdhsa_group_segment_fixed_size 0
		.amdhsa_private_segment_fixed_size 0
		.amdhsa_kernarg_size 2352
		.amdhsa_user_sgpr_count 6
		.amdhsa_user_sgpr_private_segment_buffer 1
		.amdhsa_user_sgpr_dispatch_ptr 0
		.amdhsa_user_sgpr_queue_ptr 0
		.amdhsa_user_sgpr_kernarg_segment_ptr 1
		.amdhsa_user_sgpr_dispatch_id 0
		.amdhsa_user_sgpr_flat_scratch_init 0
		.amdhsa_user_sgpr_private_segment_size 0
		.amdhsa_wavefront_size32 1
		.amdhsa_uses_dynamic_stack 0
		.amdhsa_system_sgpr_private_segment_wavefront_offset 0
		.amdhsa_system_sgpr_workgroup_id_x 1
		.amdhsa_system_sgpr_workgroup_id_y 0
		.amdhsa_system_sgpr_workgroup_id_z 0
		.amdhsa_system_sgpr_workgroup_info 0
		.amdhsa_system_vgpr_workitem_id 0
		.amdhsa_next_free_vgpr 36
		.amdhsa_next_free_sgpr 42
		.amdhsa_reserve_vcc 1
		.amdhsa_reserve_flat_scratch 0
		.amdhsa_float_round_mode_32 0
		.amdhsa_float_round_mode_16_64 0
		.amdhsa_float_denorm_mode_32 3
		.amdhsa_float_denorm_mode_16_64 3
		.amdhsa_dx10_clamp 1
		.amdhsa_ieee_mode 1
		.amdhsa_fp16_overflow 0
		.amdhsa_workgroup_processor_mode 1
		.amdhsa_memory_ordered 1
		.amdhsa_forward_progress 1
		.amdhsa_shared_vgpr_count 0
		.amdhsa_exception_fp_ieee_invalid_op 0
		.amdhsa_exception_fp_denorm_src 0
		.amdhsa_exception_fp_ieee_div_zero 0
		.amdhsa_exception_fp_ieee_overflow 0
		.amdhsa_exception_fp_ieee_underflow 0
		.amdhsa_exception_fp_ieee_inexact 0
		.amdhsa_exception_int_div_zero 0
	.end_amdhsa_kernel
	.section	.text._ZN2at6native12_GLOBAL__N_16kernel17gru_cell_backwardIN3c108BFloat16EflLi1EEEvNS_4cuda6detail10TensorInfoIT_T1_EESB_SB_SB_SB_SA_SA_,"axG",@progbits,_ZN2at6native12_GLOBAL__N_16kernel17gru_cell_backwardIN3c108BFloat16EflLi1EEEvNS_4cuda6detail10TensorInfoIT_T1_EESB_SB_SB_SB_SA_SA_,comdat
.Lfunc_end62:
	.size	_ZN2at6native12_GLOBAL__N_16kernel17gru_cell_backwardIN3c108BFloat16EflLi1EEEvNS_4cuda6detail10TensorInfoIT_T1_EESB_SB_SB_SB_SA_SA_, .Lfunc_end62-_ZN2at6native12_GLOBAL__N_16kernel17gru_cell_backwardIN3c108BFloat16EflLi1EEEvNS_4cuda6detail10TensorInfoIT_T1_EESB_SB_SB_SB_SA_SA_
                                        ; -- End function
	.set _ZN2at6native12_GLOBAL__N_16kernel17gru_cell_backwardIN3c108BFloat16EflLi1EEEvNS_4cuda6detail10TensorInfoIT_T1_EESB_SB_SB_SB_SA_SA_.num_vgpr, 36
	.set _ZN2at6native12_GLOBAL__N_16kernel17gru_cell_backwardIN3c108BFloat16EflLi1EEEvNS_4cuda6detail10TensorInfoIT_T1_EESB_SB_SB_SB_SA_SA_.num_agpr, 0
	.set _ZN2at6native12_GLOBAL__N_16kernel17gru_cell_backwardIN3c108BFloat16EflLi1EEEvNS_4cuda6detail10TensorInfoIT_T1_EESB_SB_SB_SB_SA_SA_.numbered_sgpr, 42
	.set _ZN2at6native12_GLOBAL__N_16kernel17gru_cell_backwardIN3c108BFloat16EflLi1EEEvNS_4cuda6detail10TensorInfoIT_T1_EESB_SB_SB_SB_SA_SA_.num_named_barrier, 0
	.set _ZN2at6native12_GLOBAL__N_16kernel17gru_cell_backwardIN3c108BFloat16EflLi1EEEvNS_4cuda6detail10TensorInfoIT_T1_EESB_SB_SB_SB_SA_SA_.private_seg_size, 0
	.set _ZN2at6native12_GLOBAL__N_16kernel17gru_cell_backwardIN3c108BFloat16EflLi1EEEvNS_4cuda6detail10TensorInfoIT_T1_EESB_SB_SB_SB_SA_SA_.uses_vcc, 1
	.set _ZN2at6native12_GLOBAL__N_16kernel17gru_cell_backwardIN3c108BFloat16EflLi1EEEvNS_4cuda6detail10TensorInfoIT_T1_EESB_SB_SB_SB_SA_SA_.uses_flat_scratch, 0
	.set _ZN2at6native12_GLOBAL__N_16kernel17gru_cell_backwardIN3c108BFloat16EflLi1EEEvNS_4cuda6detail10TensorInfoIT_T1_EESB_SB_SB_SB_SA_SA_.has_dyn_sized_stack, 0
	.set _ZN2at6native12_GLOBAL__N_16kernel17gru_cell_backwardIN3c108BFloat16EflLi1EEEvNS_4cuda6detail10TensorInfoIT_T1_EESB_SB_SB_SB_SA_SA_.has_recursion, 0
	.set _ZN2at6native12_GLOBAL__N_16kernel17gru_cell_backwardIN3c108BFloat16EflLi1EEEvNS_4cuda6detail10TensorInfoIT_T1_EESB_SB_SB_SB_SA_SA_.has_indirect_call, 0
	.section	.AMDGPU.csdata,"",@progbits
; Kernel info:
; codeLenInByte = 2532
; TotalNumSgprs: 44
; NumVgprs: 36
; ScratchSize: 0
; MemoryBound: 0
; FloatMode: 240
; IeeeMode: 1
; LDSByteSize: 0 bytes/workgroup (compile time only)
; SGPRBlocks: 0
; VGPRBlocks: 4
; NumSGPRsForWavesPerEU: 44
; NumVGPRsForWavesPerEU: 36
; Occupancy: 16
; WaveLimiterHint : 1
; COMPUTE_PGM_RSRC2:SCRATCH_EN: 0
; COMPUTE_PGM_RSRC2:USER_SGPR: 6
; COMPUTE_PGM_RSRC2:TRAP_HANDLER: 0
; COMPUTE_PGM_RSRC2:TGID_X_EN: 1
; COMPUTE_PGM_RSRC2:TGID_Y_EN: 0
; COMPUTE_PGM_RSRC2:TGID_Z_EN: 0
; COMPUTE_PGM_RSRC2:TIDIG_COMP_CNT: 0
	.section	.text._ZN2at6native12_GLOBAL__N_16kernel17gru_cell_backwardIN3c108BFloat16EflLi2EEEvNS_4cuda6detail10TensorInfoIT_T1_EESB_SB_SB_SB_SA_SA_,"axG",@progbits,_ZN2at6native12_GLOBAL__N_16kernel17gru_cell_backwardIN3c108BFloat16EflLi2EEEvNS_4cuda6detail10TensorInfoIT_T1_EESB_SB_SB_SB_SA_SA_,comdat
	.globl	_ZN2at6native12_GLOBAL__N_16kernel17gru_cell_backwardIN3c108BFloat16EflLi2EEEvNS_4cuda6detail10TensorInfoIT_T1_EESB_SB_SB_SB_SA_SA_ ; -- Begin function _ZN2at6native12_GLOBAL__N_16kernel17gru_cell_backwardIN3c108BFloat16EflLi2EEEvNS_4cuda6detail10TensorInfoIT_T1_EESB_SB_SB_SB_SA_SA_
	.p2align	8
	.type	_ZN2at6native12_GLOBAL__N_16kernel17gru_cell_backwardIN3c108BFloat16EflLi2EEEvNS_4cuda6detail10TensorInfoIT_T1_EESB_SB_SB_SB_SA_SA_,@function
_ZN2at6native12_GLOBAL__N_16kernel17gru_cell_backwardIN3c108BFloat16EflLi2EEEvNS_4cuda6detail10TensorInfoIT_T1_EESB_SB_SB_SB_SA_SA_: ; @_ZN2at6native12_GLOBAL__N_16kernel17gru_cell_backwardIN3c108BFloat16EflLi2EEEvNS_4cuda6detail10TensorInfoIT_T1_EESB_SB_SB_SB_SA_SA_
; %bb.0:
	s_clause 0x1
	s_load_dword s2, s[4:5], 0x83c
	s_load_dwordx4 s[8:11], s[4:5], 0x820
	v_mov_b32_e32 v1, 0
	s_add_u32 s0, s4, 0x830
	s_addc_u32 s1, s5, 0
	s_waitcnt lgkmcnt(0)
	s_and_b32 s33, s2, 0xffff
	s_mov_b32 s2, exec_lo
	v_mad_u64_u32 v[3:4], null, s6, s33, v[0:1]
	v_mov_b32_e32 v4, v1
	v_cmpx_gt_i64_e64 s[10:11], v[3:4]
	s_cbranch_execz .LBB63_59
; %bb.1:
	s_clause 0x5
	s_load_dwordx2 s[2:3], s[4:5], 0x0
	s_load_dwordx2 s[28:29], s[4:5], 0x10
	s_load_dwordx4 s[12:15], s[4:5], 0xd0
	s_load_dwordx2 s[30:31], s[4:5], 0x1a0
	s_load_dwordx2 s[34:35], s[4:5], 0x1b0
	s_load_dwordx4 s[16:19], s[4:5], 0x270
	s_load_dword s0, s[0:1], 0x0
	s_clause 0x1
	s_load_dwordx2 s[36:37], s[4:5], 0x340
	s_load_dwordx2 s[38:39], s[4:5], 0x350
	v_cvt_f32_u32_e32 v0, s8
	s_clause 0x6
	s_load_dwordx4 s[20:23], s[4:5], 0x410
	s_load_dwordx2 s[40:41], s[4:5], 0x4e0
	s_load_dwordx2 s[42:43], s[4:5], 0x4f0
	s_load_dwordx4 s[24:27], s[4:5], 0x5b0
	s_load_dwordx2 s[44:45], s[4:5], 0x680
	s_load_dwordx2 s[46:47], s[4:5], 0x690
	s_load_dwordx4 s[4:7], s[4:5], 0x750
	s_lshl_b64 s[48:49], s[8:9], 2
	s_lshl_b64 s[50:51], s[8:9], 1
	v_rcp_iflag_f32_e32 v0, v0
	v_mov_b32_e32 v13, 0x7fc0
	s_mov_b32 s1, 0
	v_mul_f32_e32 v0, 0x4f7ffffe, v0
	s_waitcnt lgkmcnt(0)
	s_mul_i32 s33, s0, s33
	s_sub_u32 s58, 0, s38
	v_cvt_u32_f32_e32 v0, v0
	s_subb_u32 s59, 0, s39
	s_sub_u32 s60, 0, s42
	s_subb_u32 s61, 0, s43
	s_ashr_i32 s52, s9, 31
	s_branch .LBB63_3
.LBB63_2:                               ;   in Loop: Header=BB63_3 Depth=1
	s_or_b32 exec_lo, exec_lo, s0
	v_mad_u64_u32 v[7:8], null, s60, v5, v[3:4]
	v_mul_lo_u32 v2, s60, v6
	v_mul_lo_u32 v9, s61, v5
	;; [unrolled: 1-line block ×4, first 2 shown]
	v_mad_u64_u32 v[5:6], null, v5, s24, 0
	v_mul_lo_u32 v12, v7, s27
	v_add_co_u32 v3, s0, v3, s33
	v_add3_u32 v2, v9, v8, v2
	v_mul_f32_e32 v9, v15, v16
	v_mad_u64_u32 v[7:8], null, v7, s26, 0
	v_add3_u32 v6, v6, v11, v10
	v_mul_lo_u32 v2, v2, s26
	v_bfe_u32 v14, v9, 16, 1
	v_cmp_o_f32_e32 vcc_lo, v9, v9
	v_add_co_ci_u32_e64 v4, null, 0, v4, s0
	v_lshlrev_b64 v[5:6], 1, v[5:6]
	v_add3_u32 v9, v9, v14, 0x7fff
	v_add3_u32 v8, v8, v12, v2
	v_cndmask_b32_sdwa v2, v13, v9, vcc_lo dst_sel:DWORD dst_unused:UNUSED_PAD src0_sel:DWORD src1_sel:WORD_1
	v_add_co_u32 v5, vcc_lo, s40, v5
	v_lshlrev_b64 v[7:8], 1, v[7:8]
	v_add_co_ci_u32_e64 v6, null, s41, v6, vcc_lo
	v_cmp_le_i64_e32 vcc_lo, s[10:11], v[3:4]
	v_add_co_u32 v5, s0, v5, v7
	v_add_co_ci_u32_e64 v6, null, v6, v8, s0
	s_or_b32 s1, vcc_lo, s1
	global_store_short v[5:6], v2, off
	s_andn2_b32 exec_lo, exec_lo, s1
	s_cbranch_execz .LBB63_59
.LBB63_3:                               ; =>This Inner Loop Header: Depth=1
	v_or_b32_e32 v2, s9, v4
	v_ashrrev_i32_e32 v14, 31, v4
                                        ; implicit-def: $vgpr5_vgpr6
	s_mov_b32 s0, exec_lo
	v_cmpx_ne_u64_e32 0, v[1:2]
	s_xor_b32 s56, exec_lo, s0
	s_cbranch_execz .LBB63_5
; %bb.4:                                ;   in Loop: Header=BB63_3 Depth=1
	s_add_u32 s54, s8, s52
	s_mov_b32 s53, s52
	s_addc_u32 s55, s9, s52
	v_add_co_u32 v6, vcc_lo, v3, v14
	s_xor_b64 s[54:55], s[54:55], s[52:53]
	v_add_co_ci_u32_e64 v7, null, v4, v14, vcc_lo
	v_cvt_f32_u32_e32 v2, s54
	v_cvt_f32_u32_e32 v5, s55
	s_sub_u32 s57, 0, s54
	s_subb_u32 s62, 0, s55
	v_xor_b32_e32 v11, v7, v14
	v_fmac_f32_e32 v2, 0x4f800000, v5
	v_rcp_f32_e32 v2, v2
	v_mul_f32_e32 v2, 0x5f7ffffc, v2
	v_mul_f32_e32 v5, 0x2f800000, v2
	v_trunc_f32_e32 v5, v5
	v_fmac_f32_e32 v2, 0xcf800000, v5
	v_cvt_u32_f32_e32 v5, v5
	v_cvt_u32_f32_e32 v2, v2
	v_readfirstlane_b32 s0, v5
	v_readfirstlane_b32 s53, v2
	s_mul_i32 s63, s57, s0
	v_xor_b32_e32 v2, v6, v14
	s_mul_hi_u32 s65, s57, s53
	s_mul_i32 s64, s62, s53
	s_add_i32 s63, s65, s63
	s_mul_i32 s66, s57, s53
	s_add_i32 s63, s63, s64
	s_mul_hi_u32 s65, s53, s66
	s_mul_i32 s68, s53, s63
	s_mul_hi_u32 s67, s0, s66
	s_mul_i32 s64, s0, s66
	s_mul_hi_u32 s66, s53, s63
	s_add_u32 s65, s65, s68
	s_addc_u32 s66, 0, s66
	s_mul_hi_u32 s69, s0, s63
	s_add_u32 s64, s65, s64
	s_mul_i32 s63, s0, s63
	s_addc_u32 s64, s66, s67
	s_addc_u32 s65, s69, 0
	s_add_u32 s63, s64, s63
	s_addc_u32 s64, 0, s65
	s_add_u32 s53, s53, s63
	s_cselect_b32 s63, -1, 0
	s_mul_hi_u32 s65, s57, s53
	s_cmp_lg_u32 s63, 0
	s_mul_i32 s63, s57, s53
	s_addc_u32 s0, s0, s64
	s_mul_i32 s62, s62, s53
	s_mul_i32 s57, s57, s0
	s_mul_hi_u32 s64, s53, s63
	s_add_i32 s57, s65, s57
	s_mul_hi_u32 s65, s0, s63
	s_add_i32 s57, s57, s62
	s_mul_i32 s62, s0, s63
	s_mul_i32 s67, s53, s57
	s_mul_hi_u32 s66, s53, s57
	s_add_u32 s64, s64, s67
	s_addc_u32 s66, 0, s66
	s_mul_hi_u32 s63, s0, s57
	s_add_u32 s62, s64, s62
	s_mul_i32 s57, s0, s57
	s_addc_u32 s62, s66, s65
	s_addc_u32 s63, s63, 0
	s_add_u32 s57, s62, s57
	s_addc_u32 s62, 0, s63
	s_add_u32 s53, s53, s57
	s_cselect_b32 s57, -1, 0
	v_mul_hi_u32 v12, v2, s53
	s_cmp_lg_u32 s57, 0
	v_mad_u64_u32 v[7:8], null, v11, s53, 0
	s_addc_u32 s0, s0, s62
	v_mad_u64_u32 v[5:6], null, v2, s0, 0
	v_mad_u64_u32 v[9:10], null, v11, s0, 0
	v_add_co_u32 v5, vcc_lo, v12, v5
	v_add_co_ci_u32_e64 v6, null, 0, v6, vcc_lo
	v_add_co_u32 v5, vcc_lo, v5, v7
	v_add_co_ci_u32_e32 v5, vcc_lo, v6, v8, vcc_lo
	v_add_co_ci_u32_e32 v6, vcc_lo, 0, v10, vcc_lo
	v_add_co_u32 v7, vcc_lo, v5, v9
	v_add_co_ci_u32_e64 v8, null, 0, v6, vcc_lo
	v_mul_lo_u32 v9, s55, v7
	v_mad_u64_u32 v[5:6], null, s54, v7, 0
	v_mul_lo_u32 v10, s54, v8
	v_sub_co_u32 v2, vcc_lo, v2, v5
	v_add3_u32 v6, v6, v10, v9
	v_sub_nc_u32_e32 v9, v11, v6
	v_sub_co_ci_u32_e64 v6, null, v11, v6, vcc_lo
	v_subrev_co_ci_u32_e64 v5, null, s55, v9, vcc_lo
	v_add_co_u32 v9, s0, v7, 2
	v_add_co_ci_u32_e64 v10, null, 0, v8, s0
	v_sub_co_u32 v12, s0, v2, s54
	v_subrev_co_ci_u32_e64 v5, null, 0, v5, s0
	v_cmp_le_u32_e32 vcc_lo, s54, v12
	v_cndmask_b32_e64 v11, 0, -1, vcc_lo
	v_cmp_le_u32_e32 vcc_lo, s55, v5
	v_cndmask_b32_e64 v12, 0, -1, vcc_lo
	;; [unrolled: 2-line block ×4, first 2 shown]
	v_cmp_eq_u32_e32 vcc_lo, s55, v5
	v_cndmask_b32_e32 v5, v12, v11, vcc_lo
	v_add_co_u32 v11, vcc_lo, v7, 1
	v_add_co_ci_u32_e64 v12, null, 0, v8, vcc_lo
	v_cmp_eq_u32_e32 vcc_lo, s55, v6
	v_xor_b32_e32 v6, s52, v14
	v_cndmask_b32_e32 v2, v15, v2, vcc_lo
	v_cmp_ne_u32_e32 vcc_lo, 0, v5
	v_cmp_ne_u32_e64 s0, 0, v2
	v_cndmask_b32_e32 v2, v11, v9, vcc_lo
	v_cndmask_b32_e32 v5, v12, v10, vcc_lo
	v_cndmask_b32_e64 v2, v7, v2, s0
	v_cndmask_b32_e64 v5, v8, v5, s0
	v_xor_b32_e32 v2, v2, v6
	v_xor_b32_e32 v7, v5, v6
	v_sub_co_u32 v5, vcc_lo, v2, v6
	v_sub_co_ci_u32_e64 v6, null, v7, v6, vcc_lo
.LBB63_5:                               ;   in Loop: Header=BB63_3 Depth=1
	s_andn2_saveexec_b32 s0, s56
	s_cbranch_execz .LBB63_7
; %bb.6:                                ;   in Loop: Header=BB63_3 Depth=1
	s_sub_i32 s53, 0, s8
	v_mul_lo_u32 v2, s53, v0
	v_mul_hi_u32 v2, v0, v2
	v_add_nc_u32_e32 v2, v0, v2
	v_mul_hi_u32 v2, v3, v2
	v_mul_lo_u32 v5, v2, s8
	v_add_nc_u32_e32 v6, 1, v2
	v_sub_nc_u32_e32 v5, v3, v5
	v_subrev_nc_u32_e32 v7, s8, v5
	v_cmp_le_u32_e32 vcc_lo, s8, v5
	v_cndmask_b32_e32 v5, v5, v7, vcc_lo
	v_cndmask_b32_e32 v2, v2, v6, vcc_lo
	v_cmp_le_u32_e32 vcc_lo, s8, v5
	v_add_nc_u32_e32 v6, 1, v2
	v_cndmask_b32_e32 v5, v2, v6, vcc_lo
	v_mov_b32_e32 v6, v1
.LBB63_7:                               ;   in Loop: Header=BB63_3 Depth=1
	s_or_b32 exec_lo, exec_lo, s0
	v_mul_lo_u32 v2, s49, v5
	v_mul_lo_u32 v9, s48, v6
	v_mad_u64_u32 v[7:8], null, s48, v5, 0
	s_mov_b32 s0, exec_lo
	v_add3_u32 v8, v8, v9, v2
	v_add_co_u32 v11, vcc_lo, v3, v7
                                        ; implicit-def: $vgpr9_vgpr10
	v_add_co_ci_u32_e64 v12, null, v4, v8, vcc_lo
	v_or_b32_e32 v2, s47, v12
	v_cmpx_ne_u64_e32 0, v[1:2]
	s_xor_b32 s53, exec_lo, s0
	s_cbranch_execz .LBB63_9
; %bb.8:                                ;   in Loop: Header=BB63_3 Depth=1
	s_ashr_i32 s54, s47, 31
	v_ashrrev_i32_e32 v17, 31, v12
	s_add_u32 s56, s46, s54
	s_mov_b32 s55, s54
	s_addc_u32 s57, s47, s54
	s_xor_b64 s[56:57], s[56:57], s[54:55]
	v_add_co_u32 v10, vcc_lo, v11, v17
	v_cvt_f32_u32_e32 v2, s56
	v_cvt_f32_u32_e32 v9, s57
	s_sub_u32 s62, 0, s56
	s_subb_u32 s63, 0, s57
	v_add_co_ci_u32_e64 v11, null, v12, v17, vcc_lo
	v_fmac_f32_e32 v2, 0x4f800000, v9
	v_xor_b32_e32 v18, v11, v17
	v_rcp_f32_e32 v2, v2
	v_mul_f32_e32 v2, 0x5f7ffffc, v2
	v_mul_f32_e32 v9, 0x2f800000, v2
	v_trunc_f32_e32 v9, v9
	v_fmac_f32_e32 v2, 0xcf800000, v9
	v_cvt_u32_f32_e32 v9, v9
	v_cvt_u32_f32_e32 v2, v2
	v_readfirstlane_b32 s0, v9
	v_readfirstlane_b32 s55, v2
	s_mul_i32 s64, s62, s0
	v_xor_b32_e32 v2, v10, v17
	s_mul_hi_u32 s66, s62, s55
	s_mul_i32 s65, s63, s55
	s_add_i32 s64, s66, s64
	s_mul_i32 s67, s62, s55
	s_add_i32 s64, s64, s65
	s_mul_hi_u32 s66, s55, s67
	s_mul_i32 s69, s55, s64
	s_mul_hi_u32 s68, s0, s67
	s_mul_i32 s65, s0, s67
	s_mul_hi_u32 s67, s55, s64
	s_add_u32 s66, s66, s69
	s_addc_u32 s67, 0, s67
	s_mul_hi_u32 s70, s0, s64
	s_add_u32 s65, s66, s65
	s_mul_i32 s64, s0, s64
	s_addc_u32 s65, s67, s68
	s_addc_u32 s66, s70, 0
	s_add_u32 s64, s65, s64
	s_addc_u32 s65, 0, s66
	s_add_u32 s55, s55, s64
	s_cselect_b32 s64, -1, 0
	s_mul_hi_u32 s66, s62, s55
	s_cmp_lg_u32 s64, 0
	s_mul_i32 s64, s62, s55
	s_addc_u32 s0, s0, s65
	s_mul_i32 s63, s63, s55
	s_mul_i32 s62, s62, s0
	s_mul_hi_u32 s65, s55, s64
	s_add_i32 s62, s66, s62
	s_mul_hi_u32 s66, s0, s64
	s_add_i32 s62, s62, s63
	s_mul_i32 s63, s0, s64
	s_mul_i32 s68, s55, s62
	s_mul_hi_u32 s67, s55, s62
	s_add_u32 s65, s65, s68
	s_addc_u32 s67, 0, s67
	s_mul_hi_u32 s64, s0, s62
	s_add_u32 s63, s65, s63
	s_mul_i32 s62, s0, s62
	s_addc_u32 s63, s67, s66
	s_addc_u32 s64, s64, 0
	s_add_u32 s62, s63, s62
	s_addc_u32 s63, 0, s64
	s_add_u32 s55, s55, s62
	s_cselect_b32 s62, -1, 0
	v_mul_hi_u32 v19, v2, s55
	s_cmp_lg_u32 s62, 0
	v_mad_u64_u32 v[11:12], null, v18, s55, 0
	s_addc_u32 s0, s0, s63
	v_mad_u64_u32 v[9:10], null, v2, s0, 0
	v_mad_u64_u32 v[15:16], null, v18, s0, 0
	v_add_co_u32 v9, vcc_lo, v19, v9
	v_add_co_ci_u32_e64 v10, null, 0, v10, vcc_lo
	v_add_co_u32 v9, vcc_lo, v9, v11
	v_add_co_ci_u32_e32 v9, vcc_lo, v10, v12, vcc_lo
	v_add_co_ci_u32_e32 v10, vcc_lo, 0, v16, vcc_lo
	v_add_co_u32 v11, vcc_lo, v9, v15
	v_add_co_ci_u32_e64 v12, null, 0, v10, vcc_lo
	v_mul_lo_u32 v15, s57, v11
	v_mad_u64_u32 v[9:10], null, s56, v11, 0
	v_mul_lo_u32 v16, s56, v12
	v_sub_co_u32 v2, vcc_lo, v2, v9
	v_add3_u32 v10, v10, v16, v15
	v_sub_nc_u32_e32 v15, v18, v10
	v_sub_co_ci_u32_e64 v10, null, v18, v10, vcc_lo
	v_subrev_co_ci_u32_e64 v9, null, s57, v15, vcc_lo
	v_add_co_u32 v15, s0, v11, 2
	v_add_co_ci_u32_e64 v16, null, 0, v12, s0
	v_sub_co_u32 v19, s0, v2, s56
	v_subrev_co_ci_u32_e64 v9, null, 0, v9, s0
	v_cmp_le_u32_e32 vcc_lo, s56, v19
	v_cndmask_b32_e64 v18, 0, -1, vcc_lo
	v_cmp_le_u32_e32 vcc_lo, s57, v9
	v_cndmask_b32_e64 v19, 0, -1, vcc_lo
	;; [unrolled: 2-line block ×4, first 2 shown]
	v_cmp_eq_u32_e32 vcc_lo, s57, v9
	v_cndmask_b32_e32 v9, v19, v18, vcc_lo
	v_add_co_u32 v18, vcc_lo, v11, 1
	v_add_co_ci_u32_e64 v19, null, 0, v12, vcc_lo
	v_cmp_eq_u32_e32 vcc_lo, s57, v10
	v_xor_b32_e32 v10, s54, v17
	v_cndmask_b32_e32 v2, v20, v2, vcc_lo
	v_cmp_ne_u32_e32 vcc_lo, 0, v9
	v_cmp_ne_u32_e64 s0, 0, v2
	v_cndmask_b32_e32 v2, v18, v15, vcc_lo
	v_cndmask_b32_e32 v9, v19, v16, vcc_lo
	v_cndmask_b32_e64 v2, v11, v2, s0
	v_cndmask_b32_e64 v9, v12, v9, s0
	v_xor_b32_e32 v2, v2, v10
	v_xor_b32_e32 v11, v9, v10
	v_sub_co_u32 v9, vcc_lo, v2, v10
	v_sub_co_ci_u32_e64 v10, null, v11, v10, vcc_lo
                                        ; implicit-def: $vgpr11
.LBB63_9:                               ;   in Loop: Header=BB63_3 Depth=1
	s_or_saveexec_b32 s0, s53
	v_cvt_f32_u32_e32 v18, s46
	s_xor_b32 exec_lo, exec_lo, s0
	s_cbranch_execz .LBB63_11
; %bb.10:                               ;   in Loop: Header=BB63_3 Depth=1
	v_rcp_iflag_f32_e32 v2, v18
	s_sub_i32 s53, 0, s46
	v_mul_f32_e32 v2, 0x4f7ffffe, v2
	v_cvt_u32_f32_e32 v2, v2
	v_mul_lo_u32 v9, s53, v2
	v_mul_hi_u32 v9, v2, v9
	v_add_nc_u32_e32 v2, v2, v9
	v_mul_hi_u32 v2, v11, v2
	v_mul_lo_u32 v9, v2, s46
	v_add_nc_u32_e32 v10, 1, v2
	v_sub_nc_u32_e32 v9, v11, v9
	v_subrev_nc_u32_e32 v11, s46, v9
	v_cmp_le_u32_e32 vcc_lo, s46, v9
	v_cndmask_b32_e32 v9, v9, v11, vcc_lo
	v_cndmask_b32_e32 v2, v2, v10, vcc_lo
	v_cmp_le_u32_e32 vcc_lo, s46, v9
	v_add_nc_u32_e32 v10, 1, v2
	v_cndmask_b32_e32 v9, v2, v10, vcc_lo
	v_mov_b32_e32 v10, v1
.LBB63_11:                              ;   in Loop: Header=BB63_3 Depth=1
	s_or_b32 exec_lo, exec_lo, s0
	v_mul_lo_u32 v2, v10, s46
	v_mul_lo_u32 v15, v9, s47
	v_mad_u64_u32 v[11:12], null, v9, s46, 0
	s_mov_b32 s0, exec_lo
	v_add3_u32 v2, v12, v15, v2
	v_sub_co_u32 v7, vcc_lo, v7, v11
	v_mul_lo_u32 v12, v10, s4
	v_mul_lo_u32 v11, v9, s5
	v_sub_co_ci_u32_e64 v2, null, v8, v2, vcc_lo
	v_add_co_u32 v10, vcc_lo, v3, v7
	v_mad_u64_u32 v[7:8], null, v9, s4, 0
	v_add_co_ci_u32_e64 v2, null, v4, v2, vcc_lo
	v_mul_lo_u32 v15, v10, s7
	v_mad_u64_u32 v[9:10], null, v10, s6, 0
	v_mul_lo_u32 v2, v2, s6
	v_add3_u32 v8, v8, v11, v12
	v_lshlrev_b64 v[7:8], 1, v[7:8]
	v_add3_u32 v10, v10, v15, v2
	v_add_co_u32 v2, vcc_lo, s44, v7
	v_lshlrev_b64 v[9:10], 1, v[9:10]
	v_add_co_ci_u32_e64 v8, null, s45, v8, vcc_lo
	v_add_co_u32 v7, vcc_lo, v2, v9
	v_add_co_ci_u32_e64 v8, null, v8, v10, vcc_lo
	v_alignbit_b32 v2, v6, v5, 30
	global_load_ushort v17, v[7:8], off
	v_lshlrev_b64 v[7:8], 2, v[5:6]
	v_mul_lo_u32 v2, s8, v2
	v_mul_lo_u32 v11, s9, v7
	v_mad_u64_u32 v[9:10], null, s8, v7, s[8:9]
	v_add3_u32 v10, v11, v10, v2
	v_add_co_u32 v15, vcc_lo, v3, v9
                                        ; implicit-def: $vgpr11_vgpr12
	v_add_co_ci_u32_e64 v16, null, v4, v10, vcc_lo
	v_or_b32_e32 v2, s47, v16
	v_cmpx_ne_u64_e32 0, v[1:2]
	s_xor_b32 s53, exec_lo, s0
	s_cbranch_execz .LBB63_13
; %bb.12:                               ;   in Loop: Header=BB63_3 Depth=1
	s_ashr_i32 s54, s47, 31
	v_ashrrev_i32_e32 v21, 31, v16
	s_add_u32 s56, s46, s54
	s_mov_b32 s55, s54
	s_addc_u32 s57, s47, s54
	s_xor_b64 s[56:57], s[56:57], s[54:55]
	v_add_co_u32 v12, vcc_lo, v15, v21
	v_cvt_f32_u32_e32 v2, s56
	v_cvt_f32_u32_e32 v11, s57
	s_sub_u32 s62, 0, s56
	s_subb_u32 s63, 0, s57
	v_add_co_ci_u32_e64 v15, null, v16, v21, vcc_lo
	v_fmac_f32_e32 v2, 0x4f800000, v11
	v_xor_b32_e32 v22, v15, v21
	v_rcp_f32_e32 v2, v2
	v_mul_f32_e32 v2, 0x5f7ffffc, v2
	v_mul_f32_e32 v11, 0x2f800000, v2
	v_trunc_f32_e32 v11, v11
	v_fmac_f32_e32 v2, 0xcf800000, v11
	v_cvt_u32_f32_e32 v11, v11
	v_cvt_u32_f32_e32 v2, v2
	v_readfirstlane_b32 s0, v11
	v_readfirstlane_b32 s55, v2
	s_mul_i32 s64, s62, s0
	v_xor_b32_e32 v2, v12, v21
	s_mul_hi_u32 s66, s62, s55
	s_mul_i32 s65, s63, s55
	s_add_i32 s64, s66, s64
	s_mul_i32 s67, s62, s55
	s_add_i32 s64, s64, s65
	s_mul_hi_u32 s66, s55, s67
	s_mul_i32 s69, s55, s64
	s_mul_hi_u32 s68, s0, s67
	s_mul_i32 s65, s0, s67
	s_mul_hi_u32 s67, s55, s64
	s_add_u32 s66, s66, s69
	s_addc_u32 s67, 0, s67
	s_mul_hi_u32 s70, s0, s64
	s_add_u32 s65, s66, s65
	s_mul_i32 s64, s0, s64
	s_addc_u32 s65, s67, s68
	s_addc_u32 s66, s70, 0
	s_add_u32 s64, s65, s64
	s_addc_u32 s65, 0, s66
	s_add_u32 s55, s55, s64
	s_cselect_b32 s64, -1, 0
	s_mul_hi_u32 s66, s62, s55
	s_cmp_lg_u32 s64, 0
	s_mul_i32 s64, s62, s55
	s_addc_u32 s0, s0, s65
	s_mul_i32 s63, s63, s55
	s_mul_i32 s62, s62, s0
	s_mul_hi_u32 s65, s55, s64
	s_add_i32 s62, s66, s62
	s_mul_hi_u32 s66, s0, s64
	s_add_i32 s62, s62, s63
	s_mul_i32 s63, s0, s64
	s_mul_i32 s68, s55, s62
	s_mul_hi_u32 s67, s55, s62
	s_add_u32 s65, s65, s68
	s_addc_u32 s67, 0, s67
	s_mul_hi_u32 s64, s0, s62
	s_add_u32 s63, s65, s63
	s_mul_i32 s62, s0, s62
	s_addc_u32 s63, s67, s66
	s_addc_u32 s64, s64, 0
	s_add_u32 s62, s63, s62
	s_addc_u32 s63, 0, s64
	s_add_u32 s55, s55, s62
	s_cselect_b32 s62, -1, 0
	v_mul_hi_u32 v23, v2, s55
	s_cmp_lg_u32 s62, 0
	v_mad_u64_u32 v[15:16], null, v22, s55, 0
	s_addc_u32 s0, s0, s63
	v_mad_u64_u32 v[11:12], null, v2, s0, 0
	v_mad_u64_u32 v[19:20], null, v22, s0, 0
	v_add_co_u32 v11, vcc_lo, v23, v11
	v_add_co_ci_u32_e64 v12, null, 0, v12, vcc_lo
	v_add_co_u32 v11, vcc_lo, v11, v15
	v_add_co_ci_u32_e32 v11, vcc_lo, v12, v16, vcc_lo
	v_add_co_ci_u32_e32 v12, vcc_lo, 0, v20, vcc_lo
	v_add_co_u32 v15, vcc_lo, v11, v19
	v_add_co_ci_u32_e64 v16, null, 0, v12, vcc_lo
	v_mul_lo_u32 v19, s57, v15
	v_mad_u64_u32 v[11:12], null, s56, v15, 0
	v_mul_lo_u32 v20, s56, v16
	v_sub_co_u32 v2, vcc_lo, v2, v11
	v_add3_u32 v12, v12, v20, v19
	v_sub_nc_u32_e32 v19, v22, v12
	v_sub_co_ci_u32_e64 v12, null, v22, v12, vcc_lo
	v_subrev_co_ci_u32_e64 v11, null, s57, v19, vcc_lo
	v_add_co_u32 v19, s0, v15, 2
	v_add_co_ci_u32_e64 v20, null, 0, v16, s0
	v_sub_co_u32 v23, s0, v2, s56
	v_subrev_co_ci_u32_e64 v11, null, 0, v11, s0
	v_cmp_le_u32_e32 vcc_lo, s56, v23
	v_cndmask_b32_e64 v22, 0, -1, vcc_lo
	v_cmp_le_u32_e32 vcc_lo, s57, v11
	v_cndmask_b32_e64 v23, 0, -1, vcc_lo
	;; [unrolled: 2-line block ×4, first 2 shown]
	v_cmp_eq_u32_e32 vcc_lo, s57, v11
	v_cndmask_b32_e32 v11, v23, v22, vcc_lo
	v_add_co_u32 v22, vcc_lo, v15, 1
	v_add_co_ci_u32_e64 v23, null, 0, v16, vcc_lo
	v_cmp_eq_u32_e32 vcc_lo, s57, v12
	v_xor_b32_e32 v12, s54, v21
	v_cndmask_b32_e32 v2, v24, v2, vcc_lo
	v_cmp_ne_u32_e32 vcc_lo, 0, v11
	v_cmp_ne_u32_e64 s0, 0, v2
	v_cndmask_b32_e32 v2, v22, v19, vcc_lo
	v_cndmask_b32_e32 v11, v23, v20, vcc_lo
	v_cndmask_b32_e64 v2, v15, v2, s0
	v_cndmask_b32_e64 v11, v16, v11, s0
	v_xor_b32_e32 v2, v2, v12
	v_xor_b32_e32 v15, v11, v12
	v_sub_co_u32 v11, vcc_lo, v2, v12
	v_sub_co_ci_u32_e64 v12, null, v15, v12, vcc_lo
                                        ; implicit-def: $vgpr15
.LBB63_13:                              ;   in Loop: Header=BB63_3 Depth=1
	s_andn2_saveexec_b32 s0, s53
	s_cbranch_execz .LBB63_15
; %bb.14:                               ;   in Loop: Header=BB63_3 Depth=1
	v_rcp_iflag_f32_e32 v2, v18
	s_sub_i32 s53, 0, s46
	v_mul_f32_e32 v2, 0x4f7ffffe, v2
	v_cvt_u32_f32_e32 v2, v2
	v_mul_lo_u32 v11, s53, v2
	v_mul_hi_u32 v11, v2, v11
	v_add_nc_u32_e32 v2, v2, v11
	v_mul_hi_u32 v2, v15, v2
	v_mul_lo_u32 v11, v2, s46
	v_add_nc_u32_e32 v12, 1, v2
	v_sub_nc_u32_e32 v11, v15, v11
	v_subrev_nc_u32_e32 v15, s46, v11
	v_cmp_le_u32_e32 vcc_lo, s46, v11
	v_cndmask_b32_e32 v11, v11, v15, vcc_lo
	v_cndmask_b32_e32 v2, v2, v12, vcc_lo
	v_cmp_le_u32_e32 vcc_lo, s46, v11
	v_add_nc_u32_e32 v12, 1, v2
	v_cndmask_b32_e32 v11, v2, v12, vcc_lo
	v_mov_b32_e32 v12, v1
.LBB63_15:                              ;   in Loop: Header=BB63_3 Depth=1
	s_or_b32 exec_lo, exec_lo, s0
	v_mul_lo_u32 v2, v12, s46
	v_mul_lo_u32 v19, v11, s47
	v_mad_u64_u32 v[15:16], null, v11, s46, 0
	s_mov_b32 s0, exec_lo
	v_add3_u32 v2, v16, v19, v2
	v_sub_co_u32 v9, vcc_lo, v9, v15
	v_mul_lo_u32 v16, v12, s4
	v_mul_lo_u32 v15, v11, s5
	v_sub_co_ci_u32_e64 v2, null, v10, v2, vcc_lo
	v_add_co_u32 v12, vcc_lo, v3, v9
	v_mad_u64_u32 v[9:10], null, v11, s4, 0
	v_add_co_ci_u32_e64 v2, null, v4, v2, vcc_lo
	v_mul_lo_u32 v19, v12, s7
	v_mad_u64_u32 v[11:12], null, v12, s6, 0
	v_mul_lo_u32 v2, v2, s6
	v_add3_u32 v10, v10, v15, v16
	v_lshlrev_b64 v[9:10], 1, v[9:10]
	v_add3_u32 v12, v12, v19, v2
	v_add_co_u32 v2, vcc_lo, s44, v9
	v_lshlrev_b64 v[11:12], 1, v[11:12]
	v_add_co_ci_u32_e64 v10, null, s45, v10, vcc_lo
	v_add_co_u32 v9, vcc_lo, v2, v11
	v_add_co_ci_u32_e64 v10, null, v10, v12, vcc_lo
	v_add_co_u32 v2, vcc_lo, v7, 2
	global_load_ushort v15, v[9:10], off
	v_add_co_ci_u32_e64 v9, null, 0, v8, vcc_lo
	v_mul_lo_u32 v11, s9, v2
	v_mul_lo_u32 v12, s8, v9
	v_mad_u64_u32 v[9:10], null, s8, v2, 0
	v_add3_u32 v10, v10, v12, v11
	v_add_co_u32 v16, vcc_lo, v3, v9
                                        ; implicit-def: $vgpr11_vgpr12
	v_add_co_ci_u32_e64 v19, null, v4, v10, vcc_lo
	v_or_b32_e32 v2, s47, v19
	v_cmpx_ne_u64_e32 0, v[1:2]
	s_xor_b32 s53, exec_lo, s0
	s_cbranch_execz .LBB63_17
; %bb.16:                               ;   in Loop: Header=BB63_3 Depth=1
	s_ashr_i32 s54, s47, 31
	v_ashrrev_i32_e32 v23, 31, v19
	s_add_u32 s56, s46, s54
	s_mov_b32 s55, s54
	s_addc_u32 s57, s47, s54
	s_xor_b64 s[56:57], s[56:57], s[54:55]
	v_add_co_u32 v12, vcc_lo, v16, v23
	v_cvt_f32_u32_e32 v2, s56
	v_cvt_f32_u32_e32 v11, s57
	s_sub_u32 s62, 0, s56
	s_subb_u32 s63, 0, s57
	v_add_co_ci_u32_e64 v16, null, v19, v23, vcc_lo
	v_fmac_f32_e32 v2, 0x4f800000, v11
	v_xor_b32_e32 v16, v16, v23
	v_rcp_f32_e32 v2, v2
	v_mul_f32_e32 v2, 0x5f7ffffc, v2
	v_mul_f32_e32 v11, 0x2f800000, v2
	v_trunc_f32_e32 v11, v11
	v_fmac_f32_e32 v2, 0xcf800000, v11
	v_cvt_u32_f32_e32 v11, v11
	v_cvt_u32_f32_e32 v2, v2
	v_readfirstlane_b32 s0, v11
	v_readfirstlane_b32 s55, v2
	s_mul_i32 s64, s62, s0
	v_xor_b32_e32 v2, v12, v23
	s_mul_hi_u32 s66, s62, s55
	s_mul_i32 s65, s63, s55
	s_add_i32 s64, s66, s64
	s_mul_i32 s67, s62, s55
	s_add_i32 s64, s64, s65
	s_mul_hi_u32 s66, s55, s67
	s_mul_i32 s69, s55, s64
	s_mul_hi_u32 s68, s0, s67
	s_mul_i32 s65, s0, s67
	s_mul_hi_u32 s67, s55, s64
	s_add_u32 s66, s66, s69
	s_addc_u32 s67, 0, s67
	s_mul_hi_u32 s70, s0, s64
	s_add_u32 s65, s66, s65
	s_mul_i32 s64, s0, s64
	s_addc_u32 s65, s67, s68
	s_addc_u32 s66, s70, 0
	s_add_u32 s64, s65, s64
	s_addc_u32 s65, 0, s66
	s_add_u32 s55, s55, s64
	s_cselect_b32 s64, -1, 0
	s_mul_hi_u32 s66, s62, s55
	s_cmp_lg_u32 s64, 0
	s_mul_i32 s64, s62, s55
	s_addc_u32 s0, s0, s65
	s_mul_i32 s63, s63, s55
	s_mul_i32 s62, s62, s0
	s_mul_hi_u32 s65, s55, s64
	s_add_i32 s62, s66, s62
	s_mul_hi_u32 s66, s0, s64
	s_add_i32 s62, s62, s63
	s_mul_i32 s63, s0, s64
	s_mul_i32 s68, s55, s62
	s_mul_hi_u32 s67, s55, s62
	s_add_u32 s65, s65, s68
	s_addc_u32 s67, 0, s67
	s_mul_hi_u32 s64, s0, s62
	s_add_u32 s63, s65, s63
	s_mul_i32 s62, s0, s62
	s_addc_u32 s63, s67, s66
	s_addc_u32 s64, s64, 0
	s_add_u32 s62, s63, s62
	s_addc_u32 s63, 0, s64
	s_add_u32 s55, s55, s62
	s_cselect_b32 s62, -1, 0
	v_mul_hi_u32 v24, v2, s55
	s_cmp_lg_u32 s62, 0
	v_mad_u64_u32 v[19:20], null, v16, s55, 0
	s_addc_u32 s0, s0, s63
	v_mad_u64_u32 v[11:12], null, v2, s0, 0
	v_mad_u64_u32 v[21:22], null, v16, s0, 0
	v_add_co_u32 v11, vcc_lo, v24, v11
	v_add_co_ci_u32_e64 v12, null, 0, v12, vcc_lo
	v_add_co_u32 v11, vcc_lo, v11, v19
	v_add_co_ci_u32_e32 v11, vcc_lo, v12, v20, vcc_lo
	v_add_co_ci_u32_e32 v12, vcc_lo, 0, v22, vcc_lo
	v_add_co_u32 v19, vcc_lo, v11, v21
	v_add_co_ci_u32_e64 v20, null, 0, v12, vcc_lo
	v_mul_lo_u32 v21, s57, v19
	v_mad_u64_u32 v[11:12], null, s56, v19, 0
	v_mul_lo_u32 v22, s56, v20
	v_sub_co_u32 v2, vcc_lo, v2, v11
	v_add3_u32 v12, v12, v22, v21
	v_sub_nc_u32_e32 v21, v16, v12
	v_sub_co_ci_u32_e64 v12, null, v16, v12, vcc_lo
	v_subrev_co_ci_u32_e64 v11, null, s57, v21, vcc_lo
	v_add_co_u32 v21, s0, v19, 2
	v_add_co_ci_u32_e64 v22, null, 0, v20, s0
	v_sub_co_u32 v24, s0, v2, s56
	v_subrev_co_ci_u32_e64 v11, null, 0, v11, s0
	v_cmp_le_u32_e32 vcc_lo, s56, v24
	v_cndmask_b32_e64 v16, 0, -1, vcc_lo
	v_cmp_le_u32_e32 vcc_lo, s57, v11
	v_cndmask_b32_e64 v24, 0, -1, vcc_lo
	;; [unrolled: 2-line block ×4, first 2 shown]
	v_cmp_eq_u32_e32 vcc_lo, s57, v11
	v_cndmask_b32_e32 v11, v24, v16, vcc_lo
	v_add_co_u32 v16, vcc_lo, v19, 1
	v_add_co_ci_u32_e64 v24, null, 0, v20, vcc_lo
	v_cmp_eq_u32_e32 vcc_lo, s57, v12
	v_xor_b32_e32 v12, s54, v23
	v_cndmask_b32_e32 v2, v25, v2, vcc_lo
	v_cmp_ne_u32_e32 vcc_lo, 0, v11
	v_cmp_ne_u32_e64 s0, 0, v2
	v_cndmask_b32_e32 v2, v16, v21, vcc_lo
	v_cndmask_b32_e32 v11, v24, v22, vcc_lo
	v_cndmask_b32_e64 v2, v19, v2, s0
	v_cndmask_b32_e64 v11, v20, v11, s0
	v_xor_b32_e32 v2, v2, v12
	v_xor_b32_e32 v16, v11, v12
	v_sub_co_u32 v11, vcc_lo, v2, v12
	v_sub_co_ci_u32_e64 v12, null, v16, v12, vcc_lo
                                        ; implicit-def: $vgpr16
.LBB63_17:                              ;   in Loop: Header=BB63_3 Depth=1
	s_andn2_saveexec_b32 s0, s53
	s_cbranch_execz .LBB63_19
; %bb.18:                               ;   in Loop: Header=BB63_3 Depth=1
	v_rcp_iflag_f32_e32 v2, v18
	s_sub_i32 s53, 0, s46
	v_mul_f32_e32 v2, 0x4f7ffffe, v2
	v_cvt_u32_f32_e32 v2, v2
	v_mul_lo_u32 v11, s53, v2
	v_mul_hi_u32 v11, v2, v11
	v_add_nc_u32_e32 v2, v2, v11
	v_mul_hi_u32 v2, v16, v2
	v_mul_lo_u32 v11, v2, s46
	v_add_nc_u32_e32 v12, 1, v2
	v_sub_nc_u32_e32 v11, v16, v11
	v_subrev_nc_u32_e32 v16, s46, v11
	v_cmp_le_u32_e32 vcc_lo, s46, v11
	v_cndmask_b32_e32 v11, v11, v16, vcc_lo
	v_cndmask_b32_e32 v2, v2, v12, vcc_lo
	v_cmp_le_u32_e32 vcc_lo, s46, v11
	v_add_nc_u32_e32 v12, 1, v2
	v_cndmask_b32_e32 v11, v2, v12, vcc_lo
	v_mov_b32_e32 v12, v1
.LBB63_19:                              ;   in Loop: Header=BB63_3 Depth=1
	s_or_b32 exec_lo, exec_lo, s0
	v_mul_lo_u32 v2, v12, s46
	v_mul_lo_u32 v16, v11, s47
	v_mad_u64_u32 v[19:20], null, v11, s46, 0
	s_mov_b32 s0, exec_lo
	v_add3_u32 v2, v20, v16, v2
	v_sub_co_u32 v9, vcc_lo, v9, v19
	v_mul_lo_u32 v16, v12, s4
	v_mul_lo_u32 v19, v11, s5
	v_sub_co_ci_u32_e64 v2, null, v10, v2, vcc_lo
	v_add_co_u32 v12, vcc_lo, v3, v9
	v_mad_u64_u32 v[9:10], null, v11, s4, 0
	v_add_co_ci_u32_e64 v2, null, v4, v2, vcc_lo
	v_mul_lo_u32 v20, v12, s7
	v_mad_u64_u32 v[11:12], null, v12, s6, 0
	v_mul_lo_u32 v2, v2, s6
	v_add3_u32 v10, v10, v19, v16
	v_lshlrev_b64 v[9:10], 1, v[9:10]
	v_add3_u32 v12, v12, v20, v2
	v_add_co_u32 v2, vcc_lo, s44, v9
	v_lshlrev_b64 v[11:12], 1, v[11:12]
	v_add_co_ci_u32_e64 v10, null, s45, v10, vcc_lo
	v_add_co_u32 v9, vcc_lo, v2, v11
	v_add_co_ci_u32_e64 v10, null, v10, v12, vcc_lo
	v_add_co_u32 v2, vcc_lo, v7, 3
	global_load_ushort v16, v[9:10], off
	v_add_co_ci_u32_e64 v9, null, 0, v8, vcc_lo
	v_mul_lo_u32 v11, s9, v2
	v_mul_lo_u32 v12, s8, v9
	v_mad_u64_u32 v[9:10], null, s8, v2, 0
	v_add3_u32 v10, v10, v12, v11
	v_add_co_u32 v19, vcc_lo, v3, v9
                                        ; implicit-def: $vgpr11_vgpr12
	v_add_co_ci_u32_e64 v20, null, v4, v10, vcc_lo
	v_or_b32_e32 v2, s47, v20
	v_cmpx_ne_u64_e32 0, v[1:2]
	s_xor_b32 s53, exec_lo, s0
	s_cbranch_execz .LBB63_21
; %bb.20:                               ;   in Loop: Header=BB63_3 Depth=1
	s_ashr_i32 s54, s47, 31
	v_ashrrev_i32_e32 v23, 31, v20
	s_add_u32 s56, s46, s54
	s_mov_b32 s55, s54
	s_addc_u32 s57, s47, s54
	s_xor_b64 s[56:57], s[56:57], s[54:55]
	v_add_co_u32 v12, vcc_lo, v19, v23
	v_cvt_f32_u32_e32 v2, s56
	v_cvt_f32_u32_e32 v11, s57
	s_sub_u32 s62, 0, s56
	s_subb_u32 s63, 0, s57
	v_add_co_ci_u32_e64 v19, null, v20, v23, vcc_lo
	v_fmac_f32_e32 v2, 0x4f800000, v11
	v_xor_b32_e32 v24, v19, v23
	v_rcp_f32_e32 v2, v2
	v_mul_f32_e32 v2, 0x5f7ffffc, v2
	v_mul_f32_e32 v11, 0x2f800000, v2
	v_trunc_f32_e32 v11, v11
	v_fmac_f32_e32 v2, 0xcf800000, v11
	v_cvt_u32_f32_e32 v11, v11
	v_cvt_u32_f32_e32 v2, v2
	v_readfirstlane_b32 s0, v11
	v_readfirstlane_b32 s55, v2
	s_mul_i32 s64, s62, s0
	v_xor_b32_e32 v2, v12, v23
	s_mul_hi_u32 s66, s62, s55
	s_mul_i32 s65, s63, s55
	s_add_i32 s64, s66, s64
	s_mul_i32 s67, s62, s55
	s_add_i32 s64, s64, s65
	s_mul_hi_u32 s66, s55, s67
	s_mul_i32 s69, s55, s64
	s_mul_hi_u32 s68, s0, s67
	s_mul_i32 s65, s0, s67
	s_mul_hi_u32 s67, s55, s64
	s_add_u32 s66, s66, s69
	s_addc_u32 s67, 0, s67
	s_mul_hi_u32 s70, s0, s64
	s_add_u32 s65, s66, s65
	s_mul_i32 s64, s0, s64
	s_addc_u32 s65, s67, s68
	s_addc_u32 s66, s70, 0
	s_add_u32 s64, s65, s64
	s_addc_u32 s65, 0, s66
	s_add_u32 s55, s55, s64
	s_cselect_b32 s64, -1, 0
	s_mul_hi_u32 s66, s62, s55
	s_cmp_lg_u32 s64, 0
	s_mul_i32 s64, s62, s55
	s_addc_u32 s0, s0, s65
	s_mul_i32 s63, s63, s55
	s_mul_i32 s62, s62, s0
	s_mul_hi_u32 s65, s55, s64
	s_add_i32 s62, s66, s62
	s_mul_hi_u32 s66, s0, s64
	s_add_i32 s62, s62, s63
	s_mul_i32 s63, s0, s64
	s_mul_i32 s68, s55, s62
	s_mul_hi_u32 s67, s55, s62
	s_add_u32 s65, s65, s68
	s_addc_u32 s67, 0, s67
	s_mul_hi_u32 s64, s0, s62
	s_add_u32 s63, s65, s63
	s_mul_i32 s62, s0, s62
	s_addc_u32 s63, s67, s66
	s_addc_u32 s64, s64, 0
	s_add_u32 s62, s63, s62
	s_addc_u32 s63, 0, s64
	s_add_u32 s55, s55, s62
	s_cselect_b32 s62, -1, 0
	v_mul_hi_u32 v25, v2, s55
	s_cmp_lg_u32 s62, 0
	v_mad_u64_u32 v[19:20], null, v24, s55, 0
	s_addc_u32 s0, s0, s63
	v_mad_u64_u32 v[11:12], null, v2, s0, 0
	v_mad_u64_u32 v[21:22], null, v24, s0, 0
	v_add_co_u32 v11, vcc_lo, v25, v11
	v_add_co_ci_u32_e64 v12, null, 0, v12, vcc_lo
	v_add_co_u32 v11, vcc_lo, v11, v19
	v_add_co_ci_u32_e32 v11, vcc_lo, v12, v20, vcc_lo
	v_add_co_ci_u32_e32 v12, vcc_lo, 0, v22, vcc_lo
	v_add_co_u32 v19, vcc_lo, v11, v21
	v_add_co_ci_u32_e64 v20, null, 0, v12, vcc_lo
	v_mul_lo_u32 v21, s57, v19
	v_mad_u64_u32 v[11:12], null, s56, v19, 0
	v_mul_lo_u32 v22, s56, v20
	v_sub_co_u32 v2, vcc_lo, v2, v11
	v_add3_u32 v12, v12, v22, v21
	v_sub_nc_u32_e32 v21, v24, v12
	v_sub_co_ci_u32_e64 v12, null, v24, v12, vcc_lo
	v_subrev_co_ci_u32_e64 v11, null, s57, v21, vcc_lo
	v_add_co_u32 v21, s0, v19, 2
	v_add_co_ci_u32_e64 v22, null, 0, v20, s0
	v_sub_co_u32 v25, s0, v2, s56
	v_subrev_co_ci_u32_e64 v11, null, 0, v11, s0
	v_cmp_le_u32_e32 vcc_lo, s56, v25
	v_cndmask_b32_e64 v24, 0, -1, vcc_lo
	v_cmp_le_u32_e32 vcc_lo, s57, v11
	v_cndmask_b32_e64 v25, 0, -1, vcc_lo
	;; [unrolled: 2-line block ×4, first 2 shown]
	v_cmp_eq_u32_e32 vcc_lo, s57, v11
	v_cndmask_b32_e32 v11, v25, v24, vcc_lo
	v_add_co_u32 v24, vcc_lo, v19, 1
	v_add_co_ci_u32_e64 v25, null, 0, v20, vcc_lo
	v_cmp_eq_u32_e32 vcc_lo, s57, v12
	v_xor_b32_e32 v12, s54, v23
	v_cndmask_b32_e32 v2, v26, v2, vcc_lo
	v_cmp_ne_u32_e32 vcc_lo, 0, v11
	v_cmp_ne_u32_e64 s0, 0, v2
	v_cndmask_b32_e32 v2, v24, v21, vcc_lo
	v_cndmask_b32_e32 v11, v25, v22, vcc_lo
	v_cndmask_b32_e64 v2, v19, v2, s0
	v_cndmask_b32_e64 v11, v20, v11, s0
	v_xor_b32_e32 v2, v2, v12
	v_xor_b32_e32 v19, v11, v12
	v_sub_co_u32 v11, vcc_lo, v2, v12
	v_sub_co_ci_u32_e64 v12, null, v19, v12, vcc_lo
                                        ; implicit-def: $vgpr19
.LBB63_21:                              ;   in Loop: Header=BB63_3 Depth=1
	s_andn2_saveexec_b32 s0, s53
	s_cbranch_execz .LBB63_23
; %bb.22:                               ;   in Loop: Header=BB63_3 Depth=1
	v_rcp_iflag_f32_e32 v2, v18
	s_sub_i32 s53, 0, s46
	v_mul_f32_e32 v2, 0x4f7ffffe, v2
	v_cvt_u32_f32_e32 v2, v2
	v_mul_lo_u32 v11, s53, v2
	v_mul_hi_u32 v11, v2, v11
	v_add_nc_u32_e32 v2, v2, v11
	v_mul_hi_u32 v2, v19, v2
	v_mul_lo_u32 v11, v2, s46
	v_add_nc_u32_e32 v12, 1, v2
	v_sub_nc_u32_e32 v11, v19, v11
	v_subrev_nc_u32_e32 v19, s46, v11
	v_cmp_le_u32_e32 vcc_lo, s46, v11
	v_cndmask_b32_e32 v11, v11, v19, vcc_lo
	v_cndmask_b32_e32 v2, v2, v12, vcc_lo
	v_cmp_le_u32_e32 vcc_lo, s46, v11
	v_add_nc_u32_e32 v12, 1, v2
	v_cndmask_b32_e32 v11, v2, v12, vcc_lo
	v_mov_b32_e32 v12, v1
.LBB63_23:                              ;   in Loop: Header=BB63_3 Depth=1
	s_or_b32 exec_lo, exec_lo, s0
	v_mul_lo_u32 v2, v12, s46
	v_mul_lo_u32 v21, v11, s47
	v_mad_u64_u32 v[19:20], null, v11, s46, 0
	s_mov_b32 s0, exec_lo
	v_add3_u32 v2, v20, v21, v2
	v_sub_co_u32 v9, vcc_lo, v9, v19
	v_mul_lo_u32 v20, v12, s4
	v_mul_lo_u32 v19, v11, s5
	v_sub_co_ci_u32_e64 v2, null, v10, v2, vcc_lo
	v_add_co_u32 v12, vcc_lo, v3, v9
	v_mad_u64_u32 v[9:10], null, v11, s4, 0
	v_add_co_ci_u32_e64 v2, null, v4, v2, vcc_lo
	v_mul_lo_u32 v21, v12, s7
	v_mad_u64_u32 v[11:12], null, v12, s6, 0
	v_mul_lo_u32 v2, v2, s6
	v_add3_u32 v10, v10, v19, v20
	v_lshlrev_b64 v[9:10], 1, v[9:10]
	v_add3_u32 v12, v12, v21, v2
	v_add_co_u32 v2, vcc_lo, s44, v9
	v_lshlrev_b64 v[11:12], 1, v[11:12]
	v_add_co_ci_u32_e64 v10, null, s45, v10, vcc_lo
	v_add_co_u32 v9, vcc_lo, v2, v11
	v_add_co_ci_u32_e64 v10, null, v10, v12, vcc_lo
	v_add_co_u32 v2, vcc_lo, v7, 4
	v_add_co_ci_u32_e64 v7, null, 0, v8, vcc_lo
	global_load_ushort v19, v[9:10], off
	v_mul_lo_u32 v9, s9, v2
	v_mul_lo_u32 v10, s8, v7
	v_mad_u64_u32 v[7:8], null, s8, v2, 0
	v_add3_u32 v8, v8, v10, v9
	v_add_co_u32 v11, vcc_lo, v3, v7
                                        ; implicit-def: $vgpr9_vgpr10
	v_add_co_ci_u32_e64 v12, null, v4, v8, vcc_lo
	v_or_b32_e32 v2, s47, v12
	v_cmpx_ne_u64_e32 0, v[1:2]
	s_xor_b32 s53, exec_lo, s0
	s_cbranch_execz .LBB63_25
; %bb.24:                               ;   in Loop: Header=BB63_3 Depth=1
	s_ashr_i32 s54, s47, 31
	v_ashrrev_i32_e32 v18, 31, v12
	s_add_u32 s56, s46, s54
	s_mov_b32 s55, s54
	s_addc_u32 s57, s47, s54
	s_xor_b64 s[56:57], s[56:57], s[54:55]
	v_add_co_u32 v10, vcc_lo, v11, v18
	v_cvt_f32_u32_e32 v2, s56
	v_cvt_f32_u32_e32 v9, s57
	s_sub_u32 s62, 0, s56
	s_subb_u32 s63, 0, s57
	v_add_co_ci_u32_e64 v11, null, v12, v18, vcc_lo
	v_fmac_f32_e32 v2, 0x4f800000, v9
	v_xor_b32_e32 v22, v11, v18
	v_rcp_f32_e32 v2, v2
	v_mul_f32_e32 v2, 0x5f7ffffc, v2
	v_mul_f32_e32 v9, 0x2f800000, v2
	v_trunc_f32_e32 v9, v9
	v_fmac_f32_e32 v2, 0xcf800000, v9
	v_cvt_u32_f32_e32 v9, v9
	v_cvt_u32_f32_e32 v2, v2
	v_readfirstlane_b32 s0, v9
	v_readfirstlane_b32 s55, v2
	s_mul_i32 s64, s62, s0
	v_xor_b32_e32 v2, v10, v18
	s_mul_hi_u32 s66, s62, s55
	s_mul_i32 s65, s63, s55
	s_add_i32 s64, s66, s64
	s_mul_i32 s67, s62, s55
	s_add_i32 s64, s64, s65
	s_mul_hi_u32 s66, s55, s67
	s_mul_i32 s69, s55, s64
	s_mul_hi_u32 s68, s0, s67
	s_mul_i32 s65, s0, s67
	s_mul_hi_u32 s67, s55, s64
	s_add_u32 s66, s66, s69
	s_addc_u32 s67, 0, s67
	s_mul_hi_u32 s70, s0, s64
	s_add_u32 s65, s66, s65
	s_mul_i32 s64, s0, s64
	s_addc_u32 s65, s67, s68
	s_addc_u32 s66, s70, 0
	s_add_u32 s64, s65, s64
	s_addc_u32 s65, 0, s66
	s_add_u32 s55, s55, s64
	s_cselect_b32 s64, -1, 0
	s_mul_hi_u32 s66, s62, s55
	s_cmp_lg_u32 s64, 0
	s_mul_i32 s64, s62, s55
	s_addc_u32 s0, s0, s65
	s_mul_i32 s63, s63, s55
	s_mul_i32 s62, s62, s0
	s_mul_hi_u32 s65, s55, s64
	s_add_i32 s62, s66, s62
	s_mul_hi_u32 s66, s0, s64
	s_add_i32 s62, s62, s63
	s_mul_i32 s63, s0, s64
	s_mul_i32 s68, s55, s62
	s_mul_hi_u32 s67, s55, s62
	s_add_u32 s65, s65, s68
	s_addc_u32 s67, 0, s67
	s_mul_hi_u32 s64, s0, s62
	s_add_u32 s63, s65, s63
	s_mul_i32 s62, s0, s62
	s_addc_u32 s63, s67, s66
	s_addc_u32 s64, s64, 0
	s_add_u32 s62, s63, s62
	s_addc_u32 s63, 0, s64
	s_add_u32 s55, s55, s62
	s_cselect_b32 s62, -1, 0
	v_mul_hi_u32 v23, v2, s55
	s_cmp_lg_u32 s62, 0
	v_mad_u64_u32 v[11:12], null, v22, s55, 0
	s_addc_u32 s0, s0, s63
	v_mad_u64_u32 v[9:10], null, v2, s0, 0
	v_mad_u64_u32 v[20:21], null, v22, s0, 0
	v_add_co_u32 v9, vcc_lo, v23, v9
	v_add_co_ci_u32_e64 v10, null, 0, v10, vcc_lo
	v_add_co_u32 v9, vcc_lo, v9, v11
	v_add_co_ci_u32_e32 v9, vcc_lo, v10, v12, vcc_lo
	v_add_co_ci_u32_e32 v10, vcc_lo, 0, v21, vcc_lo
	v_add_co_u32 v11, vcc_lo, v9, v20
	v_add_co_ci_u32_e64 v12, null, 0, v10, vcc_lo
	v_mul_lo_u32 v20, s57, v11
	v_mad_u64_u32 v[9:10], null, s56, v11, 0
	v_mul_lo_u32 v21, s56, v12
	v_sub_co_u32 v2, vcc_lo, v2, v9
	v_add3_u32 v10, v10, v21, v20
	v_sub_nc_u32_e32 v20, v22, v10
	v_sub_co_ci_u32_e64 v10, null, v22, v10, vcc_lo
	v_subrev_co_ci_u32_e64 v9, null, s57, v20, vcc_lo
	v_add_co_u32 v20, s0, v11, 2
	v_add_co_ci_u32_e64 v21, null, 0, v12, s0
	v_sub_co_u32 v23, s0, v2, s56
	v_subrev_co_ci_u32_e64 v9, null, 0, v9, s0
	v_cmp_le_u32_e32 vcc_lo, s56, v23
	v_cndmask_b32_e64 v22, 0, -1, vcc_lo
	v_cmp_le_u32_e32 vcc_lo, s57, v9
	v_cndmask_b32_e64 v23, 0, -1, vcc_lo
	;; [unrolled: 2-line block ×4, first 2 shown]
	v_cmp_eq_u32_e32 vcc_lo, s57, v9
	v_cndmask_b32_e32 v9, v23, v22, vcc_lo
	v_add_co_u32 v22, vcc_lo, v11, 1
	v_add_co_ci_u32_e64 v23, null, 0, v12, vcc_lo
	v_cmp_eq_u32_e32 vcc_lo, s57, v10
	v_xor_b32_e32 v10, s54, v18
                                        ; implicit-def: $vgpr18
	v_cndmask_b32_e32 v2, v24, v2, vcc_lo
	v_cmp_ne_u32_e32 vcc_lo, 0, v9
	v_cmp_ne_u32_e64 s0, 0, v2
	v_cndmask_b32_e32 v2, v22, v20, vcc_lo
	v_cndmask_b32_e32 v9, v23, v21, vcc_lo
	v_cndmask_b32_e64 v2, v11, v2, s0
	v_cndmask_b32_e64 v9, v12, v9, s0
	v_xor_b32_e32 v2, v2, v10
	v_xor_b32_e32 v11, v9, v10
	v_sub_co_u32 v9, vcc_lo, v2, v10
	v_sub_co_ci_u32_e64 v10, null, v11, v10, vcc_lo
                                        ; implicit-def: $vgpr11
.LBB63_25:                              ;   in Loop: Header=BB63_3 Depth=1
	s_andn2_saveexec_b32 s0, s53
	s_cbranch_execz .LBB63_27
; %bb.26:                               ;   in Loop: Header=BB63_3 Depth=1
	v_rcp_iflag_f32_e32 v2, v18
	s_sub_i32 s53, 0, s46
	v_mul_f32_e32 v2, 0x4f7ffffe, v2
	v_cvt_u32_f32_e32 v2, v2
	v_mul_lo_u32 v9, s53, v2
	v_mul_hi_u32 v9, v2, v9
	v_add_nc_u32_e32 v2, v2, v9
	v_mul_hi_u32 v2, v11, v2
	v_mul_lo_u32 v9, v2, s46
	v_add_nc_u32_e32 v10, 1, v2
	v_sub_nc_u32_e32 v9, v11, v9
	v_subrev_nc_u32_e32 v11, s46, v9
	v_cmp_le_u32_e32 vcc_lo, s46, v9
	v_cndmask_b32_e32 v9, v9, v11, vcc_lo
	v_cndmask_b32_e32 v2, v2, v10, vcc_lo
	v_cmp_le_u32_e32 vcc_lo, s46, v9
	v_add_nc_u32_e32 v10, 1, v2
	v_cndmask_b32_e32 v9, v2, v10, vcc_lo
	v_mov_b32_e32 v10, v1
.LBB63_27:                              ;   in Loop: Header=BB63_3 Depth=1
	s_or_b32 exec_lo, exec_lo, s0
	v_mul_lo_u32 v2, v10, s46
	v_mul_lo_u32 v18, v9, s47
	v_mad_u64_u32 v[11:12], null, v9, s46, 0
	s_mov_b32 s0, exec_lo
	v_add3_u32 v2, v12, v18, v2
	v_sub_co_u32 v7, vcc_lo, v7, v11
	v_mul_lo_u32 v12, v10, s4
	v_mul_lo_u32 v11, v9, s5
	v_sub_co_ci_u32_e64 v2, null, v8, v2, vcc_lo
	v_add_co_u32 v10, vcc_lo, v3, v7
	v_mad_u64_u32 v[7:8], null, v9, s4, 0
	v_add_co_ci_u32_e64 v2, null, v4, v2, vcc_lo
	v_mul_lo_u32 v18, v10, s7
	v_mad_u64_u32 v[9:10], null, v10, s6, 0
	v_mul_lo_u32 v2, v2, s6
	v_add3_u32 v8, v8, v11, v12
	v_lshlrev_b64 v[7:8], 1, v[7:8]
	v_add3_u32 v10, v10, v18, v2
	v_add_co_u32 v2, vcc_lo, s44, v7
	v_lshlrev_b64 v[9:10], 1, v[9:10]
	v_add_co_ci_u32_e64 v8, null, s45, v8, vcc_lo
	v_add_co_u32 v7, vcc_lo, v2, v9
	v_add_co_ci_u32_e64 v8, null, v8, v10, vcc_lo
	v_or_b32_e32 v2, s39, v4
	global_load_ushort v11, v[7:8], off
                                        ; implicit-def: $vgpr7_vgpr8
	v_cmpx_ne_u64_e32 0, v[1:2]
	s_xor_b32 s53, exec_lo, s0
	s_cbranch_execz .LBB63_29
; %bb.28:                               ;   in Loop: Header=BB63_3 Depth=1
	s_ashr_i32 s54, s39, 31
	v_add_co_u32 v8, vcc_lo, v3, v14
	s_add_u32 s56, s38, s54
	s_mov_b32 s55, s54
	s_addc_u32 s57, s39, s54
	v_add_co_ci_u32_e64 v9, null, v4, v14, vcc_lo
	s_xor_b64 s[56:57], s[56:57], s[54:55]
	v_cvt_f32_u32_e32 v2, s56
	v_cvt_f32_u32_e32 v7, s57
	s_sub_u32 s62, 0, s56
	s_subb_u32 s63, 0, s57
	v_xor_b32_e32 v12, v9, v14
	v_fmac_f32_e32 v2, 0x4f800000, v7
	v_rcp_f32_e32 v2, v2
	v_mul_f32_e32 v2, 0x5f7ffffc, v2
	v_mul_f32_e32 v7, 0x2f800000, v2
	v_trunc_f32_e32 v7, v7
	v_fmac_f32_e32 v2, 0xcf800000, v7
	v_cvt_u32_f32_e32 v7, v7
	v_cvt_u32_f32_e32 v2, v2
	v_readfirstlane_b32 s0, v7
	v_readfirstlane_b32 s55, v2
	s_mul_i32 s64, s62, s0
	v_xor_b32_e32 v2, v8, v14
	s_mul_hi_u32 s66, s62, s55
	s_mul_i32 s65, s63, s55
	s_add_i32 s64, s66, s64
	s_mul_i32 s67, s62, s55
	s_add_i32 s64, s64, s65
	s_mul_hi_u32 s66, s55, s67
	s_mul_i32 s69, s55, s64
	s_mul_hi_u32 s68, s0, s67
	s_mul_i32 s65, s0, s67
	s_mul_hi_u32 s67, s55, s64
	s_add_u32 s66, s66, s69
	s_addc_u32 s67, 0, s67
	s_mul_hi_u32 s70, s0, s64
	s_add_u32 s65, s66, s65
	s_mul_i32 s64, s0, s64
	s_addc_u32 s65, s67, s68
	s_addc_u32 s66, s70, 0
	s_add_u32 s64, s65, s64
	s_addc_u32 s65, 0, s66
	s_add_u32 s55, s55, s64
	s_cselect_b32 s64, -1, 0
	s_mul_hi_u32 s66, s62, s55
	s_cmp_lg_u32 s64, 0
	s_mul_i32 s64, s62, s55
	s_addc_u32 s0, s0, s65
	s_mul_i32 s63, s63, s55
	s_mul_i32 s62, s62, s0
	s_mul_hi_u32 s65, s55, s64
	s_add_i32 s62, s66, s62
	s_mul_hi_u32 s66, s0, s64
	s_add_i32 s62, s62, s63
	s_mul_i32 s63, s0, s64
	s_mul_i32 s68, s55, s62
	s_mul_hi_u32 s67, s55, s62
	s_add_u32 s65, s65, s68
	s_addc_u32 s67, 0, s67
	s_mul_hi_u32 s64, s0, s62
	s_add_u32 s63, s65, s63
	s_mul_i32 s62, s0, s62
	s_addc_u32 s63, s67, s66
	s_addc_u32 s64, s64, 0
	s_add_u32 s62, s63, s62
	s_addc_u32 s63, 0, s64
	s_add_u32 s55, s55, s62
	s_cselect_b32 s62, -1, 0
	v_mul_hi_u32 v18, v2, s55
	s_cmp_lg_u32 s62, 0
	v_mad_u64_u32 v[9:10], null, v12, s55, 0
	s_addc_u32 s0, s0, s63
	v_mad_u64_u32 v[7:8], null, v2, s0, 0
	v_mad_u64_u32 v[20:21], null, v12, s0, 0
	v_add_co_u32 v7, vcc_lo, v18, v7
	v_add_co_ci_u32_e64 v8, null, 0, v8, vcc_lo
	v_add_co_u32 v7, vcc_lo, v7, v9
	v_add_co_ci_u32_e32 v7, vcc_lo, v8, v10, vcc_lo
	v_add_co_ci_u32_e32 v8, vcc_lo, 0, v21, vcc_lo
	v_add_co_u32 v9, vcc_lo, v7, v20
	v_add_co_ci_u32_e64 v10, null, 0, v8, vcc_lo
	v_mul_lo_u32 v18, s57, v9
	v_mad_u64_u32 v[7:8], null, s56, v9, 0
	v_mul_lo_u32 v20, s56, v10
	v_sub_co_u32 v2, vcc_lo, v2, v7
	v_add3_u32 v8, v8, v20, v18
	v_sub_nc_u32_e32 v18, v12, v8
	v_sub_co_ci_u32_e64 v8, null, v12, v8, vcc_lo
	v_subrev_co_ci_u32_e64 v7, null, s57, v18, vcc_lo
	v_add_co_u32 v18, s0, v9, 2
	v_add_co_ci_u32_e64 v20, null, 0, v10, s0
	v_sub_co_u32 v21, s0, v2, s56
	v_subrev_co_ci_u32_e64 v7, null, 0, v7, s0
	v_cmp_le_u32_e32 vcc_lo, s56, v21
	v_cndmask_b32_e64 v12, 0, -1, vcc_lo
	v_cmp_le_u32_e32 vcc_lo, s57, v7
	v_cndmask_b32_e64 v21, 0, -1, vcc_lo
	;; [unrolled: 2-line block ×4, first 2 shown]
	v_cmp_eq_u32_e32 vcc_lo, s57, v7
	v_cndmask_b32_e32 v7, v21, v12, vcc_lo
	v_add_co_u32 v12, vcc_lo, v9, 1
	v_add_co_ci_u32_e64 v21, null, 0, v10, vcc_lo
	v_cmp_eq_u32_e32 vcc_lo, s57, v8
	v_xor_b32_e32 v8, s54, v14
	v_cndmask_b32_e32 v2, v22, v2, vcc_lo
	v_cmp_ne_u32_e32 vcc_lo, 0, v7
	v_cmp_ne_u32_e64 s0, 0, v2
	v_cndmask_b32_e32 v2, v12, v18, vcc_lo
	v_cndmask_b32_e32 v7, v21, v20, vcc_lo
	v_cndmask_b32_e64 v2, v9, v2, s0
	v_cndmask_b32_e64 v7, v10, v7, s0
	v_xor_b32_e32 v2, v2, v8
	v_xor_b32_e32 v9, v7, v8
	v_sub_co_u32 v7, vcc_lo, v2, v8
	v_sub_co_ci_u32_e64 v8, null, v9, v8, vcc_lo
.LBB63_29:                              ;   in Loop: Header=BB63_3 Depth=1
	s_andn2_saveexec_b32 s0, s53
	s_cbranch_execz .LBB63_31
; %bb.30:                               ;   in Loop: Header=BB63_3 Depth=1
	v_cvt_f32_u32_e32 v2, s38
	s_sub_i32 s53, 0, s38
	v_rcp_iflag_f32_e32 v2, v2
	v_mul_f32_e32 v2, 0x4f7ffffe, v2
	v_cvt_u32_f32_e32 v2, v2
	v_mul_lo_u32 v7, s53, v2
	v_mul_hi_u32 v7, v2, v7
	v_add_nc_u32_e32 v2, v2, v7
	v_mul_hi_u32 v2, v3, v2
	v_mul_lo_u32 v7, v2, s38
	v_add_nc_u32_e32 v8, 1, v2
	v_sub_nc_u32_e32 v7, v3, v7
	v_subrev_nc_u32_e32 v9, s38, v7
	v_cmp_le_u32_e32 vcc_lo, s38, v7
	v_cndmask_b32_e32 v7, v7, v9, vcc_lo
	v_cndmask_b32_e32 v2, v2, v8, vcc_lo
	v_cmp_le_u32_e32 vcc_lo, s38, v7
	v_add_nc_u32_e32 v8, 1, v2
	v_cndmask_b32_e32 v7, v2, v8, vcc_lo
	v_mov_b32_e32 v8, v1
.LBB63_31:                              ;   in Loop: Header=BB63_3 Depth=1
	s_or_b32 exec_lo, exec_lo, s0
	v_mad_u64_u32 v[9:10], null, s58, v7, v[3:4]
	v_mul_lo_u32 v2, s58, v8
	v_mul_lo_u32 v12, s59, v7
	;; [unrolled: 1-line block ×4, first 2 shown]
	v_mad_u64_u32 v[7:8], null, v7, s20, 0
	s_mov_b32 s0, exec_lo
	v_add3_u32 v2, v12, v10, v2
	v_mul_lo_u32 v12, v9, s23
	v_mad_u64_u32 v[9:10], null, v9, s22, 0
	v_add3_u32 v8, v8, v20, v18
	v_mul_lo_u32 v2, v2, s22
	v_lshlrev_b64 v[7:8], 1, v[7:8]
	v_add3_u32 v10, v10, v12, v2
	v_add_co_u32 v2, vcc_lo, s36, v7
	v_add_co_ci_u32_e64 v8, null, s37, v8, vcc_lo
	v_lshlrev_b64 v[9:10], 1, v[9:10]
	v_add_co_u32 v7, vcc_lo, v2, v9
	v_add_co_ci_u32_e64 v8, null, v8, v10, vcc_lo
	v_mul_lo_u32 v2, s51, v5
	v_mul_lo_u32 v9, s50, v6
	global_load_ushort v12, v[7:8], off
	v_mad_u64_u32 v[7:8], null, s50, v5, 0
	v_add3_u32 v8, v8, v9, v2
	v_add_co_u32 v22, vcc_lo, v3, v7
                                        ; implicit-def: $vgpr9_vgpr10
	v_add_co_ci_u32_e64 v23, null, v4, v8, vcc_lo
	v_or_b32_e32 v2, s29, v23
	v_ashrrev_i32_e32 v20, 31, v23
	v_cmpx_ne_u64_e32 0, v[1:2]
	s_xor_b32 s53, exec_lo, s0
	s_cbranch_execz .LBB63_33
; %bb.32:                               ;   in Loop: Header=BB63_3 Depth=1
	s_ashr_i32 s54, s29, 31
	v_add_co_u32 v10, vcc_lo, v22, v20
	s_add_u32 s56, s28, s54
	s_mov_b32 s55, s54
	s_addc_u32 s57, s29, s54
	v_add_co_ci_u32_e64 v18, null, v23, v20, vcc_lo
	s_xor_b64 s[56:57], s[56:57], s[54:55]
	v_cvt_f32_u32_e32 v2, s56
	v_cvt_f32_u32_e32 v9, s57
	s_sub_u32 s62, 0, s56
	s_subb_u32 s63, 0, s57
	v_xor_b32_e32 v18, v18, v20
	v_fmac_f32_e32 v2, 0x4f800000, v9
	v_rcp_f32_e32 v2, v2
	v_mul_f32_e32 v2, 0x5f7ffffc, v2
	v_mul_f32_e32 v9, 0x2f800000, v2
	v_trunc_f32_e32 v9, v9
	v_fmac_f32_e32 v2, 0xcf800000, v9
	v_cvt_u32_f32_e32 v9, v9
	v_cvt_u32_f32_e32 v2, v2
	v_readfirstlane_b32 s0, v9
	v_readfirstlane_b32 s55, v2
	s_mul_i32 s64, s62, s0
	v_xor_b32_e32 v2, v10, v20
	s_mul_hi_u32 s66, s62, s55
	s_mul_i32 s65, s63, s55
	s_add_i32 s64, s66, s64
	s_mul_i32 s67, s62, s55
	s_add_i32 s64, s64, s65
	s_mul_hi_u32 s66, s55, s67
	s_mul_i32 s69, s55, s64
	s_mul_hi_u32 s68, s0, s67
	s_mul_i32 s65, s0, s67
	s_mul_hi_u32 s67, s55, s64
	s_add_u32 s66, s66, s69
	s_addc_u32 s67, 0, s67
	s_mul_hi_u32 s70, s0, s64
	s_add_u32 s65, s66, s65
	s_mul_i32 s64, s0, s64
	s_addc_u32 s65, s67, s68
	s_addc_u32 s66, s70, 0
	s_add_u32 s64, s65, s64
	s_addc_u32 s65, 0, s66
	s_add_u32 s55, s55, s64
	s_cselect_b32 s64, -1, 0
	s_mul_hi_u32 s66, s62, s55
	s_cmp_lg_u32 s64, 0
	s_mul_i32 s64, s62, s55
	s_addc_u32 s0, s0, s65
	s_mul_i32 s63, s63, s55
	s_mul_i32 s62, s62, s0
	s_mul_hi_u32 s65, s55, s64
	s_add_i32 s62, s66, s62
	s_mul_hi_u32 s66, s0, s64
	s_add_i32 s62, s62, s63
	s_mul_i32 s63, s0, s64
	s_mul_i32 s68, s55, s62
	s_mul_hi_u32 s67, s55, s62
	s_add_u32 s65, s65, s68
	s_addc_u32 s67, 0, s67
	s_mul_hi_u32 s64, s0, s62
	s_add_u32 s63, s65, s63
	s_mul_i32 s62, s0, s62
	s_addc_u32 s63, s67, s66
	s_addc_u32 s64, s64, 0
	s_add_u32 s62, s63, s62
	s_addc_u32 s63, 0, s64
	s_add_u32 s55, s55, s62
	s_cselect_b32 s62, -1, 0
	v_mul_hi_u32 v21, v2, s55
	s_cmp_lg_u32 s62, 0
	v_mad_u64_u32 v[24:25], null, v18, s55, 0
	s_addc_u32 s0, s0, s63
	v_mad_u64_u32 v[9:10], null, v2, s0, 0
	v_mad_u64_u32 v[26:27], null, v18, s0, 0
	v_add_co_u32 v9, vcc_lo, v21, v9
	v_add_co_ci_u32_e64 v10, null, 0, v10, vcc_lo
	v_add_co_u32 v9, vcc_lo, v9, v24
	v_add_co_ci_u32_e32 v9, vcc_lo, v10, v25, vcc_lo
	v_add_co_ci_u32_e32 v10, vcc_lo, 0, v27, vcc_lo
	v_add_co_u32 v21, vcc_lo, v9, v26
	v_add_co_ci_u32_e64 v24, null, 0, v10, vcc_lo
	v_mul_lo_u32 v25, s57, v21
	v_mad_u64_u32 v[9:10], null, s56, v21, 0
	v_mul_lo_u32 v26, s56, v24
	v_sub_co_u32 v2, vcc_lo, v2, v9
	v_add3_u32 v10, v10, v26, v25
	v_sub_nc_u32_e32 v25, v18, v10
	v_sub_co_ci_u32_e64 v10, null, v18, v10, vcc_lo
	v_subrev_co_ci_u32_e64 v9, null, s57, v25, vcc_lo
	v_add_co_u32 v25, s0, v21, 2
	v_add_co_ci_u32_e64 v26, null, 0, v24, s0
	v_sub_co_u32 v27, s0, v2, s56
	v_subrev_co_ci_u32_e64 v9, null, 0, v9, s0
	v_cmp_le_u32_e32 vcc_lo, s56, v27
	v_cndmask_b32_e64 v18, 0, -1, vcc_lo
	v_cmp_le_u32_e32 vcc_lo, s57, v9
	v_cndmask_b32_e64 v27, 0, -1, vcc_lo
	v_cmp_le_u32_e32 vcc_lo, s56, v2
	v_cndmask_b32_e64 v2, 0, -1, vcc_lo
	v_cmp_le_u32_e32 vcc_lo, s57, v10
	v_cndmask_b32_e64 v28, 0, -1, vcc_lo
	v_cmp_eq_u32_e32 vcc_lo, s57, v9
	v_cndmask_b32_e32 v9, v27, v18, vcc_lo
	v_add_co_u32 v18, vcc_lo, v21, 1
	v_add_co_ci_u32_e64 v27, null, 0, v24, vcc_lo
	v_cmp_eq_u32_e32 vcc_lo, s57, v10
	v_xor_b32_e32 v10, s54, v20
	v_cndmask_b32_e32 v2, v28, v2, vcc_lo
	v_cmp_ne_u32_e32 vcc_lo, 0, v9
	v_cmp_ne_u32_e64 s0, 0, v2
	v_cndmask_b32_e32 v2, v18, v25, vcc_lo
	v_cndmask_b32_e32 v9, v27, v26, vcc_lo
	v_cndmask_b32_e64 v2, v21, v2, s0
	v_cndmask_b32_e64 v9, v24, v9, s0
	v_xor_b32_e32 v2, v2, v10
	v_xor_b32_e32 v18, v9, v10
	v_sub_co_u32 v9, vcc_lo, v2, v10
	v_sub_co_ci_u32_e64 v10, null, v18, v10, vcc_lo
.LBB63_33:                              ;   in Loop: Header=BB63_3 Depth=1
	s_or_saveexec_b32 s0, s53
	v_cvt_f32_u32_e32 v30, s28
	s_xor_b32 exec_lo, exec_lo, s0
	s_cbranch_execz .LBB63_35
; %bb.34:                               ;   in Loop: Header=BB63_3 Depth=1
	v_rcp_iflag_f32_e32 v2, v30
	s_sub_i32 s53, 0, s28
	v_mul_f32_e32 v2, 0x4f7ffffe, v2
	v_cvt_u32_f32_e32 v2, v2
	v_mul_lo_u32 v9, s53, v2
	v_mul_hi_u32 v9, v2, v9
	v_add_nc_u32_e32 v2, v2, v9
	v_mul_hi_u32 v2, v22, v2
	v_mul_lo_u32 v9, v2, s28
	v_add_nc_u32_e32 v10, 1, v2
	v_sub_nc_u32_e32 v9, v22, v9
	v_subrev_nc_u32_e32 v18, s28, v9
	v_cmp_le_u32_e32 vcc_lo, s28, v9
	v_cndmask_b32_e32 v9, v9, v18, vcc_lo
	v_cndmask_b32_e32 v2, v2, v10, vcc_lo
	v_cmp_le_u32_e32 vcc_lo, s28, v9
	v_add_nc_u32_e32 v10, 1, v2
	v_cndmask_b32_e32 v9, v2, v10, vcc_lo
	v_mov_b32_e32 v10, v1
.LBB63_35:                              ;   in Loop: Header=BB63_3 Depth=1
	s_or_b32 exec_lo, exec_lo, s0
	s_waitcnt vmcnt(4)
	v_lshlrev_b32_e32 v15, 16, v15
	s_waitcnt vmcnt(3)
	v_lshlrev_b32_e32 v27, 16, v16
	;; [unrolled: 2-line block ×3, first 2 shown]
	v_mul_lo_u32 v2, v10, s28
	v_mul_lo_u32 v21, v9, s29
	v_sub_f32_e32 v26, 1.0, v15
	v_fma_f32 v12, -v27, v27, 1.0
	v_mad_u64_u32 v[24:25], null, v9, s28, 0
	v_lshlrev_b32_e32 v17, 16, v17
	v_mul_f32_e32 v18, v26, v16
	v_lshlrev_b32_e32 v28, 16, v11
	v_mul_lo_u32 v29, v10, s12
	v_mul_lo_u32 v31, v9, s13
	s_mov_b32 s0, exec_lo
	v_mul_f32_e32 v18, v12, v18
	v_mad_u64_u32 v[11:12], null, v9, s12, 0
	v_sub_f32_e32 v9, 1.0, v17
	v_add3_u32 v2, v25, v21, v2
	v_mul_f32_e32 v10, v18, v28
	v_sub_co_u32 v21, vcc_lo, v7, v24
	v_sub_co_ci_u32_e64 v2, null, v8, v2, vcc_lo
	v_mul_f32_e32 v9, v9, v10
	v_add_co_u32 v21, vcc_lo, v3, v21
	v_add_co_ci_u32_e64 v2, null, v4, v2, vcc_lo
	v_mul_f32_e32 v28, v9, v17
	v_lshlrev_b64 v[9:10], 1, v[5:6]
	v_alignbit_b32 v5, v6, v5, 31
	v_mul_lo_u32 v32, v21, s15
	v_mul_lo_u32 v2, v2, s14
	v_bfe_u32 v33, v28, 16, 1
	v_mad_u64_u32 v[24:25], null, v21, s14, 0
	v_mul_lo_u32 v21, s8, v5
	v_mul_lo_u32 v34, s9, v9
	v_mad_u64_u32 v[5:6], null, s8, v9, s[8:9]
	v_add3_u32 v33, v28, v33, 0x7fff
	v_add3_u32 v12, v12, v31, v29
	;; [unrolled: 1-line block ×3, first 2 shown]
	v_cmp_o_f32_e32 vcc_lo, v28, v28
	v_lshrrev_b32_e32 v2, 16, v33
	v_lshlrev_b64 v[11:12], 1, v[11:12]
	v_add3_u32 v6, v34, v6, v21
	v_lshlrev_b64 v[31:32], 1, v[24:25]
	v_cndmask_b32_e32 v28, 0x7fc0, v2, vcc_lo
	v_add_co_u32 v24, vcc_lo, v3, v5
	v_add_co_ci_u32_e64 v25, null, v4, v6, vcc_lo
	v_add_co_u32 v11, vcc_lo, s2, v11
	v_add_co_ci_u32_e64 v12, null, s3, v12, vcc_lo
	v_or_b32_e32 v2, s29, v25
	v_add_co_u32 v11, vcc_lo, v11, v31
	v_add_co_ci_u32_e64 v12, null, v12, v32, vcc_lo
	v_ashrrev_i32_e32 v21, 31, v25
	global_store_short v[11:12], v28, off
                                        ; implicit-def: $vgpr11_vgpr12
	v_cmpx_ne_u64_e32 0, v[1:2]
	s_xor_b32 s53, exec_lo, s0
	s_cbranch_execz .LBB63_37
; %bb.36:                               ;   in Loop: Header=BB63_3 Depth=1
	s_ashr_i32 s54, s29, 31
	v_add_co_u32 v12, vcc_lo, v24, v21
	s_add_u32 s56, s28, s54
	s_mov_b32 s55, s54
	s_addc_u32 s57, s29, s54
	v_add_co_ci_u32_e64 v29, null, v25, v21, vcc_lo
	s_xor_b64 s[56:57], s[56:57], s[54:55]
	v_cvt_f32_u32_e32 v2, s56
	v_cvt_f32_u32_e32 v11, s57
	s_sub_u32 s62, 0, s56
	s_subb_u32 s63, 0, s57
	v_xor_b32_e32 v29, v29, v21
	v_fmac_f32_e32 v2, 0x4f800000, v11
	v_rcp_f32_e32 v2, v2
	v_mul_f32_e32 v2, 0x5f7ffffc, v2
	v_mul_f32_e32 v11, 0x2f800000, v2
	v_trunc_f32_e32 v11, v11
	v_fmac_f32_e32 v2, 0xcf800000, v11
	v_cvt_u32_f32_e32 v11, v11
	v_cvt_u32_f32_e32 v2, v2
	v_readfirstlane_b32 s0, v11
	v_readfirstlane_b32 s55, v2
	s_mul_i32 s64, s62, s0
	v_xor_b32_e32 v2, v12, v21
	s_mul_hi_u32 s66, s62, s55
	s_mul_i32 s65, s63, s55
	s_add_i32 s64, s66, s64
	s_mul_i32 s67, s62, s55
	s_add_i32 s64, s64, s65
	s_mul_hi_u32 s66, s55, s67
	s_mul_i32 s69, s55, s64
	s_mul_hi_u32 s68, s0, s67
	s_mul_i32 s65, s0, s67
	s_mul_hi_u32 s67, s55, s64
	s_add_u32 s66, s66, s69
	s_addc_u32 s67, 0, s67
	s_mul_hi_u32 s70, s0, s64
	s_add_u32 s65, s66, s65
	s_mul_i32 s64, s0, s64
	s_addc_u32 s65, s67, s68
	s_addc_u32 s66, s70, 0
	s_add_u32 s64, s65, s64
	s_addc_u32 s65, 0, s66
	s_add_u32 s55, s55, s64
	s_cselect_b32 s64, -1, 0
	s_mul_hi_u32 s66, s62, s55
	s_cmp_lg_u32 s64, 0
	s_mul_i32 s64, s62, s55
	s_addc_u32 s0, s0, s65
	s_mul_i32 s63, s63, s55
	s_mul_i32 s62, s62, s0
	s_mul_hi_u32 s65, s55, s64
	s_add_i32 s62, s66, s62
	s_mul_hi_u32 s66, s0, s64
	s_add_i32 s62, s62, s63
	s_mul_i32 s63, s0, s64
	s_mul_i32 s68, s55, s62
	s_mul_hi_u32 s67, s55, s62
	s_add_u32 s65, s65, s68
	s_addc_u32 s67, 0, s67
	s_mul_hi_u32 s64, s0, s62
	s_add_u32 s63, s65, s63
	s_mul_i32 s62, s0, s62
	s_addc_u32 s63, s67, s66
	s_addc_u32 s64, s64, 0
	s_add_u32 s62, s63, s62
	s_addc_u32 s63, 0, s64
	s_add_u32 s55, s55, s62
	s_cselect_b32 s62, -1, 0
	v_mul_hi_u32 v35, v2, s55
	s_cmp_lg_u32 s62, 0
	v_mad_u64_u32 v[31:32], null, v29, s55, 0
	s_addc_u32 s0, s0, s63
	v_mad_u64_u32 v[11:12], null, v2, s0, 0
	v_mad_u64_u32 v[33:34], null, v29, s0, 0
	v_add_co_u32 v11, vcc_lo, v35, v11
	v_add_co_ci_u32_e64 v12, null, 0, v12, vcc_lo
	v_add_co_u32 v11, vcc_lo, v11, v31
	v_add_co_ci_u32_e32 v11, vcc_lo, v12, v32, vcc_lo
	v_add_co_ci_u32_e32 v12, vcc_lo, 0, v34, vcc_lo
	v_add_co_u32 v31, vcc_lo, v11, v33
	v_add_co_ci_u32_e64 v32, null, 0, v12, vcc_lo
	v_mul_lo_u32 v33, s57, v31
	v_mad_u64_u32 v[11:12], null, s56, v31, 0
	v_mul_lo_u32 v34, s56, v32
	v_sub_co_u32 v2, vcc_lo, v2, v11
	v_add3_u32 v12, v12, v34, v33
	v_sub_nc_u32_e32 v33, v29, v12
	v_sub_co_ci_u32_e64 v12, null, v29, v12, vcc_lo
	v_subrev_co_ci_u32_e64 v11, null, s57, v33, vcc_lo
	v_add_co_u32 v33, s0, v31, 2
	v_add_co_ci_u32_e64 v34, null, 0, v32, s0
	v_sub_co_u32 v35, s0, v2, s56
	v_subrev_co_ci_u32_e64 v11, null, 0, v11, s0
	v_cmp_le_u32_e32 vcc_lo, s56, v35
	v_cndmask_b32_e64 v29, 0, -1, vcc_lo
	v_cmp_le_u32_e32 vcc_lo, s57, v11
	v_cndmask_b32_e64 v35, 0, -1, vcc_lo
	;; [unrolled: 2-line block ×4, first 2 shown]
	v_cmp_eq_u32_e32 vcc_lo, s57, v11
	v_cndmask_b32_e32 v11, v35, v29, vcc_lo
	v_add_co_u32 v29, vcc_lo, v31, 1
	v_add_co_ci_u32_e64 v35, null, 0, v32, vcc_lo
	v_cmp_eq_u32_e32 vcc_lo, s57, v12
	v_xor_b32_e32 v12, s54, v21
	v_cndmask_b32_e32 v2, v36, v2, vcc_lo
	v_cmp_ne_u32_e32 vcc_lo, 0, v11
	v_cmp_ne_u32_e64 s0, 0, v2
	v_cndmask_b32_e32 v2, v29, v33, vcc_lo
	v_cndmask_b32_e32 v11, v35, v34, vcc_lo
	v_cndmask_b32_e64 v2, v31, v2, s0
	v_cndmask_b32_e64 v11, v32, v11, s0
	v_xor_b32_e32 v2, v2, v12
	v_xor_b32_e32 v29, v11, v12
	v_sub_co_u32 v11, vcc_lo, v2, v12
	v_sub_co_ci_u32_e64 v12, null, v29, v12, vcc_lo
.LBB63_37:                              ;   in Loop: Header=BB63_3 Depth=1
	s_andn2_saveexec_b32 s0, s53
	s_cbranch_execz .LBB63_39
; %bb.38:                               ;   in Loop: Header=BB63_3 Depth=1
	v_rcp_iflag_f32_e32 v2, v30
	s_sub_i32 s53, 0, s28
	v_mul_f32_e32 v2, 0x4f7ffffe, v2
	v_cvt_u32_f32_e32 v2, v2
	v_mul_lo_u32 v11, s53, v2
	v_mul_hi_u32 v11, v2, v11
	v_add_nc_u32_e32 v2, v2, v11
	v_mul_hi_u32 v2, v24, v2
	v_mul_lo_u32 v11, v2, s28
	v_add_nc_u32_e32 v12, 1, v2
	v_sub_nc_u32_e32 v11, v24, v11
	v_subrev_nc_u32_e32 v29, s28, v11
	v_cmp_le_u32_e32 vcc_lo, s28, v11
	v_cndmask_b32_e32 v11, v11, v29, vcc_lo
	v_cndmask_b32_e32 v2, v2, v12, vcc_lo
	v_cmp_le_u32_e32 vcc_lo, s28, v11
	v_add_nc_u32_e32 v12, 1, v2
	v_cndmask_b32_e32 v11, v2, v12, vcc_lo
	v_mov_b32_e32 v12, v1
.LBB63_39:                              ;   in Loop: Header=BB63_3 Depth=1
	s_or_b32 exec_lo, exec_lo, s0
	v_lshlrev_b32_e32 v2, 16, v19
	v_mul_lo_u32 v19, v12, s28
	v_mul_lo_u32 v29, v11, s29
	v_mad_u64_u32 v[31:32], null, v11, s28, 0
	v_sub_f32_e32 v2, v2, v27
	v_mul_lo_u32 v33, v12, s12
	v_mul_lo_u32 v34, v11, s13
	v_mad_u64_u32 v[11:12], null, v11, s12, 0
	v_mul_f32_e32 v2, v2, v16
	v_add3_u32 v19, v32, v29, v19
	s_mov_b32 s0, exec_lo
	v_mul_f32_e32 v2, v26, v2
	v_sub_co_u32 v26, vcc_lo, v5, v31
	v_sub_co_ci_u32_e64 v19, null, v6, v19, vcc_lo
	v_mul_f32_e32 v2, v2, v15
	v_add_co_u32 v26, vcc_lo, v3, v26
	v_add_co_ci_u32_e64 v19, null, v4, v19, vcc_lo
	v_bfe_u32 v27, v2, 16, 1
	v_add_co_u32 v9, vcc_lo, v9, 2
	v_add_co_ci_u32_e64 v10, null, 0, v10, vcc_lo
	v_mul_lo_u32 v29, v26, s15
	v_mul_lo_u32 v19, v19, s14
	v_add3_u32 v31, v2, v27, 0x7fff
	v_mad_u64_u32 v[26:27], null, v26, s14, 0
	v_mul_lo_u32 v32, s9, v9
	v_mul_lo_u32 v35, s8, v10
	v_mad_u64_u32 v[9:10], null, s8, v9, 0
	v_add3_u32 v12, v12, v34, v33
	v_lshrrev_b32_e32 v31, 16, v31
	v_add3_u32 v27, v27, v29, v19
	v_cmp_o_f32_e32 vcc_lo, v2, v2
	v_lshlrev_b64 v[11:12], 1, v[11:12]
	v_add3_u32 v10, v10, v35, v32
	v_cndmask_b32_e32 v29, 0x7fc0, v31, vcc_lo
	v_lshlrev_b64 v[31:32], 1, v[26:27]
	v_add_co_u32 v26, vcc_lo, v3, v9
	v_add_co_ci_u32_e64 v27, null, v4, v10, vcc_lo
	v_add_co_u32 v11, vcc_lo, s2, v11
	v_add_co_ci_u32_e64 v12, null, s3, v12, vcc_lo
	v_or_b32_e32 v2, s29, v27
	v_add_co_u32 v11, vcc_lo, v11, v31
	v_add_co_ci_u32_e64 v12, null, v12, v32, vcc_lo
	v_ashrrev_i32_e32 v19, 31, v27
	global_store_short v[11:12], v29, off
                                        ; implicit-def: $vgpr11_vgpr12
	v_cmpx_ne_u64_e32 0, v[1:2]
	s_xor_b32 s53, exec_lo, s0
	s_cbranch_execz .LBB63_41
; %bb.40:                               ;   in Loop: Header=BB63_3 Depth=1
	s_ashr_i32 s54, s29, 31
	v_add_co_u32 v12, vcc_lo, v26, v19
	s_add_u32 s56, s28, s54
	s_mov_b32 s55, s54
	s_addc_u32 s57, s29, s54
	v_add_co_ci_u32_e64 v30, null, v27, v19, vcc_lo
	s_xor_b64 s[56:57], s[56:57], s[54:55]
	v_cvt_f32_u32_e32 v2, s56
	v_cvt_f32_u32_e32 v11, s57
	s_sub_u32 s62, 0, s56
	s_subb_u32 s63, 0, s57
	v_xor_b32_e32 v34, v30, v19
	v_fmac_f32_e32 v2, 0x4f800000, v11
	v_rcp_f32_e32 v2, v2
	v_mul_f32_e32 v2, 0x5f7ffffc, v2
	v_mul_f32_e32 v11, 0x2f800000, v2
	v_trunc_f32_e32 v11, v11
	v_fmac_f32_e32 v2, 0xcf800000, v11
	v_cvt_u32_f32_e32 v11, v11
	v_cvt_u32_f32_e32 v2, v2
	v_readfirstlane_b32 s0, v11
	v_readfirstlane_b32 s55, v2
	s_mul_i32 s64, s62, s0
	v_xor_b32_e32 v2, v12, v19
	s_mul_hi_u32 s66, s62, s55
	s_mul_i32 s65, s63, s55
	s_add_i32 s64, s66, s64
	s_mul_i32 s67, s62, s55
	s_add_i32 s64, s64, s65
	s_mul_hi_u32 s66, s55, s67
	s_mul_i32 s69, s55, s64
	s_mul_hi_u32 s68, s0, s67
	s_mul_i32 s65, s0, s67
	s_mul_hi_u32 s67, s55, s64
	s_add_u32 s66, s66, s69
	s_addc_u32 s67, 0, s67
	s_mul_hi_u32 s70, s0, s64
	s_add_u32 s65, s66, s65
	s_mul_i32 s64, s0, s64
	s_addc_u32 s65, s67, s68
	s_addc_u32 s66, s70, 0
	s_add_u32 s64, s65, s64
	s_addc_u32 s65, 0, s66
	s_add_u32 s55, s55, s64
	s_cselect_b32 s64, -1, 0
	s_mul_hi_u32 s66, s62, s55
	s_cmp_lg_u32 s64, 0
	s_mul_i32 s64, s62, s55
	s_addc_u32 s0, s0, s65
	s_mul_i32 s63, s63, s55
	s_mul_i32 s62, s62, s0
	s_mul_hi_u32 s65, s55, s64
	s_add_i32 s62, s66, s62
	s_mul_hi_u32 s66, s0, s64
	s_add_i32 s62, s62, s63
	s_mul_i32 s63, s0, s64
	s_mul_i32 s68, s55, s62
	s_mul_hi_u32 s67, s55, s62
	s_add_u32 s65, s65, s68
	s_addc_u32 s67, 0, s67
	s_mul_hi_u32 s64, s0, s62
	s_add_u32 s63, s65, s63
	s_mul_i32 s62, s0, s62
	s_addc_u32 s63, s67, s66
	s_addc_u32 s64, s64, 0
	s_add_u32 s62, s63, s62
	s_addc_u32 s63, 0, s64
	s_add_u32 s55, s55, s62
	s_cselect_b32 s62, -1, 0
	v_mul_hi_u32 v35, v2, s55
	s_cmp_lg_u32 s62, 0
	v_mad_u64_u32 v[30:31], null, v34, s55, 0
	s_addc_u32 s0, s0, s63
	v_mad_u64_u32 v[11:12], null, v2, s0, 0
	v_mad_u64_u32 v[32:33], null, v34, s0, 0
	v_add_co_u32 v11, vcc_lo, v35, v11
	v_add_co_ci_u32_e64 v12, null, 0, v12, vcc_lo
	v_add_co_u32 v11, vcc_lo, v11, v30
	v_add_co_ci_u32_e32 v11, vcc_lo, v12, v31, vcc_lo
	v_add_co_ci_u32_e32 v12, vcc_lo, 0, v33, vcc_lo
	v_add_co_u32 v30, vcc_lo, v11, v32
	v_add_co_ci_u32_e64 v31, null, 0, v12, vcc_lo
	v_mul_lo_u32 v32, s57, v30
	v_mad_u64_u32 v[11:12], null, s56, v30, 0
	v_mul_lo_u32 v33, s56, v31
	v_sub_co_u32 v2, vcc_lo, v2, v11
	v_add3_u32 v12, v12, v33, v32
	v_sub_nc_u32_e32 v32, v34, v12
	v_sub_co_ci_u32_e64 v12, null, v34, v12, vcc_lo
	v_subrev_co_ci_u32_e64 v11, null, s57, v32, vcc_lo
	v_add_co_u32 v32, s0, v30, 2
	v_add_co_ci_u32_e64 v33, null, 0, v31, s0
	v_sub_co_u32 v35, s0, v2, s56
	v_subrev_co_ci_u32_e64 v11, null, 0, v11, s0
	v_cmp_le_u32_e32 vcc_lo, s56, v35
	v_cndmask_b32_e64 v34, 0, -1, vcc_lo
	v_cmp_le_u32_e32 vcc_lo, s57, v11
	v_cndmask_b32_e64 v35, 0, -1, vcc_lo
	;; [unrolled: 2-line block ×4, first 2 shown]
	v_cmp_eq_u32_e32 vcc_lo, s57, v11
	v_cndmask_b32_e32 v11, v35, v34, vcc_lo
	v_add_co_u32 v34, vcc_lo, v30, 1
	v_add_co_ci_u32_e64 v35, null, 0, v31, vcc_lo
	v_cmp_eq_u32_e32 vcc_lo, s57, v12
	v_xor_b32_e32 v12, s54, v19
	v_cndmask_b32_e32 v2, v36, v2, vcc_lo
	v_cmp_ne_u32_e32 vcc_lo, 0, v11
	v_cmp_ne_u32_e64 s0, 0, v2
	v_cndmask_b32_e32 v2, v34, v32, vcc_lo
	v_cndmask_b32_e32 v11, v35, v33, vcc_lo
	v_cndmask_b32_e64 v2, v30, v2, s0
	v_cndmask_b32_e64 v11, v31, v11, s0
	v_xor_b32_e32 v2, v2, v12
	v_xor_b32_e32 v30, v11, v12
	v_sub_co_u32 v11, vcc_lo, v2, v12
	v_sub_co_ci_u32_e64 v12, null, v30, v12, vcc_lo
                                        ; implicit-def: $vgpr30
.LBB63_41:                              ;   in Loop: Header=BB63_3 Depth=1
	s_andn2_saveexec_b32 s0, s53
	s_cbranch_execz .LBB63_43
; %bb.42:                               ;   in Loop: Header=BB63_3 Depth=1
	v_rcp_iflag_f32_e32 v2, v30
	s_sub_i32 s53, 0, s28
	v_mul_f32_e32 v2, 0x4f7ffffe, v2
	v_cvt_u32_f32_e32 v2, v2
	v_mul_lo_u32 v11, s53, v2
	v_mul_hi_u32 v11, v2, v11
	v_add_nc_u32_e32 v2, v2, v11
	v_mul_hi_u32 v2, v26, v2
	v_mul_lo_u32 v11, v2, s28
	v_add_nc_u32_e32 v12, 1, v2
	v_sub_nc_u32_e32 v11, v26, v11
	v_subrev_nc_u32_e32 v30, s28, v11
	v_cmp_le_u32_e32 vcc_lo, s28, v11
	v_cndmask_b32_e32 v11, v11, v30, vcc_lo
	v_cndmask_b32_e32 v2, v2, v12, vcc_lo
	v_cmp_le_u32_e32 vcc_lo, s28, v11
	v_add_nc_u32_e32 v12, 1, v2
	v_cndmask_b32_e32 v11, v2, v12, vcc_lo
	v_mov_b32_e32 v12, v1
.LBB63_43:                              ;   in Loop: Header=BB63_3 Depth=1
	s_or_b32 exec_lo, exec_lo, s0
	v_mul_lo_u32 v2, v12, s28
	v_mul_lo_u32 v32, v11, s29
	v_mad_u64_u32 v[30:31], null, v11, s28, 0
	v_mul_lo_u32 v33, v11, s13
	v_add3_u32 v2, v31, v32, v2
	v_mul_lo_u32 v32, v12, s12
	v_sub_co_u32 v12, vcc_lo, v9, v30
	v_sub_co_ci_u32_e64 v2, null, v10, v2, vcc_lo
	v_add_co_u32 v30, vcc_lo, v3, v12
	v_mad_u64_u32 v[11:12], null, v11, s12, 0
	v_add_co_ci_u32_e64 v2, null, v4, v2, vcc_lo
	v_mul_lo_u32 v34, v30, s15
	v_mad_u64_u32 v[30:31], null, v30, s14, 0
	v_mul_lo_u32 v2, v2, s14
	v_add3_u32 v12, v12, v33, v32
	v_bfe_u32 v32, v18, 16, 1
	v_cmp_o_f32_e32 vcc_lo, v18, v18
	v_lshlrev_b64 v[11:12], 1, v[11:12]
	v_add3_u32 v32, v18, v32, 0x7fff
	v_add3_u32 v31, v31, v34, v2
	v_or_b32_e32 v2, s35, v23
	v_add_co_u32 v11, s0, s2, v11
	v_lshlrev_b64 v[30:31], 1, v[30:31]
	v_add_co_ci_u32_e64 v12, null, s3, v12, s0
	v_cndmask_b32_sdwa v32, v13, v32, vcc_lo dst_sel:DWORD dst_unused:UNUSED_PAD src0_sel:DWORD src1_sel:WORD_1
	s_mov_b32 s0, exec_lo
	v_add_co_u32 v11, vcc_lo, v11, v30
	v_add_co_ci_u32_e64 v12, null, v12, v31, vcc_lo
	global_store_short v[11:12], v32, off
                                        ; implicit-def: $vgpr11_vgpr12
	v_cmpx_ne_u64_e32 0, v[1:2]
	s_xor_b32 s53, exec_lo, s0
	s_cbranch_execz .LBB63_45
; %bb.44:                               ;   in Loop: Header=BB63_3 Depth=1
	s_ashr_i32 s54, s35, 31
	v_add_co_u32 v12, vcc_lo, v22, v20
	s_add_u32 s56, s34, s54
	s_mov_b32 s55, s54
	s_addc_u32 s57, s35, s54
	v_add_co_ci_u32_e64 v22, null, v23, v20, vcc_lo
	s_xor_b64 s[56:57], s[56:57], s[54:55]
	v_cvt_f32_u32_e32 v2, s56
	v_cvt_f32_u32_e32 v11, s57
	s_sub_u32 s62, 0, s56
	s_subb_u32 s63, 0, s57
	v_xor_b32_e32 v32, v22, v20
	v_fmac_f32_e32 v2, 0x4f800000, v11
	v_rcp_f32_e32 v2, v2
	v_mul_f32_e32 v2, 0x5f7ffffc, v2
	v_mul_f32_e32 v11, 0x2f800000, v2
	v_trunc_f32_e32 v11, v11
	v_fmac_f32_e32 v2, 0xcf800000, v11
	v_cvt_u32_f32_e32 v11, v11
	v_cvt_u32_f32_e32 v2, v2
	v_readfirstlane_b32 s0, v11
	v_readfirstlane_b32 s55, v2
	s_mul_i32 s64, s62, s0
	v_xor_b32_e32 v2, v12, v20
	s_mul_hi_u32 s66, s62, s55
	s_mul_i32 s65, s63, s55
	s_add_i32 s64, s66, s64
	s_mul_i32 s67, s62, s55
	s_add_i32 s64, s64, s65
	s_mul_hi_u32 s66, s55, s67
	s_mul_i32 s69, s55, s64
	s_mul_hi_u32 s68, s0, s67
	s_mul_i32 s65, s0, s67
	s_mul_hi_u32 s67, s55, s64
	s_add_u32 s66, s66, s69
	s_addc_u32 s67, 0, s67
	s_mul_hi_u32 s70, s0, s64
	s_add_u32 s65, s66, s65
	s_mul_i32 s64, s0, s64
	s_addc_u32 s65, s67, s68
	s_addc_u32 s66, s70, 0
	s_add_u32 s64, s65, s64
	s_addc_u32 s65, 0, s66
	s_add_u32 s55, s55, s64
	s_cselect_b32 s64, -1, 0
	s_mul_hi_u32 s66, s62, s55
	s_cmp_lg_u32 s64, 0
	s_mul_i32 s64, s62, s55
	s_addc_u32 s0, s0, s65
	s_mul_i32 s63, s63, s55
	s_mul_i32 s62, s62, s0
	s_mul_hi_u32 s65, s55, s64
	s_add_i32 s62, s66, s62
	s_mul_hi_u32 s66, s0, s64
	s_add_i32 s62, s62, s63
	s_mul_i32 s63, s0, s64
	s_mul_i32 s68, s55, s62
	s_mul_hi_u32 s67, s55, s62
	s_add_u32 s65, s65, s68
	s_addc_u32 s67, 0, s67
	s_mul_hi_u32 s64, s0, s62
	s_add_u32 s63, s65, s63
	s_mul_i32 s62, s0, s62
	s_addc_u32 s63, s67, s66
	s_addc_u32 s64, s64, 0
	s_add_u32 s62, s63, s62
	s_addc_u32 s63, 0, s64
	s_add_u32 s55, s55, s62
	s_cselect_b32 s62, -1, 0
	v_mul_hi_u32 v33, v2, s55
	s_cmp_lg_u32 s62, 0
	v_mad_u64_u32 v[22:23], null, v32, s55, 0
	s_addc_u32 s0, s0, s63
	v_mad_u64_u32 v[11:12], null, v2, s0, 0
	v_mad_u64_u32 v[30:31], null, v32, s0, 0
	v_add_co_u32 v11, vcc_lo, v33, v11
	v_add_co_ci_u32_e64 v12, null, 0, v12, vcc_lo
	v_add_co_u32 v11, vcc_lo, v11, v22
	v_add_co_ci_u32_e32 v11, vcc_lo, v12, v23, vcc_lo
	v_add_co_ci_u32_e32 v12, vcc_lo, 0, v31, vcc_lo
	v_add_co_u32 v22, vcc_lo, v11, v30
	v_add_co_ci_u32_e64 v23, null, 0, v12, vcc_lo
	v_mul_lo_u32 v30, s57, v22
	v_mad_u64_u32 v[11:12], null, s56, v22, 0
	v_mul_lo_u32 v31, s56, v23
	v_sub_co_u32 v2, vcc_lo, v2, v11
	v_add3_u32 v12, v12, v31, v30
	v_sub_nc_u32_e32 v30, v32, v12
	v_sub_co_ci_u32_e64 v12, null, v32, v12, vcc_lo
	v_subrev_co_ci_u32_e64 v11, null, s57, v30, vcc_lo
	v_add_co_u32 v30, s0, v22, 2
	v_add_co_ci_u32_e64 v31, null, 0, v23, s0
	v_sub_co_u32 v33, s0, v2, s56
	v_subrev_co_ci_u32_e64 v11, null, 0, v11, s0
	v_cmp_le_u32_e32 vcc_lo, s56, v33
	v_cndmask_b32_e64 v32, 0, -1, vcc_lo
	v_cmp_le_u32_e32 vcc_lo, s57, v11
	v_cndmask_b32_e64 v33, 0, -1, vcc_lo
	;; [unrolled: 2-line block ×4, first 2 shown]
	v_cmp_eq_u32_e32 vcc_lo, s57, v11
	v_cndmask_b32_e32 v11, v33, v32, vcc_lo
	v_add_co_u32 v32, vcc_lo, v22, 1
	v_add_co_ci_u32_e64 v33, null, 0, v23, vcc_lo
	v_cmp_eq_u32_e32 vcc_lo, s57, v12
	v_xor_b32_e32 v12, s54, v20
	v_cndmask_b32_e32 v2, v34, v2, vcc_lo
	v_cmp_ne_u32_e32 vcc_lo, 0, v11
	v_cmp_ne_u32_e64 s0, 0, v2
	v_cndmask_b32_e32 v2, v32, v30, vcc_lo
	v_cndmask_b32_e32 v11, v33, v31, vcc_lo
	v_cndmask_b32_e64 v2, v22, v2, s0
	v_cndmask_b32_e64 v11, v23, v11, s0
                                        ; implicit-def: $vgpr22
	v_xor_b32_e32 v2, v2, v12
	v_xor_b32_e32 v20, v11, v12
	v_sub_co_u32 v11, vcc_lo, v2, v12
	v_sub_co_ci_u32_e64 v12, null, v20, v12, vcc_lo
.LBB63_45:                              ;   in Loop: Header=BB63_3 Depth=1
	s_or_saveexec_b32 s0, s53
	v_cvt_f32_u32_e32 v20, s34
	s_xor_b32 exec_lo, exec_lo, s0
	s_cbranch_execz .LBB63_47
; %bb.46:                               ;   in Loop: Header=BB63_3 Depth=1
	v_rcp_iflag_f32_e32 v2, v20
	s_sub_i32 s53, 0, s34
	v_mul_f32_e32 v2, 0x4f7ffffe, v2
	v_cvt_u32_f32_e32 v2, v2
	v_mul_lo_u32 v11, s53, v2
	v_mul_hi_u32 v11, v2, v11
	v_add_nc_u32_e32 v2, v2, v11
	v_mul_hi_u32 v2, v22, v2
	v_mul_lo_u32 v11, v2, s34
	v_add_nc_u32_e32 v12, 1, v2
	v_sub_nc_u32_e32 v11, v22, v11
	v_subrev_nc_u32_e32 v22, s34, v11
	v_cmp_le_u32_e32 vcc_lo, s34, v11
	v_cndmask_b32_e32 v11, v11, v22, vcc_lo
	v_cndmask_b32_e32 v2, v2, v12, vcc_lo
	v_cmp_le_u32_e32 vcc_lo, s34, v11
	v_add_nc_u32_e32 v12, 1, v2
	v_cndmask_b32_e32 v11, v2, v12, vcc_lo
	v_mov_b32_e32 v12, v1
.LBB63_47:                              ;   in Loop: Header=BB63_3 Depth=1
	s_or_b32 exec_lo, exec_lo, s0
	v_mul_lo_u32 v2, v12, s34
	v_mul_lo_u32 v30, v11, s35
	v_mad_u64_u32 v[22:23], null, v11, s34, 0
	s_mov_b32 s0, exec_lo
	v_add3_u32 v2, v23, v30, v2
	v_sub_co_u32 v7, vcc_lo, v7, v22
	v_mul_lo_u32 v23, v12, s16
	v_mul_lo_u32 v22, v11, s17
	v_sub_co_ci_u32_e64 v2, null, v8, v2, vcc_lo
	v_add_co_u32 v12, vcc_lo, v3, v7
	v_mad_u64_u32 v[7:8], null, v11, s16, 0
	v_add_co_ci_u32_e64 v2, null, v4, v2, vcc_lo
	v_mul_lo_u32 v30, v12, s19
	v_mad_u64_u32 v[11:12], null, v12, s18, 0
	v_mul_lo_u32 v2, v2, s18
	v_add3_u32 v8, v8, v22, v23
	v_lshlrev_b64 v[7:8], 1, v[7:8]
	v_add3_u32 v12, v12, v30, v2
	v_or_b32_e32 v2, s35, v25
	v_add_co_u32 v7, vcc_lo, s30, v7
	v_lshlrev_b64 v[11:12], 1, v[11:12]
	v_add_co_ci_u32_e64 v8, null, s31, v8, vcc_lo
	v_add_co_u32 v7, vcc_lo, v7, v11
	v_add_co_ci_u32_e64 v8, null, v8, v12, vcc_lo
	global_store_short v[7:8], v28, off
                                        ; implicit-def: $vgpr7_vgpr8
	v_cmpx_ne_u64_e32 0, v[1:2]
	s_xor_b32 s53, exec_lo, s0
	s_cbranch_execz .LBB63_49
; %bb.48:                               ;   in Loop: Header=BB63_3 Depth=1
	s_ashr_i32 s54, s35, 31
	v_add_co_u32 v8, vcc_lo, v24, v21
	s_add_u32 s56, s34, s54
	s_mov_b32 s55, s54
	s_addc_u32 s57, s35, s54
	v_add_co_ci_u32_e64 v11, null, v25, v21, vcc_lo
	s_xor_b64 s[56:57], s[56:57], s[54:55]
	v_cvt_f32_u32_e32 v2, s56
	v_cvt_f32_u32_e32 v7, s57
	s_sub_u32 s62, 0, s56
	s_subb_u32 s63, 0, s57
	v_xor_b32_e32 v24, v11, v21
	v_fmac_f32_e32 v2, 0x4f800000, v7
	v_rcp_f32_e32 v2, v2
	v_mul_f32_e32 v2, 0x5f7ffffc, v2
	v_mul_f32_e32 v7, 0x2f800000, v2
	v_trunc_f32_e32 v7, v7
	v_fmac_f32_e32 v2, 0xcf800000, v7
	v_cvt_u32_f32_e32 v7, v7
	v_cvt_u32_f32_e32 v2, v2
	v_readfirstlane_b32 s0, v7
	v_readfirstlane_b32 s55, v2
	s_mul_i32 s64, s62, s0
	v_xor_b32_e32 v2, v8, v21
	s_mul_hi_u32 s66, s62, s55
	s_mul_i32 s65, s63, s55
	s_add_i32 s64, s66, s64
	s_mul_i32 s67, s62, s55
	s_add_i32 s64, s64, s65
	s_mul_hi_u32 s66, s55, s67
	s_mul_i32 s69, s55, s64
	s_mul_hi_u32 s68, s0, s67
	s_mul_i32 s65, s0, s67
	s_mul_hi_u32 s67, s55, s64
	s_add_u32 s66, s66, s69
	s_addc_u32 s67, 0, s67
	s_mul_hi_u32 s70, s0, s64
	s_add_u32 s65, s66, s65
	s_mul_i32 s64, s0, s64
	s_addc_u32 s65, s67, s68
	s_addc_u32 s66, s70, 0
	s_add_u32 s64, s65, s64
	s_addc_u32 s65, 0, s66
	s_add_u32 s55, s55, s64
	s_cselect_b32 s64, -1, 0
	s_mul_hi_u32 s66, s62, s55
	s_cmp_lg_u32 s64, 0
	s_mul_i32 s64, s62, s55
	s_addc_u32 s0, s0, s65
	s_mul_i32 s63, s63, s55
	s_mul_i32 s62, s62, s0
	s_mul_hi_u32 s65, s55, s64
	s_add_i32 s62, s66, s62
	s_mul_hi_u32 s66, s0, s64
	s_add_i32 s62, s62, s63
	s_mul_i32 s63, s0, s64
	s_mul_i32 s68, s55, s62
	s_mul_hi_u32 s67, s55, s62
	s_add_u32 s65, s65, s68
	s_addc_u32 s67, 0, s67
	s_mul_hi_u32 s64, s0, s62
	s_add_u32 s63, s65, s63
	s_mul_i32 s62, s0, s62
	s_addc_u32 s63, s67, s66
	s_addc_u32 s64, s64, 0
	s_add_u32 s62, s63, s62
	s_addc_u32 s63, 0, s64
	s_add_u32 s55, s55, s62
	s_cselect_b32 s62, -1, 0
	v_mul_hi_u32 v25, v2, s55
	s_cmp_lg_u32 s62, 0
	v_mad_u64_u32 v[11:12], null, v24, s55, 0
	s_addc_u32 s0, s0, s63
	v_mad_u64_u32 v[7:8], null, v2, s0, 0
	v_mad_u64_u32 v[22:23], null, v24, s0, 0
	v_add_co_u32 v7, vcc_lo, v25, v7
	v_add_co_ci_u32_e64 v8, null, 0, v8, vcc_lo
	v_add_co_u32 v7, vcc_lo, v7, v11
	v_add_co_ci_u32_e32 v7, vcc_lo, v8, v12, vcc_lo
	v_add_co_ci_u32_e32 v8, vcc_lo, 0, v23, vcc_lo
	v_add_co_u32 v11, vcc_lo, v7, v22
	v_add_co_ci_u32_e64 v12, null, 0, v8, vcc_lo
	v_mul_lo_u32 v22, s57, v11
	v_mad_u64_u32 v[7:8], null, s56, v11, 0
	v_mul_lo_u32 v23, s56, v12
	v_sub_co_u32 v2, vcc_lo, v2, v7
	v_add3_u32 v8, v8, v23, v22
	v_sub_nc_u32_e32 v22, v24, v8
	v_sub_co_ci_u32_e64 v8, null, v24, v8, vcc_lo
	v_subrev_co_ci_u32_e64 v7, null, s57, v22, vcc_lo
	v_add_co_u32 v22, s0, v11, 2
	v_add_co_ci_u32_e64 v23, null, 0, v12, s0
	v_sub_co_u32 v25, s0, v2, s56
	v_subrev_co_ci_u32_e64 v7, null, 0, v7, s0
	v_cmp_le_u32_e32 vcc_lo, s56, v25
	v_cndmask_b32_e64 v24, 0, -1, vcc_lo
	v_cmp_le_u32_e32 vcc_lo, s57, v7
	v_cndmask_b32_e64 v25, 0, -1, vcc_lo
	;; [unrolled: 2-line block ×4, first 2 shown]
	v_cmp_eq_u32_e32 vcc_lo, s57, v7
	v_cndmask_b32_e32 v7, v25, v24, vcc_lo
	v_add_co_u32 v24, vcc_lo, v11, 1
	v_add_co_ci_u32_e64 v25, null, 0, v12, vcc_lo
	v_cmp_eq_u32_e32 vcc_lo, s57, v8
	v_xor_b32_e32 v8, s54, v21
	v_cndmask_b32_e32 v2, v28, v2, vcc_lo
	v_cmp_ne_u32_e32 vcc_lo, 0, v7
	v_cmp_ne_u32_e64 s0, 0, v2
	v_cndmask_b32_e32 v2, v24, v22, vcc_lo
	v_cndmask_b32_e32 v7, v25, v23, vcc_lo
                                        ; implicit-def: $vgpr24
	v_cndmask_b32_e64 v2, v11, v2, s0
	v_cndmask_b32_e64 v7, v12, v7, s0
	v_xor_b32_e32 v2, v2, v8
	v_xor_b32_e32 v11, v7, v8
	v_sub_co_u32 v7, vcc_lo, v2, v8
	v_sub_co_ci_u32_e64 v8, null, v11, v8, vcc_lo
.LBB63_49:                              ;   in Loop: Header=BB63_3 Depth=1
	s_andn2_saveexec_b32 s0, s53
	s_cbranch_execz .LBB63_51
; %bb.50:                               ;   in Loop: Header=BB63_3 Depth=1
	v_rcp_iflag_f32_e32 v2, v20
	s_sub_i32 s53, 0, s34
	v_mul_f32_e32 v2, 0x4f7ffffe, v2
	v_cvt_u32_f32_e32 v2, v2
	v_mul_lo_u32 v7, s53, v2
	v_mul_hi_u32 v7, v2, v7
	v_add_nc_u32_e32 v2, v2, v7
	v_mul_hi_u32 v2, v24, v2
	v_mul_lo_u32 v7, v2, s34
	v_add_nc_u32_e32 v8, 1, v2
	v_sub_nc_u32_e32 v7, v24, v7
	v_subrev_nc_u32_e32 v11, s34, v7
	v_cmp_le_u32_e32 vcc_lo, s34, v7
	v_cndmask_b32_e32 v7, v7, v11, vcc_lo
	v_cndmask_b32_e32 v2, v2, v8, vcc_lo
	v_cmp_le_u32_e32 vcc_lo, s34, v7
	v_add_nc_u32_e32 v8, 1, v2
	v_cndmask_b32_e32 v7, v2, v8, vcc_lo
	v_mov_b32_e32 v8, v1
.LBB63_51:                              ;   in Loop: Header=BB63_3 Depth=1
	s_or_b32 exec_lo, exec_lo, s0
	v_mul_lo_u32 v2, v8, s34
	v_mul_lo_u32 v21, v7, s35
	v_mad_u64_u32 v[11:12], null, v7, s34, 0
	s_mov_b32 s0, exec_lo
	v_add3_u32 v2, v12, v21, v2
	v_sub_co_u32 v5, vcc_lo, v5, v11
	v_mul_lo_u32 v12, v8, s16
	v_mul_lo_u32 v11, v7, s17
	v_sub_co_ci_u32_e64 v2, null, v6, v2, vcc_lo
	v_add_co_u32 v8, vcc_lo, v3, v5
	v_mad_u64_u32 v[5:6], null, v7, s16, 0
	v_add_co_ci_u32_e64 v2, null, v4, v2, vcc_lo
	v_mul_lo_u32 v21, v8, s19
	v_mad_u64_u32 v[7:8], null, v8, s18, 0
	v_mul_lo_u32 v2, v2, s18
	v_add3_u32 v6, v6, v11, v12
	v_lshlrev_b64 v[5:6], 1, v[5:6]
	v_add3_u32 v8, v8, v21, v2
	v_or_b32_e32 v2, s35, v27
	v_add_co_u32 v5, vcc_lo, s30, v5
	v_lshlrev_b64 v[7:8], 1, v[7:8]
	v_add_co_ci_u32_e64 v6, null, s31, v6, vcc_lo
	v_add_co_u32 v5, vcc_lo, v5, v7
	v_add_co_ci_u32_e64 v6, null, v6, v8, vcc_lo
	global_store_short v[5:6], v29, off
                                        ; implicit-def: $vgpr5_vgpr6
	v_cmpx_ne_u64_e32 0, v[1:2]
	s_xor_b32 s53, exec_lo, s0
	s_cbranch_execz .LBB63_53
; %bb.52:                               ;   in Loop: Header=BB63_3 Depth=1
	s_ashr_i32 s54, s35, 31
	v_add_co_u32 v6, vcc_lo, v26, v19
	s_add_u32 s56, s34, s54
	s_mov_b32 s55, s54
	s_addc_u32 s57, s35, s54
	v_add_co_ci_u32_e64 v7, null, v27, v19, vcc_lo
	s_xor_b64 s[56:57], s[56:57], s[54:55]
                                        ; implicit-def: $vgpr26
	v_cvt_f32_u32_e32 v2, s56
	v_cvt_f32_u32_e32 v5, s57
	s_sub_u32 s62, 0, s56
	s_subb_u32 s63, 0, s57
	v_xor_b32_e32 v20, v7, v19
	v_fmac_f32_e32 v2, 0x4f800000, v5
	v_rcp_f32_e32 v2, v2
	v_mul_f32_e32 v2, 0x5f7ffffc, v2
	v_mul_f32_e32 v5, 0x2f800000, v2
	v_trunc_f32_e32 v5, v5
	v_fmac_f32_e32 v2, 0xcf800000, v5
	v_cvt_u32_f32_e32 v5, v5
	v_cvt_u32_f32_e32 v2, v2
	v_readfirstlane_b32 s0, v5
	v_readfirstlane_b32 s55, v2
	s_mul_i32 s64, s62, s0
	v_xor_b32_e32 v2, v6, v19
	s_mul_hi_u32 s66, s62, s55
	s_mul_i32 s65, s63, s55
	s_add_i32 s64, s66, s64
	s_mul_i32 s67, s62, s55
	s_add_i32 s64, s64, s65
	s_mul_hi_u32 s66, s55, s67
	s_mul_i32 s69, s55, s64
	s_mul_hi_u32 s68, s0, s67
	s_mul_i32 s65, s0, s67
	s_mul_hi_u32 s67, s55, s64
	s_add_u32 s66, s66, s69
	s_addc_u32 s67, 0, s67
	s_mul_hi_u32 s70, s0, s64
	s_add_u32 s65, s66, s65
	s_mul_i32 s64, s0, s64
	s_addc_u32 s65, s67, s68
	s_addc_u32 s66, s70, 0
	s_add_u32 s64, s65, s64
	s_addc_u32 s65, 0, s66
	s_add_u32 s55, s55, s64
	s_cselect_b32 s64, -1, 0
	s_mul_hi_u32 s66, s62, s55
	s_cmp_lg_u32 s64, 0
	s_mul_i32 s64, s62, s55
	s_addc_u32 s0, s0, s65
	s_mul_i32 s63, s63, s55
	s_mul_i32 s62, s62, s0
	s_mul_hi_u32 s65, s55, s64
	s_add_i32 s62, s66, s62
	s_mul_hi_u32 s66, s0, s64
	s_add_i32 s62, s62, s63
	s_mul_i32 s63, s0, s64
	s_mul_i32 s68, s55, s62
	s_mul_hi_u32 s67, s55, s62
	s_add_u32 s65, s65, s68
	s_addc_u32 s67, 0, s67
	s_mul_hi_u32 s64, s0, s62
	s_add_u32 s63, s65, s63
	s_mul_i32 s62, s0, s62
	s_addc_u32 s63, s67, s66
	s_addc_u32 s64, s64, 0
	s_add_u32 s62, s63, s62
	s_addc_u32 s63, 0, s64
	s_add_u32 s55, s55, s62
	s_cselect_b32 s62, -1, 0
	v_mul_hi_u32 v21, v2, s55
	s_cmp_lg_u32 s62, 0
	v_mad_u64_u32 v[7:8], null, v20, s55, 0
	s_addc_u32 s0, s0, s63
	v_mad_u64_u32 v[5:6], null, v2, s0, 0
	v_mad_u64_u32 v[11:12], null, v20, s0, 0
	v_add_co_u32 v5, vcc_lo, v21, v5
	v_add_co_ci_u32_e64 v6, null, 0, v6, vcc_lo
	v_add_co_u32 v5, vcc_lo, v5, v7
	v_add_co_ci_u32_e32 v5, vcc_lo, v6, v8, vcc_lo
	v_add_co_ci_u32_e32 v6, vcc_lo, 0, v12, vcc_lo
	v_add_co_u32 v7, vcc_lo, v5, v11
	v_add_co_ci_u32_e64 v8, null, 0, v6, vcc_lo
	v_mul_lo_u32 v11, s57, v7
	v_mad_u64_u32 v[5:6], null, s56, v7, 0
	v_mul_lo_u32 v12, s56, v8
	v_sub_co_u32 v2, vcc_lo, v2, v5
	v_add3_u32 v6, v6, v12, v11
	v_sub_nc_u32_e32 v11, v20, v6
	v_sub_co_ci_u32_e64 v6, null, v20, v6, vcc_lo
	v_subrev_co_ci_u32_e64 v5, null, s57, v11, vcc_lo
	v_add_co_u32 v11, s0, v7, 2
	v_add_co_ci_u32_e64 v12, null, 0, v8, s0
	v_sub_co_u32 v21, s0, v2, s56
	v_subrev_co_ci_u32_e64 v5, null, 0, v5, s0
	v_cmp_le_u32_e32 vcc_lo, s56, v21
	v_cndmask_b32_e64 v20, 0, -1, vcc_lo
	v_cmp_le_u32_e32 vcc_lo, s57, v5
	v_cndmask_b32_e64 v21, 0, -1, vcc_lo
	;; [unrolled: 2-line block ×4, first 2 shown]
	v_cmp_eq_u32_e32 vcc_lo, s57, v5
	v_cndmask_b32_e32 v5, v21, v20, vcc_lo
	v_add_co_u32 v20, vcc_lo, v7, 1
	v_add_co_ci_u32_e64 v21, null, 0, v8, vcc_lo
	v_cmp_eq_u32_e32 vcc_lo, s57, v6
	v_xor_b32_e32 v6, s54, v19
	v_cndmask_b32_e32 v2, v22, v2, vcc_lo
	v_cmp_ne_u32_e32 vcc_lo, 0, v5
	v_cmp_ne_u32_e64 s0, 0, v2
	v_cndmask_b32_e32 v2, v20, v11, vcc_lo
	v_cndmask_b32_e32 v5, v21, v12, vcc_lo
                                        ; implicit-def: $vgpr20
	v_cndmask_b32_e64 v2, v7, v2, s0
	v_cndmask_b32_e64 v5, v8, v5, s0
	v_xor_b32_e32 v2, v2, v6
	v_xor_b32_e32 v7, v5, v6
	v_sub_co_u32 v5, vcc_lo, v2, v6
	v_sub_co_ci_u32_e64 v6, null, v7, v6, vcc_lo
.LBB63_53:                              ;   in Loop: Header=BB63_3 Depth=1
	s_andn2_saveexec_b32 s0, s53
	s_cbranch_execz .LBB63_55
; %bb.54:                               ;   in Loop: Header=BB63_3 Depth=1
	v_rcp_iflag_f32_e32 v2, v20
	s_sub_i32 s53, 0, s34
	v_mul_f32_e32 v2, 0x4f7ffffe, v2
	v_cvt_u32_f32_e32 v2, v2
	v_mul_lo_u32 v5, s53, v2
	v_mul_hi_u32 v5, v2, v5
	v_add_nc_u32_e32 v2, v2, v5
	v_mul_hi_u32 v2, v26, v2
	v_mul_lo_u32 v5, v2, s34
	v_add_nc_u32_e32 v6, 1, v2
	v_sub_nc_u32_e32 v5, v26, v5
	v_subrev_nc_u32_e32 v7, s34, v5
	v_cmp_le_u32_e32 vcc_lo, s34, v5
	v_cndmask_b32_e32 v5, v5, v7, vcc_lo
	v_cndmask_b32_e32 v2, v2, v6, vcc_lo
	v_cmp_le_u32_e32 vcc_lo, s34, v5
	v_add_nc_u32_e32 v6, 1, v2
	v_cndmask_b32_e32 v5, v2, v6, vcc_lo
	v_mov_b32_e32 v6, v1
.LBB63_55:                              ;   in Loop: Header=BB63_3 Depth=1
	s_or_b32 exec_lo, exec_lo, s0
	v_mul_lo_u32 v2, v6, s34
	v_mul_lo_u32 v11, v5, s35
	v_mad_u64_u32 v[7:8], null, v5, s34, 0
	v_mul_f32_e32 v12, v18, v17
	v_add3_u32 v2, v8, v11, v2
	v_mul_lo_u32 v11, v6, s16
	v_sub_co_u32 v6, vcc_lo, v9, v7
	v_mul_lo_u32 v9, v5, s17
	v_sub_co_ci_u32_e64 v2, null, v10, v2, vcc_lo
	v_add_co_u32 v7, vcc_lo, v3, v6
	v_mad_u64_u32 v[5:6], null, v5, s16, 0
	v_add_co_ci_u32_e64 v2, null, v4, v2, vcc_lo
	v_mul_lo_u32 v10, v7, s19
	v_mad_u64_u32 v[7:8], null, v7, s18, 0
	v_mul_lo_u32 v2, v2, s18
	v_add3_u32 v6, v6, v9, v11
	v_bfe_u32 v9, v12, 16, 1
	v_cmp_o_f32_e32 vcc_lo, v12, v12
	v_lshlrev_b64 v[5:6], 1, v[5:6]
	v_add3_u32 v9, v12, v9, 0x7fff
	v_add3_u32 v8, v8, v10, v2
	v_or_b32_e32 v2, s43, v4
	v_add_co_u32 v5, s0, s30, v5
	v_lshlrev_b64 v[7:8], 1, v[7:8]
	v_add_co_ci_u32_e64 v6, null, s31, v6, s0
	v_cndmask_b32_sdwa v9, v13, v9, vcc_lo dst_sel:DWORD dst_unused:UNUSED_PAD src0_sel:DWORD src1_sel:WORD_1
	s_mov_b32 s0, exec_lo
	v_add_co_u32 v5, vcc_lo, v5, v7
	v_add_co_ci_u32_e64 v6, null, v6, v8, vcc_lo
	global_store_short v[5:6], v9, off
                                        ; implicit-def: $vgpr5_vgpr6
	v_cmpx_ne_u64_e32 0, v[1:2]
	s_xor_b32 s53, exec_lo, s0
	s_cbranch_execz .LBB63_57
; %bb.56:                               ;   in Loop: Header=BB63_3 Depth=1
	s_ashr_i32 s54, s43, 31
	v_add_co_u32 v6, vcc_lo, v3, v14
	s_add_u32 s56, s42, s54
	s_mov_b32 s55, s54
	s_addc_u32 s57, s43, s54
	v_add_co_ci_u32_e64 v7, null, v4, v14, vcc_lo
	s_xor_b64 s[56:57], s[56:57], s[54:55]
	v_cvt_f32_u32_e32 v2, s56
	v_cvt_f32_u32_e32 v5, s57
	s_sub_u32 s62, 0, s56
	s_subb_u32 s63, 0, s57
	v_xor_b32_e32 v11, v7, v14
	v_fmac_f32_e32 v2, 0x4f800000, v5
	v_rcp_f32_e32 v2, v2
	v_mul_f32_e32 v2, 0x5f7ffffc, v2
	v_mul_f32_e32 v5, 0x2f800000, v2
	v_trunc_f32_e32 v5, v5
	v_fmac_f32_e32 v2, 0xcf800000, v5
	v_cvt_u32_f32_e32 v5, v5
	v_cvt_u32_f32_e32 v2, v2
	v_readfirstlane_b32 s0, v5
	v_readfirstlane_b32 s55, v2
	s_mul_i32 s64, s62, s0
	v_xor_b32_e32 v2, v6, v14
	s_mul_hi_u32 s66, s62, s55
	s_mul_i32 s65, s63, s55
	s_add_i32 s64, s66, s64
	s_mul_i32 s67, s62, s55
	s_add_i32 s64, s64, s65
	s_mul_hi_u32 s66, s55, s67
	s_mul_i32 s69, s55, s64
	s_mul_hi_u32 s68, s0, s67
	s_mul_i32 s65, s0, s67
	s_mul_hi_u32 s67, s55, s64
	s_add_u32 s66, s66, s69
	s_addc_u32 s67, 0, s67
	s_mul_hi_u32 s70, s0, s64
	s_add_u32 s65, s66, s65
	s_mul_i32 s64, s0, s64
	s_addc_u32 s65, s67, s68
	s_addc_u32 s66, s70, 0
	s_add_u32 s64, s65, s64
	s_addc_u32 s65, 0, s66
	s_add_u32 s55, s55, s64
	s_cselect_b32 s64, -1, 0
	s_mul_hi_u32 s66, s62, s55
	s_cmp_lg_u32 s64, 0
	s_mul_i32 s64, s62, s55
	s_addc_u32 s0, s0, s65
	s_mul_i32 s63, s63, s55
	s_mul_i32 s62, s62, s0
	s_mul_hi_u32 s65, s55, s64
	s_add_i32 s62, s66, s62
	s_mul_hi_u32 s66, s0, s64
	s_add_i32 s62, s62, s63
	s_mul_i32 s63, s0, s64
	s_mul_i32 s68, s55, s62
	s_mul_hi_u32 s67, s55, s62
	s_add_u32 s65, s65, s68
	s_addc_u32 s67, 0, s67
	s_mul_hi_u32 s64, s0, s62
	s_add_u32 s63, s65, s63
	s_mul_i32 s62, s0, s62
	s_addc_u32 s63, s67, s66
	s_addc_u32 s64, s64, 0
	s_add_u32 s62, s63, s62
	s_addc_u32 s63, 0, s64
	s_add_u32 s55, s55, s62
	s_cselect_b32 s62, -1, 0
	v_mul_hi_u32 v12, v2, s55
	s_cmp_lg_u32 s62, 0
	v_mad_u64_u32 v[7:8], null, v11, s55, 0
	s_addc_u32 s0, s0, s63
	v_mad_u64_u32 v[5:6], null, v2, s0, 0
	v_mad_u64_u32 v[9:10], null, v11, s0, 0
	v_add_co_u32 v5, vcc_lo, v12, v5
	v_add_co_ci_u32_e64 v6, null, 0, v6, vcc_lo
	v_add_co_u32 v5, vcc_lo, v5, v7
	v_add_co_ci_u32_e32 v5, vcc_lo, v6, v8, vcc_lo
	v_add_co_ci_u32_e32 v6, vcc_lo, 0, v10, vcc_lo
	v_add_co_u32 v7, vcc_lo, v5, v9
	v_add_co_ci_u32_e64 v8, null, 0, v6, vcc_lo
	v_mul_lo_u32 v9, s57, v7
	v_mad_u64_u32 v[5:6], null, s56, v7, 0
	v_mul_lo_u32 v10, s56, v8
	v_sub_co_u32 v2, vcc_lo, v2, v5
	v_add3_u32 v6, v6, v10, v9
	v_sub_nc_u32_e32 v9, v11, v6
	v_sub_co_ci_u32_e64 v6, null, v11, v6, vcc_lo
	v_subrev_co_ci_u32_e64 v5, null, s57, v9, vcc_lo
	v_add_co_u32 v9, s0, v7, 2
	v_add_co_ci_u32_e64 v10, null, 0, v8, s0
	v_sub_co_u32 v12, s0, v2, s56
	v_subrev_co_ci_u32_e64 v5, null, 0, v5, s0
	v_cmp_le_u32_e32 vcc_lo, s56, v12
	v_cndmask_b32_e64 v11, 0, -1, vcc_lo
	v_cmp_le_u32_e32 vcc_lo, s57, v5
	v_cndmask_b32_e64 v12, 0, -1, vcc_lo
	;; [unrolled: 2-line block ×4, first 2 shown]
	v_cmp_eq_u32_e32 vcc_lo, s57, v5
	v_cndmask_b32_e32 v5, v12, v11, vcc_lo
	v_add_co_u32 v11, vcc_lo, v7, 1
	v_add_co_ci_u32_e64 v12, null, 0, v8, vcc_lo
	v_cmp_eq_u32_e32 vcc_lo, s57, v6
	v_xor_b32_e32 v6, s54, v14
	v_cndmask_b32_e32 v2, v17, v2, vcc_lo
	v_cmp_ne_u32_e32 vcc_lo, 0, v5
	v_cmp_ne_u32_e64 s0, 0, v2
	v_cndmask_b32_e32 v2, v11, v9, vcc_lo
	v_cndmask_b32_e32 v5, v12, v10, vcc_lo
	v_cndmask_b32_e64 v2, v7, v2, s0
	v_cndmask_b32_e64 v5, v8, v5, s0
	v_xor_b32_e32 v2, v2, v6
	v_xor_b32_e32 v7, v5, v6
	v_sub_co_u32 v5, vcc_lo, v2, v6
	v_sub_co_ci_u32_e64 v6, null, v7, v6, vcc_lo
.LBB63_57:                              ;   in Loop: Header=BB63_3 Depth=1
	s_andn2_saveexec_b32 s0, s53
	s_cbranch_execz .LBB63_2
; %bb.58:                               ;   in Loop: Header=BB63_3 Depth=1
	v_cvt_f32_u32_e32 v2, s42
	s_sub_i32 s53, 0, s42
	v_rcp_iflag_f32_e32 v2, v2
	v_mul_f32_e32 v2, 0x4f7ffffe, v2
	v_cvt_u32_f32_e32 v2, v2
	v_mul_lo_u32 v5, s53, v2
	v_mul_hi_u32 v5, v2, v5
	v_add_nc_u32_e32 v2, v2, v5
	v_mul_hi_u32 v2, v3, v2
	v_mul_lo_u32 v5, v2, s42
	v_add_nc_u32_e32 v6, 1, v2
	v_sub_nc_u32_e32 v5, v3, v5
	v_subrev_nc_u32_e32 v7, s42, v5
	v_cmp_le_u32_e32 vcc_lo, s42, v5
	v_cndmask_b32_e32 v5, v5, v7, vcc_lo
	v_cndmask_b32_e32 v2, v2, v6, vcc_lo
	v_cmp_le_u32_e32 vcc_lo, s42, v5
	v_add_nc_u32_e32 v6, 1, v2
	v_cndmask_b32_e32 v5, v2, v6, vcc_lo
	v_mov_b32_e32 v6, v1
	s_branch .LBB63_2
.LBB63_59:
	s_endpgm
	.section	.rodata,"a",@progbits
	.p2align	6, 0x0
	.amdhsa_kernel _ZN2at6native12_GLOBAL__N_16kernel17gru_cell_backwardIN3c108BFloat16EflLi2EEEvNS_4cuda6detail10TensorInfoIT_T1_EESB_SB_SB_SB_SA_SA_
		.amdhsa_group_segment_fixed_size 0
		.amdhsa_private_segment_fixed_size 0
		.amdhsa_kernarg_size 2352
		.amdhsa_user_sgpr_count 6
		.amdhsa_user_sgpr_private_segment_buffer 1
		.amdhsa_user_sgpr_dispatch_ptr 0
		.amdhsa_user_sgpr_queue_ptr 0
		.amdhsa_user_sgpr_kernarg_segment_ptr 1
		.amdhsa_user_sgpr_dispatch_id 0
		.amdhsa_user_sgpr_flat_scratch_init 0
		.amdhsa_user_sgpr_private_segment_size 0
		.amdhsa_wavefront_size32 1
		.amdhsa_uses_dynamic_stack 0
		.amdhsa_system_sgpr_private_segment_wavefront_offset 0
		.amdhsa_system_sgpr_workgroup_id_x 1
		.amdhsa_system_sgpr_workgroup_id_y 0
		.amdhsa_system_sgpr_workgroup_id_z 0
		.amdhsa_system_sgpr_workgroup_info 0
		.amdhsa_system_vgpr_workitem_id 0
		.amdhsa_next_free_vgpr 37
		.amdhsa_next_free_sgpr 71
		.amdhsa_reserve_vcc 1
		.amdhsa_reserve_flat_scratch 0
		.amdhsa_float_round_mode_32 0
		.amdhsa_float_round_mode_16_64 0
		.amdhsa_float_denorm_mode_32 3
		.amdhsa_float_denorm_mode_16_64 3
		.amdhsa_dx10_clamp 1
		.amdhsa_ieee_mode 1
		.amdhsa_fp16_overflow 0
		.amdhsa_workgroup_processor_mode 1
		.amdhsa_memory_ordered 1
		.amdhsa_forward_progress 1
		.amdhsa_shared_vgpr_count 0
		.amdhsa_exception_fp_ieee_invalid_op 0
		.amdhsa_exception_fp_denorm_src 0
		.amdhsa_exception_fp_ieee_div_zero 0
		.amdhsa_exception_fp_ieee_overflow 0
		.amdhsa_exception_fp_ieee_underflow 0
		.amdhsa_exception_fp_ieee_inexact 0
		.amdhsa_exception_int_div_zero 0
	.end_amdhsa_kernel
	.section	.text._ZN2at6native12_GLOBAL__N_16kernel17gru_cell_backwardIN3c108BFloat16EflLi2EEEvNS_4cuda6detail10TensorInfoIT_T1_EESB_SB_SB_SB_SA_SA_,"axG",@progbits,_ZN2at6native12_GLOBAL__N_16kernel17gru_cell_backwardIN3c108BFloat16EflLi2EEEvNS_4cuda6detail10TensorInfoIT_T1_EESB_SB_SB_SB_SA_SA_,comdat
.Lfunc_end63:
	.size	_ZN2at6native12_GLOBAL__N_16kernel17gru_cell_backwardIN3c108BFloat16EflLi2EEEvNS_4cuda6detail10TensorInfoIT_T1_EESB_SB_SB_SB_SA_SA_, .Lfunc_end63-_ZN2at6native12_GLOBAL__N_16kernel17gru_cell_backwardIN3c108BFloat16EflLi2EEEvNS_4cuda6detail10TensorInfoIT_T1_EESB_SB_SB_SB_SA_SA_
                                        ; -- End function
	.set _ZN2at6native12_GLOBAL__N_16kernel17gru_cell_backwardIN3c108BFloat16EflLi2EEEvNS_4cuda6detail10TensorInfoIT_T1_EESB_SB_SB_SB_SA_SA_.num_vgpr, 37
	.set _ZN2at6native12_GLOBAL__N_16kernel17gru_cell_backwardIN3c108BFloat16EflLi2EEEvNS_4cuda6detail10TensorInfoIT_T1_EESB_SB_SB_SB_SA_SA_.num_agpr, 0
	.set _ZN2at6native12_GLOBAL__N_16kernel17gru_cell_backwardIN3c108BFloat16EflLi2EEEvNS_4cuda6detail10TensorInfoIT_T1_EESB_SB_SB_SB_SA_SA_.numbered_sgpr, 71
	.set _ZN2at6native12_GLOBAL__N_16kernel17gru_cell_backwardIN3c108BFloat16EflLi2EEEvNS_4cuda6detail10TensorInfoIT_T1_EESB_SB_SB_SB_SA_SA_.num_named_barrier, 0
	.set _ZN2at6native12_GLOBAL__N_16kernel17gru_cell_backwardIN3c108BFloat16EflLi2EEEvNS_4cuda6detail10TensorInfoIT_T1_EESB_SB_SB_SB_SA_SA_.private_seg_size, 0
	.set _ZN2at6native12_GLOBAL__N_16kernel17gru_cell_backwardIN3c108BFloat16EflLi2EEEvNS_4cuda6detail10TensorInfoIT_T1_EESB_SB_SB_SB_SA_SA_.uses_vcc, 1
	.set _ZN2at6native12_GLOBAL__N_16kernel17gru_cell_backwardIN3c108BFloat16EflLi2EEEvNS_4cuda6detail10TensorInfoIT_T1_EESB_SB_SB_SB_SA_SA_.uses_flat_scratch, 0
	.set _ZN2at6native12_GLOBAL__N_16kernel17gru_cell_backwardIN3c108BFloat16EflLi2EEEvNS_4cuda6detail10TensorInfoIT_T1_EESB_SB_SB_SB_SA_SA_.has_dyn_sized_stack, 0
	.set _ZN2at6native12_GLOBAL__N_16kernel17gru_cell_backwardIN3c108BFloat16EflLi2EEEvNS_4cuda6detail10TensorInfoIT_T1_EESB_SB_SB_SB_SA_SA_.has_recursion, 0
	.set _ZN2at6native12_GLOBAL__N_16kernel17gru_cell_backwardIN3c108BFloat16EflLi2EEEvNS_4cuda6detail10TensorInfoIT_T1_EESB_SB_SB_SB_SA_SA_.has_indirect_call, 0
	.section	.AMDGPU.csdata,"",@progbits
; Kernel info:
; codeLenInByte = 13976
; TotalNumSgprs: 73
; NumVgprs: 37
; ScratchSize: 0
; MemoryBound: 0
; FloatMode: 240
; IeeeMode: 1
; LDSByteSize: 0 bytes/workgroup (compile time only)
; SGPRBlocks: 0
; VGPRBlocks: 4
; NumSGPRsForWavesPerEU: 73
; NumVGPRsForWavesPerEU: 37
; Occupancy: 16
; WaveLimiterHint : 1
; COMPUTE_PGM_RSRC2:SCRATCH_EN: 0
; COMPUTE_PGM_RSRC2:USER_SGPR: 6
; COMPUTE_PGM_RSRC2:TRAP_HANDLER: 0
; COMPUTE_PGM_RSRC2:TGID_X_EN: 1
; COMPUTE_PGM_RSRC2:TGID_Y_EN: 0
; COMPUTE_PGM_RSRC2:TGID_Z_EN: 0
; COMPUTE_PGM_RSRC2:TIDIG_COMP_CNT: 0
	.section	.AMDGPU.gpr_maximums,"",@progbits
	.set amdgpu.max_num_vgpr, 0
	.set amdgpu.max_num_agpr, 0
	.set amdgpu.max_num_sgpr, 0
	.section	.AMDGPU.csdata,"",@progbits
	.type	__hip_cuid_9b40c252447e46b1,@object ; @__hip_cuid_9b40c252447e46b1
	.section	.bss,"aw",@nobits
	.globl	__hip_cuid_9b40c252447e46b1
__hip_cuid_9b40c252447e46b1:
	.byte	0                               ; 0x0
	.size	__hip_cuid_9b40c252447e46b1, 1

	.ident	"AMD clang version 22.0.0git (https://github.com/RadeonOpenCompute/llvm-project roc-7.2.4 26084 f58b06dce1f9c15707c5f808fd002e18c2accf7e)"
	.section	".note.GNU-stack","",@progbits
	.addrsig
	.addrsig_sym __hip_cuid_9b40c252447e46b1
	.amdgpu_metadata
---
amdhsa.kernels:
  - .args:
      - .offset:         0
        .size:           216
        .value_kind:     by_value
      - .offset:         216
        .size:           216
        .value_kind:     by_value
      - .offset:         432
        .size:           216
        .value_kind:     by_value
      - .offset:         648
        .size:           216
        .value_kind:     by_value
      - .offset:         864
        .size:           216
        .value_kind:     by_value
      - .offset:         1080
        .size:           216
        .value_kind:     by_value
      - .offset:         1296
        .size:           216
        .value_kind:     by_value
      - .offset:         1512
        .size:           216
        .value_kind:     by_value
      - .offset:         1728
        .size:           4
        .value_kind:     by_value
      - .offset:         1732
        .size:           4
        .value_kind:     by_value
      - .offset:         1736
        .size:           4
        .value_kind:     hidden_block_count_x
      - .offset:         1740
        .size:           4
        .value_kind:     hidden_block_count_y
      - .offset:         1744
        .size:           4
        .value_kind:     hidden_block_count_z
      - .offset:         1748
        .size:           2
        .value_kind:     hidden_group_size_x
      - .offset:         1750
        .size:           2
        .value_kind:     hidden_group_size_y
      - .offset:         1752
        .size:           2
        .value_kind:     hidden_group_size_z
      - .offset:         1754
        .size:           2
        .value_kind:     hidden_remainder_x
      - .offset:         1756
        .size:           2
        .value_kind:     hidden_remainder_y
      - .offset:         1758
        .size:           2
        .value_kind:     hidden_remainder_z
      - .offset:         1776
        .size:           8
        .value_kind:     hidden_global_offset_x
      - .offset:         1784
        .size:           8
        .value_kind:     hidden_global_offset_y
      - .offset:         1792
        .size:           8
        .value_kind:     hidden_global_offset_z
      - .offset:         1800
        .size:           2
        .value_kind:     hidden_grid_dims
    .group_segment_fixed_size: 0
    .kernarg_segment_align: 8
    .kernarg_segment_size: 1992
    .language:       OpenCL C
    .language_version:
      - 2
      - 0
    .max_flat_workgroup_size: 512
    .name:           _ZN2at6native12_GLOBAL__N_16kernel17lstm_cell_forwardIddiLi1EEEvNS_4cuda6detail10TensorInfoIT_T1_EES9_S9_S9_S9_S9_S9_S9_S8_S8_
    .private_segment_fixed_size: 0
    .sgpr_count:     73
    .sgpr_spill_count: 0
    .symbol:         _ZN2at6native12_GLOBAL__N_16kernel17lstm_cell_forwardIddiLi1EEEvNS_4cuda6detail10TensorInfoIT_T1_EES9_S9_S9_S9_S9_S9_S9_S8_S8_.kd
    .uniform_work_group_size: 1
    .uses_dynamic_stack: false
    .vgpr_count:     55
    .vgpr_spill_count: 0
    .wavefront_size: 32
    .workgroup_processor_mode: 1
  - .args:
      - .offset:         0
        .size:           216
        .value_kind:     by_value
      - .offset:         216
        .size:           216
        .value_kind:     by_value
      - .offset:         432
        .size:           216
        .value_kind:     by_value
      - .offset:         648
        .size:           216
        .value_kind:     by_value
      - .offset:         864
        .size:           216
        .value_kind:     by_value
      - .offset:         1080
        .size:           216
        .value_kind:     by_value
      - .offset:         1296
        .size:           216
        .value_kind:     by_value
      - .offset:         1512
        .size:           216
        .value_kind:     by_value
      - .offset:         1728
        .size:           4
        .value_kind:     by_value
      - .offset:         1732
        .size:           4
        .value_kind:     by_value
      - .offset:         1736
        .size:           4
        .value_kind:     hidden_block_count_x
      - .offset:         1740
        .size:           4
        .value_kind:     hidden_block_count_y
      - .offset:         1744
        .size:           4
        .value_kind:     hidden_block_count_z
      - .offset:         1748
        .size:           2
        .value_kind:     hidden_group_size_x
      - .offset:         1750
        .size:           2
        .value_kind:     hidden_group_size_y
      - .offset:         1752
        .size:           2
        .value_kind:     hidden_group_size_z
      - .offset:         1754
        .size:           2
        .value_kind:     hidden_remainder_x
      - .offset:         1756
        .size:           2
        .value_kind:     hidden_remainder_y
      - .offset:         1758
        .size:           2
        .value_kind:     hidden_remainder_z
      - .offset:         1776
        .size:           8
        .value_kind:     hidden_global_offset_x
      - .offset:         1784
        .size:           8
        .value_kind:     hidden_global_offset_y
      - .offset:         1792
        .size:           8
        .value_kind:     hidden_global_offset_z
      - .offset:         1800
        .size:           2
        .value_kind:     hidden_grid_dims
    .group_segment_fixed_size: 0
    .kernarg_segment_align: 8
    .kernarg_segment_size: 1992
    .language:       OpenCL C
    .language_version:
      - 2
      - 0
    .max_flat_workgroup_size: 512
    .name:           _ZN2at6native12_GLOBAL__N_16kernel17lstm_cell_forwardIddiLi2EEEvNS_4cuda6detail10TensorInfoIT_T1_EES9_S9_S9_S9_S9_S9_S9_S8_S8_
    .private_segment_fixed_size: 0
    .sgpr_count:     100
    .sgpr_spill_count: 0
    .symbol:         _ZN2at6native12_GLOBAL__N_16kernel17lstm_cell_forwardIddiLi2EEEvNS_4cuda6detail10TensorInfoIT_T1_EES9_S9_S9_S9_S9_S9_S9_S8_S8_.kd
    .uniform_work_group_size: 1
    .uses_dynamic_stack: false
    .vgpr_count:     72
    .vgpr_spill_count: 0
    .wavefront_size: 32
    .workgroup_processor_mode: 1
  - .args:
      - .offset:         0
        .size:           416
        .value_kind:     by_value
      - .offset:         416
        .size:           416
        .value_kind:     by_value
      - .offset:         832
        .size:           416
        .value_kind:     by_value
      - .offset:         1248
        .size:           416
        .value_kind:     by_value
      - .offset:         1664
        .size:           416
        .value_kind:     by_value
      - .offset:         2080
        .size:           416
        .value_kind:     by_value
      - .offset:         2496
        .size:           416
        .value_kind:     by_value
      - .offset:         2912
        .size:           416
        .value_kind:     by_value
      - .offset:         3328
        .size:           8
        .value_kind:     by_value
      - .offset:         3336
        .size:           8
        .value_kind:     by_value
      - .offset:         3344
        .size:           4
        .value_kind:     hidden_block_count_x
      - .offset:         3348
        .size:           4
        .value_kind:     hidden_block_count_y
      - .offset:         3352
        .size:           4
        .value_kind:     hidden_block_count_z
      - .offset:         3356
        .size:           2
        .value_kind:     hidden_group_size_x
      - .offset:         3358
        .size:           2
        .value_kind:     hidden_group_size_y
      - .offset:         3360
        .size:           2
        .value_kind:     hidden_group_size_z
      - .offset:         3362
        .size:           2
        .value_kind:     hidden_remainder_x
      - .offset:         3364
        .size:           2
        .value_kind:     hidden_remainder_y
      - .offset:         3366
        .size:           2
        .value_kind:     hidden_remainder_z
      - .offset:         3384
        .size:           8
        .value_kind:     hidden_global_offset_x
      - .offset:         3392
        .size:           8
        .value_kind:     hidden_global_offset_y
      - .offset:         3400
        .size:           8
        .value_kind:     hidden_global_offset_z
      - .offset:         3408
        .size:           2
        .value_kind:     hidden_grid_dims
    .group_segment_fixed_size: 0
    .kernarg_segment_align: 8
    .kernarg_segment_size: 3600
    .language:       OpenCL C
    .language_version:
      - 2
      - 0
    .max_flat_workgroup_size: 512
    .name:           _ZN2at6native12_GLOBAL__N_16kernel17lstm_cell_forwardIddlLi1EEEvNS_4cuda6detail10TensorInfoIT_T1_EES9_S9_S9_S9_S9_S9_S9_S8_S8_
    .private_segment_fixed_size: 0
    .sgpr_count:     87
    .sgpr_spill_count: 0
    .symbol:         _ZN2at6native12_GLOBAL__N_16kernel17lstm_cell_forwardIddlLi1EEEvNS_4cuda6detail10TensorInfoIT_T1_EES9_S9_S9_S9_S9_S9_S9_S8_S8_.kd
    .uniform_work_group_size: 1
    .uses_dynamic_stack: false
    .vgpr_count:     61
    .vgpr_spill_count: 0
    .wavefront_size: 32
    .workgroup_processor_mode: 1
  - .args:
      - .offset:         0
        .size:           416
        .value_kind:     by_value
      - .offset:         416
        .size:           416
        .value_kind:     by_value
      - .offset:         832
        .size:           416
        .value_kind:     by_value
      - .offset:         1248
        .size:           416
        .value_kind:     by_value
      - .offset:         1664
        .size:           416
        .value_kind:     by_value
      - .offset:         2080
        .size:           416
        .value_kind:     by_value
      - .offset:         2496
        .size:           416
        .value_kind:     by_value
      - .offset:         2912
        .size:           416
        .value_kind:     by_value
      - .offset:         3328
        .size:           8
        .value_kind:     by_value
      - .offset:         3336
        .size:           8
        .value_kind:     by_value
      - .offset:         3344
        .size:           4
        .value_kind:     hidden_block_count_x
      - .offset:         3348
        .size:           4
        .value_kind:     hidden_block_count_y
      - .offset:         3352
        .size:           4
        .value_kind:     hidden_block_count_z
      - .offset:         3356
        .size:           2
        .value_kind:     hidden_group_size_x
      - .offset:         3358
        .size:           2
        .value_kind:     hidden_group_size_y
      - .offset:         3360
        .size:           2
        .value_kind:     hidden_group_size_z
      - .offset:         3362
        .size:           2
        .value_kind:     hidden_remainder_x
      - .offset:         3364
        .size:           2
        .value_kind:     hidden_remainder_y
      - .offset:         3366
        .size:           2
        .value_kind:     hidden_remainder_z
      - .offset:         3384
        .size:           8
        .value_kind:     hidden_global_offset_x
      - .offset:         3392
        .size:           8
        .value_kind:     hidden_global_offset_y
      - .offset:         3400
        .size:           8
        .value_kind:     hidden_global_offset_z
      - .offset:         3408
        .size:           2
        .value_kind:     hidden_grid_dims
    .group_segment_fixed_size: 0
    .kernarg_segment_align: 8
    .kernarg_segment_size: 3600
    .language:       OpenCL C
    .language_version:
      - 2
      - 0
    .max_flat_workgroup_size: 512
    .name:           _ZN2at6native12_GLOBAL__N_16kernel17lstm_cell_forwardIddlLi2EEEvNS_4cuda6detail10TensorInfoIT_T1_EES9_S9_S9_S9_S9_S9_S9_S8_S8_
    .private_segment_fixed_size: 0
    .sgpr_count:     107
    .sgpr_spill_count: 12
    .symbol:         _ZN2at6native12_GLOBAL__N_16kernel17lstm_cell_forwardIddlLi2EEEvNS_4cuda6detail10TensorInfoIT_T1_EES9_S9_S9_S9_S9_S9_S9_S8_S8_.kd
    .uniform_work_group_size: 1
    .uses_dynamic_stack: false
    .vgpr_count:     70
    .vgpr_spill_count: 0
    .wavefront_size: 32
    .workgroup_processor_mode: 1
  - .args:
      - .offset:         0
        .size:           216
        .value_kind:     by_value
      - .offset:         216
        .size:           216
        .value_kind:     by_value
      - .offset:         432
        .size:           216
        .value_kind:     by_value
      - .offset:         648
        .size:           216
        .value_kind:     by_value
      - .offset:         864
        .size:           216
        .value_kind:     by_value
      - .offset:         1080
        .size:           216
        .value_kind:     by_value
      - .offset:         1296
        .size:           216
        .value_kind:     by_value
      - .offset:         1512
        .size:           216
        .value_kind:     by_value
      - .offset:         1728
        .size:           4
        .value_kind:     by_value
      - .offset:         1732
        .size:           4
        .value_kind:     by_value
      - .offset:         1736
        .size:           4
        .value_kind:     hidden_block_count_x
      - .offset:         1740
        .size:           4
        .value_kind:     hidden_block_count_y
      - .offset:         1744
        .size:           4
        .value_kind:     hidden_block_count_z
      - .offset:         1748
        .size:           2
        .value_kind:     hidden_group_size_x
      - .offset:         1750
        .size:           2
        .value_kind:     hidden_group_size_y
      - .offset:         1752
        .size:           2
        .value_kind:     hidden_group_size_z
      - .offset:         1754
        .size:           2
        .value_kind:     hidden_remainder_x
      - .offset:         1756
        .size:           2
        .value_kind:     hidden_remainder_y
      - .offset:         1758
        .size:           2
        .value_kind:     hidden_remainder_z
      - .offset:         1776
        .size:           8
        .value_kind:     hidden_global_offset_x
      - .offset:         1784
        .size:           8
        .value_kind:     hidden_global_offset_y
      - .offset:         1792
        .size:           8
        .value_kind:     hidden_global_offset_z
      - .offset:         1800
        .size:           2
        .value_kind:     hidden_grid_dims
    .group_segment_fixed_size: 0
    .kernarg_segment_align: 8
    .kernarg_segment_size: 1992
    .language:       OpenCL C
    .language_version:
      - 2
      - 0
    .max_flat_workgroup_size: 512
    .name:           _ZN2at6native12_GLOBAL__N_16kernel17lstm_cell_forwardIffiLi1EEEvNS_4cuda6detail10TensorInfoIT_T1_EES9_S9_S9_S9_S9_S9_S9_S8_S8_
    .private_segment_fixed_size: 0
    .sgpr_count:     39
    .sgpr_spill_count: 0
    .symbol:         _ZN2at6native12_GLOBAL__N_16kernel17lstm_cell_forwardIffiLi1EEEvNS_4cuda6detail10TensorInfoIT_T1_EES9_S9_S9_S9_S9_S9_S9_S8_S8_.kd
    .uniform_work_group_size: 1
    .uses_dynamic_stack: false
    .vgpr_count:     41
    .vgpr_spill_count: 0
    .wavefront_size: 32
    .workgroup_processor_mode: 1
  - .args:
      - .offset:         0
        .size:           216
        .value_kind:     by_value
      - .offset:         216
        .size:           216
        .value_kind:     by_value
      - .offset:         432
        .size:           216
        .value_kind:     by_value
      - .offset:         648
        .size:           216
        .value_kind:     by_value
      - .offset:         864
        .size:           216
        .value_kind:     by_value
      - .offset:         1080
        .size:           216
        .value_kind:     by_value
      - .offset:         1296
        .size:           216
        .value_kind:     by_value
      - .offset:         1512
        .size:           216
        .value_kind:     by_value
      - .offset:         1728
        .size:           4
        .value_kind:     by_value
      - .offset:         1732
        .size:           4
        .value_kind:     by_value
      - .offset:         1736
        .size:           4
        .value_kind:     hidden_block_count_x
      - .offset:         1740
        .size:           4
        .value_kind:     hidden_block_count_y
      - .offset:         1744
        .size:           4
        .value_kind:     hidden_block_count_z
      - .offset:         1748
        .size:           2
        .value_kind:     hidden_group_size_x
      - .offset:         1750
        .size:           2
        .value_kind:     hidden_group_size_y
      - .offset:         1752
        .size:           2
        .value_kind:     hidden_group_size_z
      - .offset:         1754
        .size:           2
        .value_kind:     hidden_remainder_x
      - .offset:         1756
        .size:           2
        .value_kind:     hidden_remainder_y
      - .offset:         1758
        .size:           2
        .value_kind:     hidden_remainder_z
      - .offset:         1776
        .size:           8
        .value_kind:     hidden_global_offset_x
      - .offset:         1784
        .size:           8
        .value_kind:     hidden_global_offset_y
      - .offset:         1792
        .size:           8
        .value_kind:     hidden_global_offset_z
      - .offset:         1800
        .size:           2
        .value_kind:     hidden_grid_dims
    .group_segment_fixed_size: 0
    .kernarg_segment_align: 8
    .kernarg_segment_size: 1992
    .language:       OpenCL C
    .language_version:
      - 2
      - 0
    .max_flat_workgroup_size: 512
    .name:           _ZN2at6native12_GLOBAL__N_16kernel17lstm_cell_forwardIffiLi2EEEvNS_4cuda6detail10TensorInfoIT_T1_EES9_S9_S9_S9_S9_S9_S9_S8_S8_
    .private_segment_fixed_size: 0
    .sgpr_count:     64
    .sgpr_spill_count: 0
    .symbol:         _ZN2at6native12_GLOBAL__N_16kernel17lstm_cell_forwardIffiLi2EEEvNS_4cuda6detail10TensorInfoIT_T1_EES9_S9_S9_S9_S9_S9_S9_S8_S8_.kd
    .uniform_work_group_size: 1
    .uses_dynamic_stack: false
    .vgpr_count:     57
    .vgpr_spill_count: 0
    .wavefront_size: 32
    .workgroup_processor_mode: 1
  - .args:
      - .offset:         0
        .size:           416
        .value_kind:     by_value
      - .offset:         416
        .size:           416
        .value_kind:     by_value
      - .offset:         832
        .size:           416
        .value_kind:     by_value
      - .offset:         1248
        .size:           416
        .value_kind:     by_value
      - .offset:         1664
        .size:           416
        .value_kind:     by_value
      - .offset:         2080
        .size:           416
        .value_kind:     by_value
      - .offset:         2496
        .size:           416
        .value_kind:     by_value
      - .offset:         2912
        .size:           416
        .value_kind:     by_value
      - .offset:         3328
        .size:           8
        .value_kind:     by_value
      - .offset:         3336
        .size:           8
        .value_kind:     by_value
      - .offset:         3344
        .size:           4
        .value_kind:     hidden_block_count_x
      - .offset:         3348
        .size:           4
        .value_kind:     hidden_block_count_y
      - .offset:         3352
        .size:           4
        .value_kind:     hidden_block_count_z
      - .offset:         3356
        .size:           2
        .value_kind:     hidden_group_size_x
      - .offset:         3358
        .size:           2
        .value_kind:     hidden_group_size_y
      - .offset:         3360
        .size:           2
        .value_kind:     hidden_group_size_z
      - .offset:         3362
        .size:           2
        .value_kind:     hidden_remainder_x
      - .offset:         3364
        .size:           2
        .value_kind:     hidden_remainder_y
      - .offset:         3366
        .size:           2
        .value_kind:     hidden_remainder_z
      - .offset:         3384
        .size:           8
        .value_kind:     hidden_global_offset_x
      - .offset:         3392
        .size:           8
        .value_kind:     hidden_global_offset_y
      - .offset:         3400
        .size:           8
        .value_kind:     hidden_global_offset_z
      - .offset:         3408
        .size:           2
        .value_kind:     hidden_grid_dims
    .group_segment_fixed_size: 0
    .kernarg_segment_align: 8
    .kernarg_segment_size: 3600
    .language:       OpenCL C
    .language_version:
      - 2
      - 0
    .max_flat_workgroup_size: 512
    .name:           _ZN2at6native12_GLOBAL__N_16kernel17lstm_cell_forwardIfflLi1EEEvNS_4cuda6detail10TensorInfoIT_T1_EES9_S9_S9_S9_S9_S9_S9_S8_S8_
    .private_segment_fixed_size: 0
    .sgpr_count:     56
    .sgpr_spill_count: 0
    .symbol:         _ZN2at6native12_GLOBAL__N_16kernel17lstm_cell_forwardIfflLi1EEEvNS_4cuda6detail10TensorInfoIT_T1_EES9_S9_S9_S9_S9_S9_S9_S8_S8_.kd
    .uniform_work_group_size: 1
    .uses_dynamic_stack: false
    .vgpr_count:     48
    .vgpr_spill_count: 0
    .wavefront_size: 32
    .workgroup_processor_mode: 1
  - .args:
      - .offset:         0
        .size:           416
        .value_kind:     by_value
      - .offset:         416
        .size:           416
        .value_kind:     by_value
      - .offset:         832
        .size:           416
        .value_kind:     by_value
      - .offset:         1248
        .size:           416
        .value_kind:     by_value
      - .offset:         1664
        .size:           416
        .value_kind:     by_value
      - .offset:         2080
        .size:           416
        .value_kind:     by_value
      - .offset:         2496
        .size:           416
        .value_kind:     by_value
      - .offset:         2912
        .size:           416
        .value_kind:     by_value
      - .offset:         3328
        .size:           8
        .value_kind:     by_value
      - .offset:         3336
        .size:           8
        .value_kind:     by_value
      - .offset:         3344
        .size:           4
        .value_kind:     hidden_block_count_x
      - .offset:         3348
        .size:           4
        .value_kind:     hidden_block_count_y
      - .offset:         3352
        .size:           4
        .value_kind:     hidden_block_count_z
      - .offset:         3356
        .size:           2
        .value_kind:     hidden_group_size_x
      - .offset:         3358
        .size:           2
        .value_kind:     hidden_group_size_y
      - .offset:         3360
        .size:           2
        .value_kind:     hidden_group_size_z
      - .offset:         3362
        .size:           2
        .value_kind:     hidden_remainder_x
      - .offset:         3364
        .size:           2
        .value_kind:     hidden_remainder_y
      - .offset:         3366
        .size:           2
        .value_kind:     hidden_remainder_z
      - .offset:         3384
        .size:           8
        .value_kind:     hidden_global_offset_x
      - .offset:         3392
        .size:           8
        .value_kind:     hidden_global_offset_y
      - .offset:         3400
        .size:           8
        .value_kind:     hidden_global_offset_z
      - .offset:         3408
        .size:           2
        .value_kind:     hidden_grid_dims
    .group_segment_fixed_size: 0
    .kernarg_segment_align: 8
    .kernarg_segment_size: 3600
    .language:       OpenCL C
    .language_version:
      - 2
      - 0
    .max_flat_workgroup_size: 512
    .name:           _ZN2at6native12_GLOBAL__N_16kernel17lstm_cell_forwardIfflLi2EEEvNS_4cuda6detail10TensorInfoIT_T1_EES9_S9_S9_S9_S9_S9_S9_S8_S8_
    .private_segment_fixed_size: 0
    .sgpr_count:     92
    .sgpr_spill_count: 0
    .symbol:         _ZN2at6native12_GLOBAL__N_16kernel17lstm_cell_forwardIfflLi2EEEvNS_4cuda6detail10TensorInfoIT_T1_EES9_S9_S9_S9_S9_S9_S9_S8_S8_.kd
    .uniform_work_group_size: 1
    .uses_dynamic_stack: false
    .vgpr_count:     55
    .vgpr_spill_count: 0
    .wavefront_size: 32
    .workgroup_processor_mode: 1
  - .args:
      - .offset:         0
        .size:           216
        .value_kind:     by_value
      - .offset:         216
        .size:           216
        .value_kind:     by_value
      - .offset:         432
        .size:           216
        .value_kind:     by_value
      - .offset:         648
        .size:           216
        .value_kind:     by_value
      - .offset:         864
        .size:           216
        .value_kind:     by_value
      - .offset:         1080
        .size:           216
        .value_kind:     by_value
      - .offset:         1296
        .size:           216
        .value_kind:     by_value
      - .offset:         1512
        .size:           216
        .value_kind:     by_value
      - .offset:         1728
        .size:           4
        .value_kind:     by_value
      - .offset:         1732
        .size:           4
        .value_kind:     by_value
      - .offset:         1736
        .size:           4
        .value_kind:     hidden_block_count_x
      - .offset:         1740
        .size:           4
        .value_kind:     hidden_block_count_y
      - .offset:         1744
        .size:           4
        .value_kind:     hidden_block_count_z
      - .offset:         1748
        .size:           2
        .value_kind:     hidden_group_size_x
      - .offset:         1750
        .size:           2
        .value_kind:     hidden_group_size_y
      - .offset:         1752
        .size:           2
        .value_kind:     hidden_group_size_z
      - .offset:         1754
        .size:           2
        .value_kind:     hidden_remainder_x
      - .offset:         1756
        .size:           2
        .value_kind:     hidden_remainder_y
      - .offset:         1758
        .size:           2
        .value_kind:     hidden_remainder_z
      - .offset:         1776
        .size:           8
        .value_kind:     hidden_global_offset_x
      - .offset:         1784
        .size:           8
        .value_kind:     hidden_global_offset_y
      - .offset:         1792
        .size:           8
        .value_kind:     hidden_global_offset_z
      - .offset:         1800
        .size:           2
        .value_kind:     hidden_grid_dims
    .group_segment_fixed_size: 0
    .kernarg_segment_align: 8
    .kernarg_segment_size: 1992
    .language:       OpenCL C
    .language_version:
      - 2
      - 0
    .max_flat_workgroup_size: 512
    .name:           _ZN2at6native12_GLOBAL__N_16kernel17lstm_cell_forwardIN3c104HalfEfiLi1EEEvNS_4cuda6detail10TensorInfoIT_T1_EESB_SB_SB_SB_SB_SB_SB_SA_SA_
    .private_segment_fixed_size: 0
    .sgpr_count:     39
    .sgpr_spill_count: 0
    .symbol:         _ZN2at6native12_GLOBAL__N_16kernel17lstm_cell_forwardIN3c104HalfEfiLi1EEEvNS_4cuda6detail10TensorInfoIT_T1_EESB_SB_SB_SB_SB_SB_SB_SA_SA_.kd
    .uniform_work_group_size: 1
    .uses_dynamic_stack: false
    .vgpr_count:     37
    .vgpr_spill_count: 0
    .wavefront_size: 32
    .workgroup_processor_mode: 1
  - .args:
      - .offset:         0
        .size:           216
        .value_kind:     by_value
      - .offset:         216
        .size:           216
        .value_kind:     by_value
      - .offset:         432
        .size:           216
        .value_kind:     by_value
      - .offset:         648
        .size:           216
        .value_kind:     by_value
      - .offset:         864
        .size:           216
        .value_kind:     by_value
      - .offset:         1080
        .size:           216
        .value_kind:     by_value
      - .offset:         1296
        .size:           216
        .value_kind:     by_value
      - .offset:         1512
        .size:           216
        .value_kind:     by_value
      - .offset:         1728
        .size:           4
        .value_kind:     by_value
      - .offset:         1732
        .size:           4
        .value_kind:     by_value
      - .offset:         1736
        .size:           4
        .value_kind:     hidden_block_count_x
      - .offset:         1740
        .size:           4
        .value_kind:     hidden_block_count_y
      - .offset:         1744
        .size:           4
        .value_kind:     hidden_block_count_z
      - .offset:         1748
        .size:           2
        .value_kind:     hidden_group_size_x
      - .offset:         1750
        .size:           2
        .value_kind:     hidden_group_size_y
      - .offset:         1752
        .size:           2
        .value_kind:     hidden_group_size_z
      - .offset:         1754
        .size:           2
        .value_kind:     hidden_remainder_x
      - .offset:         1756
        .size:           2
        .value_kind:     hidden_remainder_y
      - .offset:         1758
        .size:           2
        .value_kind:     hidden_remainder_z
      - .offset:         1776
        .size:           8
        .value_kind:     hidden_global_offset_x
      - .offset:         1784
        .size:           8
        .value_kind:     hidden_global_offset_y
      - .offset:         1792
        .size:           8
        .value_kind:     hidden_global_offset_z
      - .offset:         1800
        .size:           2
        .value_kind:     hidden_grid_dims
    .group_segment_fixed_size: 0
    .kernarg_segment_align: 8
    .kernarg_segment_size: 1992
    .language:       OpenCL C
    .language_version:
      - 2
      - 0
    .max_flat_workgroup_size: 512
    .name:           _ZN2at6native12_GLOBAL__N_16kernel17lstm_cell_forwardIN3c104HalfEfiLi2EEEvNS_4cuda6detail10TensorInfoIT_T1_EESB_SB_SB_SB_SB_SB_SB_SA_SA_
    .private_segment_fixed_size: 0
    .sgpr_count:     64
    .sgpr_spill_count: 0
    .symbol:         _ZN2at6native12_GLOBAL__N_16kernel17lstm_cell_forwardIN3c104HalfEfiLi2EEEvNS_4cuda6detail10TensorInfoIT_T1_EESB_SB_SB_SB_SB_SB_SB_SA_SA_.kd
    .uniform_work_group_size: 1
    .uses_dynamic_stack: false
    .vgpr_count:     56
    .vgpr_spill_count: 0
    .wavefront_size: 32
    .workgroup_processor_mode: 1
  - .args:
      - .offset:         0
        .size:           416
        .value_kind:     by_value
      - .offset:         416
        .size:           416
        .value_kind:     by_value
      - .offset:         832
        .size:           416
        .value_kind:     by_value
      - .offset:         1248
        .size:           416
        .value_kind:     by_value
      - .offset:         1664
        .size:           416
        .value_kind:     by_value
      - .offset:         2080
        .size:           416
        .value_kind:     by_value
      - .offset:         2496
        .size:           416
        .value_kind:     by_value
      - .offset:         2912
        .size:           416
        .value_kind:     by_value
      - .offset:         3328
        .size:           8
        .value_kind:     by_value
      - .offset:         3336
        .size:           8
        .value_kind:     by_value
      - .offset:         3344
        .size:           4
        .value_kind:     hidden_block_count_x
      - .offset:         3348
        .size:           4
        .value_kind:     hidden_block_count_y
      - .offset:         3352
        .size:           4
        .value_kind:     hidden_block_count_z
      - .offset:         3356
        .size:           2
        .value_kind:     hidden_group_size_x
      - .offset:         3358
        .size:           2
        .value_kind:     hidden_group_size_y
      - .offset:         3360
        .size:           2
        .value_kind:     hidden_group_size_z
      - .offset:         3362
        .size:           2
        .value_kind:     hidden_remainder_x
      - .offset:         3364
        .size:           2
        .value_kind:     hidden_remainder_y
      - .offset:         3366
        .size:           2
        .value_kind:     hidden_remainder_z
      - .offset:         3384
        .size:           8
        .value_kind:     hidden_global_offset_x
      - .offset:         3392
        .size:           8
        .value_kind:     hidden_global_offset_y
      - .offset:         3400
        .size:           8
        .value_kind:     hidden_global_offset_z
      - .offset:         3408
        .size:           2
        .value_kind:     hidden_grid_dims
    .group_segment_fixed_size: 0
    .kernarg_segment_align: 8
    .kernarg_segment_size: 3600
    .language:       OpenCL C
    .language_version:
      - 2
      - 0
    .max_flat_workgroup_size: 512
    .name:           _ZN2at6native12_GLOBAL__N_16kernel17lstm_cell_forwardIN3c104HalfEflLi1EEEvNS_4cuda6detail10TensorInfoIT_T1_EESB_SB_SB_SB_SB_SB_SB_SA_SA_
    .private_segment_fixed_size: 0
    .sgpr_count:     56
    .sgpr_spill_count: 0
    .symbol:         _ZN2at6native12_GLOBAL__N_16kernel17lstm_cell_forwardIN3c104HalfEflLi1EEEvNS_4cuda6detail10TensorInfoIT_T1_EESB_SB_SB_SB_SB_SB_SB_SA_SA_.kd
    .uniform_work_group_size: 1
    .uses_dynamic_stack: false
    .vgpr_count:     49
    .vgpr_spill_count: 0
    .wavefront_size: 32
    .workgroup_processor_mode: 1
  - .args:
      - .offset:         0
        .size:           416
        .value_kind:     by_value
      - .offset:         416
        .size:           416
        .value_kind:     by_value
      - .offset:         832
        .size:           416
        .value_kind:     by_value
      - .offset:         1248
        .size:           416
        .value_kind:     by_value
      - .offset:         1664
        .size:           416
        .value_kind:     by_value
      - .offset:         2080
        .size:           416
        .value_kind:     by_value
      - .offset:         2496
        .size:           416
        .value_kind:     by_value
      - .offset:         2912
        .size:           416
        .value_kind:     by_value
      - .offset:         3328
        .size:           8
        .value_kind:     by_value
      - .offset:         3336
        .size:           8
        .value_kind:     by_value
      - .offset:         3344
        .size:           4
        .value_kind:     hidden_block_count_x
      - .offset:         3348
        .size:           4
        .value_kind:     hidden_block_count_y
      - .offset:         3352
        .size:           4
        .value_kind:     hidden_block_count_z
      - .offset:         3356
        .size:           2
        .value_kind:     hidden_group_size_x
      - .offset:         3358
        .size:           2
        .value_kind:     hidden_group_size_y
      - .offset:         3360
        .size:           2
        .value_kind:     hidden_group_size_z
      - .offset:         3362
        .size:           2
        .value_kind:     hidden_remainder_x
      - .offset:         3364
        .size:           2
        .value_kind:     hidden_remainder_y
      - .offset:         3366
        .size:           2
        .value_kind:     hidden_remainder_z
      - .offset:         3384
        .size:           8
        .value_kind:     hidden_global_offset_x
      - .offset:         3392
        .size:           8
        .value_kind:     hidden_global_offset_y
      - .offset:         3400
        .size:           8
        .value_kind:     hidden_global_offset_z
      - .offset:         3408
        .size:           2
        .value_kind:     hidden_grid_dims
    .group_segment_fixed_size: 0
    .kernarg_segment_align: 8
    .kernarg_segment_size: 3600
    .language:       OpenCL C
    .language_version:
      - 2
      - 0
    .max_flat_workgroup_size: 512
    .name:           _ZN2at6native12_GLOBAL__N_16kernel17lstm_cell_forwardIN3c104HalfEflLi2EEEvNS_4cuda6detail10TensorInfoIT_T1_EESB_SB_SB_SB_SB_SB_SB_SA_SA_
    .private_segment_fixed_size: 0
    .sgpr_count:     92
    .sgpr_spill_count: 0
    .symbol:         _ZN2at6native12_GLOBAL__N_16kernel17lstm_cell_forwardIN3c104HalfEflLi2EEEvNS_4cuda6detail10TensorInfoIT_T1_EESB_SB_SB_SB_SB_SB_SB_SA_SA_.kd
    .uniform_work_group_size: 1
    .uses_dynamic_stack: false
    .vgpr_count:     56
    .vgpr_spill_count: 0
    .wavefront_size: 32
    .workgroup_processor_mode: 1
  - .args:
      - .offset:         0
        .size:           216
        .value_kind:     by_value
      - .offset:         216
        .size:           216
        .value_kind:     by_value
      - .offset:         432
        .size:           216
        .value_kind:     by_value
      - .offset:         648
        .size:           216
        .value_kind:     by_value
      - .offset:         864
        .size:           216
        .value_kind:     by_value
      - .offset:         1080
        .size:           216
        .value_kind:     by_value
      - .offset:         1296
        .size:           216
        .value_kind:     by_value
      - .offset:         1512
        .size:           216
        .value_kind:     by_value
      - .offset:         1728
        .size:           4
        .value_kind:     by_value
      - .offset:         1732
        .size:           4
        .value_kind:     by_value
      - .offset:         1736
        .size:           4
        .value_kind:     hidden_block_count_x
      - .offset:         1740
        .size:           4
        .value_kind:     hidden_block_count_y
      - .offset:         1744
        .size:           4
        .value_kind:     hidden_block_count_z
      - .offset:         1748
        .size:           2
        .value_kind:     hidden_group_size_x
      - .offset:         1750
        .size:           2
        .value_kind:     hidden_group_size_y
      - .offset:         1752
        .size:           2
        .value_kind:     hidden_group_size_z
      - .offset:         1754
        .size:           2
        .value_kind:     hidden_remainder_x
      - .offset:         1756
        .size:           2
        .value_kind:     hidden_remainder_y
      - .offset:         1758
        .size:           2
        .value_kind:     hidden_remainder_z
      - .offset:         1776
        .size:           8
        .value_kind:     hidden_global_offset_x
      - .offset:         1784
        .size:           8
        .value_kind:     hidden_global_offset_y
      - .offset:         1792
        .size:           8
        .value_kind:     hidden_global_offset_z
      - .offset:         1800
        .size:           2
        .value_kind:     hidden_grid_dims
    .group_segment_fixed_size: 0
    .kernarg_segment_align: 8
    .kernarg_segment_size: 1992
    .language:       OpenCL C
    .language_version:
      - 2
      - 0
    .max_flat_workgroup_size: 512
    .name:           _ZN2at6native12_GLOBAL__N_16kernel17lstm_cell_forwardIN3c108BFloat16EfiLi1EEEvNS_4cuda6detail10TensorInfoIT_T1_EESB_SB_SB_SB_SB_SB_SB_SA_SA_
    .private_segment_fixed_size: 0
    .sgpr_count:     43
    .sgpr_spill_count: 0
    .symbol:         _ZN2at6native12_GLOBAL__N_16kernel17lstm_cell_forwardIN3c108BFloat16EfiLi1EEEvNS_4cuda6detail10TensorInfoIT_T1_EESB_SB_SB_SB_SB_SB_SB_SA_SA_.kd
    .uniform_work_group_size: 1
    .uses_dynamic_stack: false
    .vgpr_count:     38
    .vgpr_spill_count: 0
    .wavefront_size: 32
    .workgroup_processor_mode: 1
  - .args:
      - .offset:         0
        .size:           216
        .value_kind:     by_value
      - .offset:         216
        .size:           216
        .value_kind:     by_value
      - .offset:         432
        .size:           216
        .value_kind:     by_value
      - .offset:         648
        .size:           216
        .value_kind:     by_value
      - .offset:         864
        .size:           216
        .value_kind:     by_value
      - .offset:         1080
        .size:           216
        .value_kind:     by_value
      - .offset:         1296
        .size:           216
        .value_kind:     by_value
      - .offset:         1512
        .size:           216
        .value_kind:     by_value
      - .offset:         1728
        .size:           4
        .value_kind:     by_value
      - .offset:         1732
        .size:           4
        .value_kind:     by_value
      - .offset:         1736
        .size:           4
        .value_kind:     hidden_block_count_x
      - .offset:         1740
        .size:           4
        .value_kind:     hidden_block_count_y
      - .offset:         1744
        .size:           4
        .value_kind:     hidden_block_count_z
      - .offset:         1748
        .size:           2
        .value_kind:     hidden_group_size_x
      - .offset:         1750
        .size:           2
        .value_kind:     hidden_group_size_y
      - .offset:         1752
        .size:           2
        .value_kind:     hidden_group_size_z
      - .offset:         1754
        .size:           2
        .value_kind:     hidden_remainder_x
      - .offset:         1756
        .size:           2
        .value_kind:     hidden_remainder_y
      - .offset:         1758
        .size:           2
        .value_kind:     hidden_remainder_z
      - .offset:         1776
        .size:           8
        .value_kind:     hidden_global_offset_x
      - .offset:         1784
        .size:           8
        .value_kind:     hidden_global_offset_y
      - .offset:         1792
        .size:           8
        .value_kind:     hidden_global_offset_z
      - .offset:         1800
        .size:           2
        .value_kind:     hidden_grid_dims
    .group_segment_fixed_size: 0
    .kernarg_segment_align: 8
    .kernarg_segment_size: 1992
    .language:       OpenCL C
    .language_version:
      - 2
      - 0
    .max_flat_workgroup_size: 512
    .name:           _ZN2at6native12_GLOBAL__N_16kernel17lstm_cell_forwardIN3c108BFloat16EfiLi2EEEvNS_4cuda6detail10TensorInfoIT_T1_EESB_SB_SB_SB_SB_SB_SB_SA_SA_
    .private_segment_fixed_size: 0
    .sgpr_count:     66
    .sgpr_spill_count: 0
    .symbol:         _ZN2at6native12_GLOBAL__N_16kernel17lstm_cell_forwardIN3c108BFloat16EfiLi2EEEvNS_4cuda6detail10TensorInfoIT_T1_EESB_SB_SB_SB_SB_SB_SB_SA_SA_.kd
    .uniform_work_group_size: 1
    .uses_dynamic_stack: false
    .vgpr_count:     57
    .vgpr_spill_count: 0
    .wavefront_size: 32
    .workgroup_processor_mode: 1
  - .args:
      - .offset:         0
        .size:           416
        .value_kind:     by_value
      - .offset:         416
        .size:           416
        .value_kind:     by_value
      - .offset:         832
        .size:           416
        .value_kind:     by_value
      - .offset:         1248
        .size:           416
        .value_kind:     by_value
      - .offset:         1664
        .size:           416
        .value_kind:     by_value
      - .offset:         2080
        .size:           416
        .value_kind:     by_value
      - .offset:         2496
        .size:           416
        .value_kind:     by_value
      - .offset:         2912
        .size:           416
        .value_kind:     by_value
      - .offset:         3328
        .size:           8
        .value_kind:     by_value
      - .offset:         3336
        .size:           8
        .value_kind:     by_value
      - .offset:         3344
        .size:           4
        .value_kind:     hidden_block_count_x
      - .offset:         3348
        .size:           4
        .value_kind:     hidden_block_count_y
      - .offset:         3352
        .size:           4
        .value_kind:     hidden_block_count_z
      - .offset:         3356
        .size:           2
        .value_kind:     hidden_group_size_x
      - .offset:         3358
        .size:           2
        .value_kind:     hidden_group_size_y
      - .offset:         3360
        .size:           2
        .value_kind:     hidden_group_size_z
      - .offset:         3362
        .size:           2
        .value_kind:     hidden_remainder_x
      - .offset:         3364
        .size:           2
        .value_kind:     hidden_remainder_y
      - .offset:         3366
        .size:           2
        .value_kind:     hidden_remainder_z
      - .offset:         3384
        .size:           8
        .value_kind:     hidden_global_offset_x
      - .offset:         3392
        .size:           8
        .value_kind:     hidden_global_offset_y
      - .offset:         3400
        .size:           8
        .value_kind:     hidden_global_offset_z
      - .offset:         3408
        .size:           2
        .value_kind:     hidden_grid_dims
    .group_segment_fixed_size: 0
    .kernarg_segment_align: 8
    .kernarg_segment_size: 3600
    .language:       OpenCL C
    .language_version:
      - 2
      - 0
    .max_flat_workgroup_size: 512
    .name:           _ZN2at6native12_GLOBAL__N_16kernel17lstm_cell_forwardIN3c108BFloat16EflLi1EEEvNS_4cuda6detail10TensorInfoIT_T1_EESB_SB_SB_SB_SB_SB_SB_SA_SA_
    .private_segment_fixed_size: 0
    .sgpr_count:     56
    .sgpr_spill_count: 0
    .symbol:         _ZN2at6native12_GLOBAL__N_16kernel17lstm_cell_forwardIN3c108BFloat16EflLi1EEEvNS_4cuda6detail10TensorInfoIT_T1_EESB_SB_SB_SB_SB_SB_SB_SA_SA_.kd
    .uniform_work_group_size: 1
    .uses_dynamic_stack: false
    .vgpr_count:     48
    .vgpr_spill_count: 0
    .wavefront_size: 32
    .workgroup_processor_mode: 1
  - .args:
      - .offset:         0
        .size:           416
        .value_kind:     by_value
      - .offset:         416
        .size:           416
        .value_kind:     by_value
      - .offset:         832
        .size:           416
        .value_kind:     by_value
      - .offset:         1248
        .size:           416
        .value_kind:     by_value
      - .offset:         1664
        .size:           416
        .value_kind:     by_value
      - .offset:         2080
        .size:           416
        .value_kind:     by_value
      - .offset:         2496
        .size:           416
        .value_kind:     by_value
      - .offset:         2912
        .size:           416
        .value_kind:     by_value
      - .offset:         3328
        .size:           8
        .value_kind:     by_value
      - .offset:         3336
        .size:           8
        .value_kind:     by_value
      - .offset:         3344
        .size:           4
        .value_kind:     hidden_block_count_x
      - .offset:         3348
        .size:           4
        .value_kind:     hidden_block_count_y
      - .offset:         3352
        .size:           4
        .value_kind:     hidden_block_count_z
      - .offset:         3356
        .size:           2
        .value_kind:     hidden_group_size_x
      - .offset:         3358
        .size:           2
        .value_kind:     hidden_group_size_y
      - .offset:         3360
        .size:           2
        .value_kind:     hidden_group_size_z
      - .offset:         3362
        .size:           2
        .value_kind:     hidden_remainder_x
      - .offset:         3364
        .size:           2
        .value_kind:     hidden_remainder_y
      - .offset:         3366
        .size:           2
        .value_kind:     hidden_remainder_z
      - .offset:         3384
        .size:           8
        .value_kind:     hidden_global_offset_x
      - .offset:         3392
        .size:           8
        .value_kind:     hidden_global_offset_y
      - .offset:         3400
        .size:           8
        .value_kind:     hidden_global_offset_z
      - .offset:         3408
        .size:           2
        .value_kind:     hidden_grid_dims
    .group_segment_fixed_size: 0
    .kernarg_segment_align: 8
    .kernarg_segment_size: 3600
    .language:       OpenCL C
    .language_version:
      - 2
      - 0
    .max_flat_workgroup_size: 512
    .name:           _ZN2at6native12_GLOBAL__N_16kernel17lstm_cell_forwardIN3c108BFloat16EflLi2EEEvNS_4cuda6detail10TensorInfoIT_T1_EESB_SB_SB_SB_SB_SB_SB_SA_SA_
    .private_segment_fixed_size: 0
    .sgpr_count:     92
    .sgpr_spill_count: 0
    .symbol:         _ZN2at6native12_GLOBAL__N_16kernel17lstm_cell_forwardIN3c108BFloat16EflLi2EEEvNS_4cuda6detail10TensorInfoIT_T1_EESB_SB_SB_SB_SB_SB_SB_SA_SA_.kd
    .uniform_work_group_size: 1
    .uses_dynamic_stack: false
    .vgpr_count:     56
    .vgpr_spill_count: 0
    .wavefront_size: 32
    .workgroup_processor_mode: 1
  - .args:
      - .offset:         0
        .size:           216
        .value_kind:     by_value
      - .offset:         216
        .size:           216
        .value_kind:     by_value
      - .offset:         432
        .size:           216
        .value_kind:     by_value
      - .offset:         648
        .size:           216
        .value_kind:     by_value
      - .offset:         864
        .size:           216
        .value_kind:     by_value
      - .offset:         1080
        .size:           216
        .value_kind:     by_value
      - .offset:         1296
        .size:           216
        .value_kind:     by_value
      - .offset:         1512
        .size:           4
        .value_kind:     by_value
      - .offset:         1516
        .size:           4
        .value_kind:     by_value
      - .offset:         1520
        .size:           4
        .value_kind:     hidden_block_count_x
      - .offset:         1524
        .size:           4
        .value_kind:     hidden_block_count_y
      - .offset:         1528
        .size:           4
        .value_kind:     hidden_block_count_z
      - .offset:         1532
        .size:           2
        .value_kind:     hidden_group_size_x
      - .offset:         1534
        .size:           2
        .value_kind:     hidden_group_size_y
      - .offset:         1536
        .size:           2
        .value_kind:     hidden_group_size_z
      - .offset:         1538
        .size:           2
        .value_kind:     hidden_remainder_x
      - .offset:         1540
        .size:           2
        .value_kind:     hidden_remainder_y
      - .offset:         1542
        .size:           2
        .value_kind:     hidden_remainder_z
      - .offset:         1560
        .size:           8
        .value_kind:     hidden_global_offset_x
      - .offset:         1568
        .size:           8
        .value_kind:     hidden_global_offset_y
      - .offset:         1576
        .size:           8
        .value_kind:     hidden_global_offset_z
      - .offset:         1584
        .size:           2
        .value_kind:     hidden_grid_dims
    .group_segment_fixed_size: 0
    .kernarg_segment_align: 8
    .kernarg_segment_size: 1776
    .language:       OpenCL C
    .language_version:
      - 2
      - 0
    .max_flat_workgroup_size: 512
    .name:           _ZN2at6native12_GLOBAL__N_16kernel18lstm_cell_backwardIddiLi1EEEvNS_4cuda6detail10TensorInfoIT_T1_EES9_S9_S9_S9_S9_S9_S8_S8_
    .private_segment_fixed_size: 0
    .sgpr_count:     61
    .sgpr_spill_count: 0
    .symbol:         _ZN2at6native12_GLOBAL__N_16kernel18lstm_cell_backwardIddiLi1EEEvNS_4cuda6detail10TensorInfoIT_T1_EES9_S9_S9_S9_S9_S9_S8_S8_.kd
    .uniform_work_group_size: 1
    .uses_dynamic_stack: false
    .vgpr_count:     53
    .vgpr_spill_count: 0
    .wavefront_size: 32
    .workgroup_processor_mode: 1
  - .args:
      - .offset:         0
        .size:           216
        .value_kind:     by_value
      - .offset:         216
        .size:           216
        .value_kind:     by_value
      - .offset:         432
        .size:           216
        .value_kind:     by_value
      - .offset:         648
        .size:           216
        .value_kind:     by_value
      - .offset:         864
        .size:           216
        .value_kind:     by_value
      - .offset:         1080
        .size:           216
        .value_kind:     by_value
      - .offset:         1296
        .size:           216
        .value_kind:     by_value
      - .offset:         1512
        .size:           4
        .value_kind:     by_value
      - .offset:         1516
        .size:           4
        .value_kind:     by_value
      - .offset:         1520
        .size:           4
        .value_kind:     hidden_block_count_x
      - .offset:         1524
        .size:           4
        .value_kind:     hidden_block_count_y
      - .offset:         1528
        .size:           4
        .value_kind:     hidden_block_count_z
      - .offset:         1532
        .size:           2
        .value_kind:     hidden_group_size_x
      - .offset:         1534
        .size:           2
        .value_kind:     hidden_group_size_y
      - .offset:         1536
        .size:           2
        .value_kind:     hidden_group_size_z
      - .offset:         1538
        .size:           2
        .value_kind:     hidden_remainder_x
      - .offset:         1540
        .size:           2
        .value_kind:     hidden_remainder_y
      - .offset:         1542
        .size:           2
        .value_kind:     hidden_remainder_z
      - .offset:         1560
        .size:           8
        .value_kind:     hidden_global_offset_x
      - .offset:         1568
        .size:           8
        .value_kind:     hidden_global_offset_y
      - .offset:         1576
        .size:           8
        .value_kind:     hidden_global_offset_z
      - .offset:         1584
        .size:           2
        .value_kind:     hidden_grid_dims
    .group_segment_fixed_size: 0
    .kernarg_segment_align: 8
    .kernarg_segment_size: 1776
    .language:       OpenCL C
    .language_version:
      - 2
      - 0
    .max_flat_workgroup_size: 512
    .name:           _ZN2at6native12_GLOBAL__N_16kernel18lstm_cell_backwardIddiLi2EEEvNS_4cuda6detail10TensorInfoIT_T1_EES9_S9_S9_S9_S9_S9_S8_S8_
    .private_segment_fixed_size: 0
    .sgpr_count:     93
    .sgpr_spill_count: 0
    .symbol:         _ZN2at6native12_GLOBAL__N_16kernel18lstm_cell_backwardIddiLi2EEEvNS_4cuda6detail10TensorInfoIT_T1_EES9_S9_S9_S9_S9_S9_S8_S8_.kd
    .uniform_work_group_size: 1
    .uses_dynamic_stack: false
    .vgpr_count:     64
    .vgpr_spill_count: 0
    .wavefront_size: 32
    .workgroup_processor_mode: 1
  - .args:
      - .offset:         0
        .size:           416
        .value_kind:     by_value
      - .offset:         416
        .size:           416
        .value_kind:     by_value
      - .offset:         832
        .size:           416
        .value_kind:     by_value
      - .offset:         1248
        .size:           416
        .value_kind:     by_value
      - .offset:         1664
        .size:           416
        .value_kind:     by_value
      - .offset:         2080
        .size:           416
        .value_kind:     by_value
      - .offset:         2496
        .size:           416
        .value_kind:     by_value
      - .offset:         2912
        .size:           8
        .value_kind:     by_value
      - .offset:         2920
        .size:           8
        .value_kind:     by_value
      - .offset:         2928
        .size:           4
        .value_kind:     hidden_block_count_x
      - .offset:         2932
        .size:           4
        .value_kind:     hidden_block_count_y
      - .offset:         2936
        .size:           4
        .value_kind:     hidden_block_count_z
      - .offset:         2940
        .size:           2
        .value_kind:     hidden_group_size_x
      - .offset:         2942
        .size:           2
        .value_kind:     hidden_group_size_y
      - .offset:         2944
        .size:           2
        .value_kind:     hidden_group_size_z
      - .offset:         2946
        .size:           2
        .value_kind:     hidden_remainder_x
      - .offset:         2948
        .size:           2
        .value_kind:     hidden_remainder_y
      - .offset:         2950
        .size:           2
        .value_kind:     hidden_remainder_z
      - .offset:         2968
        .size:           8
        .value_kind:     hidden_global_offset_x
      - .offset:         2976
        .size:           8
        .value_kind:     hidden_global_offset_y
      - .offset:         2984
        .size:           8
        .value_kind:     hidden_global_offset_z
      - .offset:         2992
        .size:           2
        .value_kind:     hidden_grid_dims
    .group_segment_fixed_size: 0
    .kernarg_segment_align: 8
    .kernarg_segment_size: 3184
    .language:       OpenCL C
    .language_version:
      - 2
      - 0
    .max_flat_workgroup_size: 512
    .name:           _ZN2at6native12_GLOBAL__N_16kernel18lstm_cell_backwardIddlLi1EEEvNS_4cuda6detail10TensorInfoIT_T1_EES9_S9_S9_S9_S9_S9_S8_S8_
    .private_segment_fixed_size: 0
    .sgpr_count:     74
    .sgpr_spill_count: 0
    .symbol:         _ZN2at6native12_GLOBAL__N_16kernel18lstm_cell_backwardIddlLi1EEEvNS_4cuda6detail10TensorInfoIT_T1_EES9_S9_S9_S9_S9_S9_S8_S8_.kd
    .uniform_work_group_size: 1
    .uses_dynamic_stack: false
    .vgpr_count:     57
    .vgpr_spill_count: 0
    .wavefront_size: 32
    .workgroup_processor_mode: 1
  - .args:
      - .offset:         0
        .size:           416
        .value_kind:     by_value
      - .offset:         416
        .size:           416
        .value_kind:     by_value
      - .offset:         832
        .size:           416
        .value_kind:     by_value
      - .offset:         1248
        .size:           416
        .value_kind:     by_value
      - .offset:         1664
        .size:           416
        .value_kind:     by_value
      - .offset:         2080
        .size:           416
        .value_kind:     by_value
      - .offset:         2496
        .size:           416
        .value_kind:     by_value
      - .offset:         2912
        .size:           8
        .value_kind:     by_value
      - .offset:         2920
        .size:           8
        .value_kind:     by_value
      - .offset:         2928
        .size:           4
        .value_kind:     hidden_block_count_x
      - .offset:         2932
        .size:           4
        .value_kind:     hidden_block_count_y
      - .offset:         2936
        .size:           4
        .value_kind:     hidden_block_count_z
      - .offset:         2940
        .size:           2
        .value_kind:     hidden_group_size_x
      - .offset:         2942
        .size:           2
        .value_kind:     hidden_group_size_y
      - .offset:         2944
        .size:           2
        .value_kind:     hidden_group_size_z
      - .offset:         2946
        .size:           2
        .value_kind:     hidden_remainder_x
      - .offset:         2948
        .size:           2
        .value_kind:     hidden_remainder_y
      - .offset:         2950
        .size:           2
        .value_kind:     hidden_remainder_z
      - .offset:         2968
        .size:           8
        .value_kind:     hidden_global_offset_x
      - .offset:         2976
        .size:           8
        .value_kind:     hidden_global_offset_y
      - .offset:         2984
        .size:           8
        .value_kind:     hidden_global_offset_z
      - .offset:         2992
        .size:           2
        .value_kind:     hidden_grid_dims
    .group_segment_fixed_size: 0
    .kernarg_segment_align: 8
    .kernarg_segment_size: 3184
    .language:       OpenCL C
    .language_version:
      - 2
      - 0
    .max_flat_workgroup_size: 512
    .name:           _ZN2at6native12_GLOBAL__N_16kernel18lstm_cell_backwardIddlLi2EEEvNS_4cuda6detail10TensorInfoIT_T1_EES9_S9_S9_S9_S9_S9_S8_S8_
    .private_segment_fixed_size: 0
    .sgpr_count:     107
    .sgpr_spill_count: 0
    .symbol:         _ZN2at6native12_GLOBAL__N_16kernel18lstm_cell_backwardIddlLi2EEEvNS_4cuda6detail10TensorInfoIT_T1_EES9_S9_S9_S9_S9_S9_S8_S8_.kd
    .uniform_work_group_size: 1
    .uses_dynamic_stack: false
    .vgpr_count:     59
    .vgpr_spill_count: 0
    .wavefront_size: 32
    .workgroup_processor_mode: 1
  - .args:
      - .offset:         0
        .size:           216
        .value_kind:     by_value
      - .offset:         216
        .size:           216
        .value_kind:     by_value
      - .offset:         432
        .size:           216
        .value_kind:     by_value
      - .offset:         648
        .size:           216
        .value_kind:     by_value
      - .offset:         864
        .size:           216
        .value_kind:     by_value
      - .offset:         1080
        .size:           216
        .value_kind:     by_value
      - .offset:         1296
        .size:           216
        .value_kind:     by_value
      - .offset:         1512
        .size:           4
        .value_kind:     by_value
      - .offset:         1516
        .size:           4
        .value_kind:     by_value
      - .offset:         1520
        .size:           4
        .value_kind:     hidden_block_count_x
      - .offset:         1524
        .size:           4
        .value_kind:     hidden_block_count_y
      - .offset:         1528
        .size:           4
        .value_kind:     hidden_block_count_z
      - .offset:         1532
        .size:           2
        .value_kind:     hidden_group_size_x
      - .offset:         1534
        .size:           2
        .value_kind:     hidden_group_size_y
      - .offset:         1536
        .size:           2
        .value_kind:     hidden_group_size_z
      - .offset:         1538
        .size:           2
        .value_kind:     hidden_remainder_x
      - .offset:         1540
        .size:           2
        .value_kind:     hidden_remainder_y
      - .offset:         1542
        .size:           2
        .value_kind:     hidden_remainder_z
      - .offset:         1560
        .size:           8
        .value_kind:     hidden_global_offset_x
      - .offset:         1568
        .size:           8
        .value_kind:     hidden_global_offset_y
      - .offset:         1576
        .size:           8
        .value_kind:     hidden_global_offset_z
      - .offset:         1584
        .size:           2
        .value_kind:     hidden_grid_dims
    .group_segment_fixed_size: 0
    .kernarg_segment_align: 8
    .kernarg_segment_size: 1776
    .language:       OpenCL C
    .language_version:
      - 2
      - 0
    .max_flat_workgroup_size: 512
    .name:           _ZN2at6native12_GLOBAL__N_16kernel18lstm_cell_backwardIffiLi1EEEvNS_4cuda6detail10TensorInfoIT_T1_EES9_S9_S9_S9_S9_S9_S8_S8_
    .private_segment_fixed_size: 0
    .sgpr_count:     36
    .sgpr_spill_count: 0
    .symbol:         _ZN2at6native12_GLOBAL__N_16kernel18lstm_cell_backwardIffiLi1EEEvNS_4cuda6detail10TensorInfoIT_T1_EES9_S9_S9_S9_S9_S9_S8_S8_.kd
    .uniform_work_group_size: 1
    .uses_dynamic_stack: false
    .vgpr_count:     29
    .vgpr_spill_count: 0
    .wavefront_size: 32
    .workgroup_processor_mode: 1
  - .args:
      - .offset:         0
        .size:           216
        .value_kind:     by_value
      - .offset:         216
        .size:           216
        .value_kind:     by_value
      - .offset:         432
        .size:           216
        .value_kind:     by_value
      - .offset:         648
        .size:           216
        .value_kind:     by_value
      - .offset:         864
        .size:           216
        .value_kind:     by_value
      - .offset:         1080
        .size:           216
        .value_kind:     by_value
      - .offset:         1296
        .size:           216
        .value_kind:     by_value
      - .offset:         1512
        .size:           4
        .value_kind:     by_value
      - .offset:         1516
        .size:           4
        .value_kind:     by_value
      - .offset:         1520
        .size:           4
        .value_kind:     hidden_block_count_x
      - .offset:         1524
        .size:           4
        .value_kind:     hidden_block_count_y
      - .offset:         1528
        .size:           4
        .value_kind:     hidden_block_count_z
      - .offset:         1532
        .size:           2
        .value_kind:     hidden_group_size_x
      - .offset:         1534
        .size:           2
        .value_kind:     hidden_group_size_y
      - .offset:         1536
        .size:           2
        .value_kind:     hidden_group_size_z
      - .offset:         1538
        .size:           2
        .value_kind:     hidden_remainder_x
      - .offset:         1540
        .size:           2
        .value_kind:     hidden_remainder_y
      - .offset:         1542
        .size:           2
        .value_kind:     hidden_remainder_z
      - .offset:         1560
        .size:           8
        .value_kind:     hidden_global_offset_x
      - .offset:         1568
        .size:           8
        .value_kind:     hidden_global_offset_y
      - .offset:         1576
        .size:           8
        .value_kind:     hidden_global_offset_z
      - .offset:         1584
        .size:           2
        .value_kind:     hidden_grid_dims
    .group_segment_fixed_size: 0
    .kernarg_segment_align: 8
    .kernarg_segment_size: 1776
    .language:       OpenCL C
    .language_version:
      - 2
      - 0
    .max_flat_workgroup_size: 512
    .name:           _ZN2at6native12_GLOBAL__N_16kernel18lstm_cell_backwardIffiLi2EEEvNS_4cuda6detail10TensorInfoIT_T1_EES9_S9_S9_S9_S9_S9_S8_S8_
    .private_segment_fixed_size: 0
    .sgpr_count:     64
    .sgpr_spill_count: 0
    .symbol:         _ZN2at6native12_GLOBAL__N_16kernel18lstm_cell_backwardIffiLi2EEEvNS_4cuda6detail10TensorInfoIT_T1_EES9_S9_S9_S9_S9_S9_S8_S8_.kd
    .uniform_work_group_size: 1
    .uses_dynamic_stack: false
    .vgpr_count:     46
    .vgpr_spill_count: 0
    .wavefront_size: 32
    .workgroup_processor_mode: 1
  - .args:
      - .offset:         0
        .size:           416
        .value_kind:     by_value
      - .offset:         416
        .size:           416
        .value_kind:     by_value
      - .offset:         832
        .size:           416
        .value_kind:     by_value
      - .offset:         1248
        .size:           416
        .value_kind:     by_value
      - .offset:         1664
        .size:           416
        .value_kind:     by_value
      - .offset:         2080
        .size:           416
        .value_kind:     by_value
      - .offset:         2496
        .size:           416
        .value_kind:     by_value
      - .offset:         2912
        .size:           8
        .value_kind:     by_value
      - .offset:         2920
        .size:           8
        .value_kind:     by_value
      - .offset:         2928
        .size:           4
        .value_kind:     hidden_block_count_x
      - .offset:         2932
        .size:           4
        .value_kind:     hidden_block_count_y
      - .offset:         2936
        .size:           4
        .value_kind:     hidden_block_count_z
      - .offset:         2940
        .size:           2
        .value_kind:     hidden_group_size_x
      - .offset:         2942
        .size:           2
        .value_kind:     hidden_group_size_y
      - .offset:         2944
        .size:           2
        .value_kind:     hidden_group_size_z
      - .offset:         2946
        .size:           2
        .value_kind:     hidden_remainder_x
      - .offset:         2948
        .size:           2
        .value_kind:     hidden_remainder_y
      - .offset:         2950
        .size:           2
        .value_kind:     hidden_remainder_z
      - .offset:         2968
        .size:           8
        .value_kind:     hidden_global_offset_x
      - .offset:         2976
        .size:           8
        .value_kind:     hidden_global_offset_y
      - .offset:         2984
        .size:           8
        .value_kind:     hidden_global_offset_z
      - .offset:         2992
        .size:           2
        .value_kind:     hidden_grid_dims
    .group_segment_fixed_size: 0
    .kernarg_segment_align: 8
    .kernarg_segment_size: 3184
    .language:       OpenCL C
    .language_version:
      - 2
      - 0
    .max_flat_workgroup_size: 512
    .name:           _ZN2at6native12_GLOBAL__N_16kernel18lstm_cell_backwardIfflLi1EEEvNS_4cuda6detail10TensorInfoIT_T1_EES9_S9_S9_S9_S9_S9_S8_S8_
    .private_segment_fixed_size: 0
    .sgpr_count:     47
    .sgpr_spill_count: 0
    .symbol:         _ZN2at6native12_GLOBAL__N_16kernel18lstm_cell_backwardIfflLi1EEEvNS_4cuda6detail10TensorInfoIT_T1_EES9_S9_S9_S9_S9_S9_S8_S8_.kd
    .uniform_work_group_size: 1
    .uses_dynamic_stack: false
    .vgpr_count:     34
    .vgpr_spill_count: 0
    .wavefront_size: 32
    .workgroup_processor_mode: 1
  - .args:
      - .offset:         0
        .size:           416
        .value_kind:     by_value
      - .offset:         416
        .size:           416
        .value_kind:     by_value
      - .offset:         832
        .size:           416
        .value_kind:     by_value
      - .offset:         1248
        .size:           416
        .value_kind:     by_value
      - .offset:         1664
        .size:           416
        .value_kind:     by_value
      - .offset:         2080
        .size:           416
        .value_kind:     by_value
      - .offset:         2496
        .size:           416
        .value_kind:     by_value
      - .offset:         2912
        .size:           8
        .value_kind:     by_value
      - .offset:         2920
        .size:           8
        .value_kind:     by_value
      - .offset:         2928
        .size:           4
        .value_kind:     hidden_block_count_x
      - .offset:         2932
        .size:           4
        .value_kind:     hidden_block_count_y
      - .offset:         2936
        .size:           4
        .value_kind:     hidden_block_count_z
      - .offset:         2940
        .size:           2
        .value_kind:     hidden_group_size_x
      - .offset:         2942
        .size:           2
        .value_kind:     hidden_group_size_y
      - .offset:         2944
        .size:           2
        .value_kind:     hidden_group_size_z
      - .offset:         2946
        .size:           2
        .value_kind:     hidden_remainder_x
      - .offset:         2948
        .size:           2
        .value_kind:     hidden_remainder_y
      - .offset:         2950
        .size:           2
        .value_kind:     hidden_remainder_z
      - .offset:         2968
        .size:           8
        .value_kind:     hidden_global_offset_x
      - .offset:         2976
        .size:           8
        .value_kind:     hidden_global_offset_y
      - .offset:         2984
        .size:           8
        .value_kind:     hidden_global_offset_z
      - .offset:         2992
        .size:           2
        .value_kind:     hidden_grid_dims
    .group_segment_fixed_size: 0
    .kernarg_segment_align: 8
    .kernarg_segment_size: 3184
    .language:       OpenCL C
    .language_version:
      - 2
      - 0
    .max_flat_workgroup_size: 512
    .name:           _ZN2at6native12_GLOBAL__N_16kernel18lstm_cell_backwardIfflLi2EEEvNS_4cuda6detail10TensorInfoIT_T1_EES9_S9_S9_S9_S9_S9_S8_S8_
    .private_segment_fixed_size: 0
    .sgpr_count:     95
    .sgpr_spill_count: 0
    .symbol:         _ZN2at6native12_GLOBAL__N_16kernel18lstm_cell_backwardIfflLi2EEEvNS_4cuda6detail10TensorInfoIT_T1_EES9_S9_S9_S9_S9_S9_S8_S8_.kd
    .uniform_work_group_size: 1
    .uses_dynamic_stack: false
    .vgpr_count:     42
    .vgpr_spill_count: 0
    .wavefront_size: 32
    .workgroup_processor_mode: 1
  - .args:
      - .offset:         0
        .size:           216
        .value_kind:     by_value
      - .offset:         216
        .size:           216
        .value_kind:     by_value
      - .offset:         432
        .size:           216
        .value_kind:     by_value
      - .offset:         648
        .size:           216
        .value_kind:     by_value
      - .offset:         864
        .size:           216
        .value_kind:     by_value
      - .offset:         1080
        .size:           216
        .value_kind:     by_value
      - .offset:         1296
        .size:           216
        .value_kind:     by_value
      - .offset:         1512
        .size:           4
        .value_kind:     by_value
      - .offset:         1516
        .size:           4
        .value_kind:     by_value
      - .offset:         1520
        .size:           4
        .value_kind:     hidden_block_count_x
      - .offset:         1524
        .size:           4
        .value_kind:     hidden_block_count_y
      - .offset:         1528
        .size:           4
        .value_kind:     hidden_block_count_z
      - .offset:         1532
        .size:           2
        .value_kind:     hidden_group_size_x
      - .offset:         1534
        .size:           2
        .value_kind:     hidden_group_size_y
      - .offset:         1536
        .size:           2
        .value_kind:     hidden_group_size_z
      - .offset:         1538
        .size:           2
        .value_kind:     hidden_remainder_x
      - .offset:         1540
        .size:           2
        .value_kind:     hidden_remainder_y
      - .offset:         1542
        .size:           2
        .value_kind:     hidden_remainder_z
      - .offset:         1560
        .size:           8
        .value_kind:     hidden_global_offset_x
      - .offset:         1568
        .size:           8
        .value_kind:     hidden_global_offset_y
      - .offset:         1576
        .size:           8
        .value_kind:     hidden_global_offset_z
      - .offset:         1584
        .size:           2
        .value_kind:     hidden_grid_dims
    .group_segment_fixed_size: 0
    .kernarg_segment_align: 8
    .kernarg_segment_size: 1776
    .language:       OpenCL C
    .language_version:
      - 2
      - 0
    .max_flat_workgroup_size: 512
    .name:           _ZN2at6native12_GLOBAL__N_16kernel18lstm_cell_backwardIN3c104HalfEfiLi1EEEvNS_4cuda6detail10TensorInfoIT_T1_EESB_SB_SB_SB_SB_SB_SA_SA_
    .private_segment_fixed_size: 0
    .sgpr_count:     37
    .sgpr_spill_count: 0
    .symbol:         _ZN2at6native12_GLOBAL__N_16kernel18lstm_cell_backwardIN3c104HalfEfiLi1EEEvNS_4cuda6detail10TensorInfoIT_T1_EESB_SB_SB_SB_SB_SB_SA_SA_.kd
    .uniform_work_group_size: 1
    .uses_dynamic_stack: false
    .vgpr_count:     31
    .vgpr_spill_count: 0
    .wavefront_size: 32
    .workgroup_processor_mode: 1
  - .args:
      - .offset:         0
        .size:           216
        .value_kind:     by_value
      - .offset:         216
        .size:           216
        .value_kind:     by_value
      - .offset:         432
        .size:           216
        .value_kind:     by_value
      - .offset:         648
        .size:           216
        .value_kind:     by_value
      - .offset:         864
        .size:           216
        .value_kind:     by_value
      - .offset:         1080
        .size:           216
        .value_kind:     by_value
      - .offset:         1296
        .size:           216
        .value_kind:     by_value
      - .offset:         1512
        .size:           4
        .value_kind:     by_value
      - .offset:         1516
        .size:           4
        .value_kind:     by_value
      - .offset:         1520
        .size:           4
        .value_kind:     hidden_block_count_x
      - .offset:         1524
        .size:           4
        .value_kind:     hidden_block_count_y
      - .offset:         1528
        .size:           4
        .value_kind:     hidden_block_count_z
      - .offset:         1532
        .size:           2
        .value_kind:     hidden_group_size_x
      - .offset:         1534
        .size:           2
        .value_kind:     hidden_group_size_y
      - .offset:         1536
        .size:           2
        .value_kind:     hidden_group_size_z
      - .offset:         1538
        .size:           2
        .value_kind:     hidden_remainder_x
      - .offset:         1540
        .size:           2
        .value_kind:     hidden_remainder_y
      - .offset:         1542
        .size:           2
        .value_kind:     hidden_remainder_z
      - .offset:         1560
        .size:           8
        .value_kind:     hidden_global_offset_x
      - .offset:         1568
        .size:           8
        .value_kind:     hidden_global_offset_y
      - .offset:         1576
        .size:           8
        .value_kind:     hidden_global_offset_z
      - .offset:         1584
        .size:           2
        .value_kind:     hidden_grid_dims
    .group_segment_fixed_size: 0
    .kernarg_segment_align: 8
    .kernarg_segment_size: 1776
    .language:       OpenCL C
    .language_version:
      - 2
      - 0
    .max_flat_workgroup_size: 512
    .name:           _ZN2at6native12_GLOBAL__N_16kernel18lstm_cell_backwardIN3c104HalfEfiLi2EEEvNS_4cuda6detail10TensorInfoIT_T1_EESB_SB_SB_SB_SB_SB_SA_SA_
    .private_segment_fixed_size: 0
    .sgpr_count:     65
    .sgpr_spill_count: 0
    .symbol:         _ZN2at6native12_GLOBAL__N_16kernel18lstm_cell_backwardIN3c104HalfEfiLi2EEEvNS_4cuda6detail10TensorInfoIT_T1_EESB_SB_SB_SB_SB_SB_SA_SA_.kd
    .uniform_work_group_size: 1
    .uses_dynamic_stack: false
    .vgpr_count:     45
    .vgpr_spill_count: 0
    .wavefront_size: 32
    .workgroup_processor_mode: 1
  - .args:
      - .offset:         0
        .size:           416
        .value_kind:     by_value
      - .offset:         416
        .size:           416
        .value_kind:     by_value
      - .offset:         832
        .size:           416
        .value_kind:     by_value
      - .offset:         1248
        .size:           416
        .value_kind:     by_value
      - .offset:         1664
        .size:           416
        .value_kind:     by_value
      - .offset:         2080
        .size:           416
        .value_kind:     by_value
      - .offset:         2496
        .size:           416
        .value_kind:     by_value
      - .offset:         2912
        .size:           8
        .value_kind:     by_value
      - .offset:         2920
        .size:           8
        .value_kind:     by_value
      - .offset:         2928
        .size:           4
        .value_kind:     hidden_block_count_x
      - .offset:         2932
        .size:           4
        .value_kind:     hidden_block_count_y
      - .offset:         2936
        .size:           4
        .value_kind:     hidden_block_count_z
      - .offset:         2940
        .size:           2
        .value_kind:     hidden_group_size_x
      - .offset:         2942
        .size:           2
        .value_kind:     hidden_group_size_y
      - .offset:         2944
        .size:           2
        .value_kind:     hidden_group_size_z
      - .offset:         2946
        .size:           2
        .value_kind:     hidden_remainder_x
      - .offset:         2948
        .size:           2
        .value_kind:     hidden_remainder_y
      - .offset:         2950
        .size:           2
        .value_kind:     hidden_remainder_z
      - .offset:         2968
        .size:           8
        .value_kind:     hidden_global_offset_x
      - .offset:         2976
        .size:           8
        .value_kind:     hidden_global_offset_y
      - .offset:         2984
        .size:           8
        .value_kind:     hidden_global_offset_z
      - .offset:         2992
        .size:           2
        .value_kind:     hidden_grid_dims
    .group_segment_fixed_size: 0
    .kernarg_segment_align: 8
    .kernarg_segment_size: 3184
    .language:       OpenCL C
    .language_version:
      - 2
      - 0
    .max_flat_workgroup_size: 512
    .name:           _ZN2at6native12_GLOBAL__N_16kernel18lstm_cell_backwardIN3c104HalfEflLi1EEEvNS_4cuda6detail10TensorInfoIT_T1_EESB_SB_SB_SB_SB_SB_SA_SA_
    .private_segment_fixed_size: 0
    .sgpr_count:     48
    .sgpr_spill_count: 0
    .symbol:         _ZN2at6native12_GLOBAL__N_16kernel18lstm_cell_backwardIN3c104HalfEflLi1EEEvNS_4cuda6detail10TensorInfoIT_T1_EESB_SB_SB_SB_SB_SB_SA_SA_.kd
    .uniform_work_group_size: 1
    .uses_dynamic_stack: false
    .vgpr_count:     35
    .vgpr_spill_count: 0
    .wavefront_size: 32
    .workgroup_processor_mode: 1
  - .args:
      - .offset:         0
        .size:           416
        .value_kind:     by_value
      - .offset:         416
        .size:           416
        .value_kind:     by_value
      - .offset:         832
        .size:           416
        .value_kind:     by_value
      - .offset:         1248
        .size:           416
        .value_kind:     by_value
      - .offset:         1664
        .size:           416
        .value_kind:     by_value
      - .offset:         2080
        .size:           416
        .value_kind:     by_value
      - .offset:         2496
        .size:           416
        .value_kind:     by_value
      - .offset:         2912
        .size:           8
        .value_kind:     by_value
      - .offset:         2920
        .size:           8
        .value_kind:     by_value
      - .offset:         2928
        .size:           4
        .value_kind:     hidden_block_count_x
      - .offset:         2932
        .size:           4
        .value_kind:     hidden_block_count_y
      - .offset:         2936
        .size:           4
        .value_kind:     hidden_block_count_z
      - .offset:         2940
        .size:           2
        .value_kind:     hidden_group_size_x
      - .offset:         2942
        .size:           2
        .value_kind:     hidden_group_size_y
      - .offset:         2944
        .size:           2
        .value_kind:     hidden_group_size_z
      - .offset:         2946
        .size:           2
        .value_kind:     hidden_remainder_x
      - .offset:         2948
        .size:           2
        .value_kind:     hidden_remainder_y
      - .offset:         2950
        .size:           2
        .value_kind:     hidden_remainder_z
      - .offset:         2968
        .size:           8
        .value_kind:     hidden_global_offset_x
      - .offset:         2976
        .size:           8
        .value_kind:     hidden_global_offset_y
      - .offset:         2984
        .size:           8
        .value_kind:     hidden_global_offset_z
      - .offset:         2992
        .size:           2
        .value_kind:     hidden_grid_dims
    .group_segment_fixed_size: 0
    .kernarg_segment_align: 8
    .kernarg_segment_size: 3184
    .language:       OpenCL C
    .language_version:
      - 2
      - 0
    .max_flat_workgroup_size: 512
    .name:           _ZN2at6native12_GLOBAL__N_16kernel18lstm_cell_backwardIN3c104HalfEflLi2EEEvNS_4cuda6detail10TensorInfoIT_T1_EESB_SB_SB_SB_SB_SB_SA_SA_
    .private_segment_fixed_size: 0
    .sgpr_count:     96
    .sgpr_spill_count: 0
    .symbol:         _ZN2at6native12_GLOBAL__N_16kernel18lstm_cell_backwardIN3c104HalfEflLi2EEEvNS_4cuda6detail10TensorInfoIT_T1_EESB_SB_SB_SB_SB_SB_SA_SA_.kd
    .uniform_work_group_size: 1
    .uses_dynamic_stack: false
    .vgpr_count:     42
    .vgpr_spill_count: 0
    .wavefront_size: 32
    .workgroup_processor_mode: 1
  - .args:
      - .offset:         0
        .size:           216
        .value_kind:     by_value
      - .offset:         216
        .size:           216
        .value_kind:     by_value
      - .offset:         432
        .size:           216
        .value_kind:     by_value
      - .offset:         648
        .size:           216
        .value_kind:     by_value
      - .offset:         864
        .size:           216
        .value_kind:     by_value
      - .offset:         1080
        .size:           216
        .value_kind:     by_value
      - .offset:         1296
        .size:           216
        .value_kind:     by_value
      - .offset:         1512
        .size:           4
        .value_kind:     by_value
      - .offset:         1516
        .size:           4
        .value_kind:     by_value
      - .offset:         1520
        .size:           4
        .value_kind:     hidden_block_count_x
      - .offset:         1524
        .size:           4
        .value_kind:     hidden_block_count_y
      - .offset:         1528
        .size:           4
        .value_kind:     hidden_block_count_z
      - .offset:         1532
        .size:           2
        .value_kind:     hidden_group_size_x
      - .offset:         1534
        .size:           2
        .value_kind:     hidden_group_size_y
      - .offset:         1536
        .size:           2
        .value_kind:     hidden_group_size_z
      - .offset:         1538
        .size:           2
        .value_kind:     hidden_remainder_x
      - .offset:         1540
        .size:           2
        .value_kind:     hidden_remainder_y
      - .offset:         1542
        .size:           2
        .value_kind:     hidden_remainder_z
      - .offset:         1560
        .size:           8
        .value_kind:     hidden_global_offset_x
      - .offset:         1568
        .size:           8
        .value_kind:     hidden_global_offset_y
      - .offset:         1576
        .size:           8
        .value_kind:     hidden_global_offset_z
      - .offset:         1584
        .size:           2
        .value_kind:     hidden_grid_dims
    .group_segment_fixed_size: 0
    .kernarg_segment_align: 8
    .kernarg_segment_size: 1776
    .language:       OpenCL C
    .language_version:
      - 2
      - 0
    .max_flat_workgroup_size: 512
    .name:           _ZN2at6native12_GLOBAL__N_16kernel18lstm_cell_backwardIN3c108BFloat16EfiLi1EEEvNS_4cuda6detail10TensorInfoIT_T1_EESB_SB_SB_SB_SB_SB_SA_SA_
    .private_segment_fixed_size: 0
    .sgpr_count:     36
    .sgpr_spill_count: 0
    .symbol:         _ZN2at6native12_GLOBAL__N_16kernel18lstm_cell_backwardIN3c108BFloat16EfiLi1EEEvNS_4cuda6detail10TensorInfoIT_T1_EESB_SB_SB_SB_SB_SB_SA_SA_.kd
    .uniform_work_group_size: 1
    .uses_dynamic_stack: false
    .vgpr_count:     30
    .vgpr_spill_count: 0
    .wavefront_size: 32
    .workgroup_processor_mode: 1
  - .args:
      - .offset:         0
        .size:           216
        .value_kind:     by_value
      - .offset:         216
        .size:           216
        .value_kind:     by_value
      - .offset:         432
        .size:           216
        .value_kind:     by_value
      - .offset:         648
        .size:           216
        .value_kind:     by_value
      - .offset:         864
        .size:           216
        .value_kind:     by_value
      - .offset:         1080
        .size:           216
        .value_kind:     by_value
      - .offset:         1296
        .size:           216
        .value_kind:     by_value
      - .offset:         1512
        .size:           4
        .value_kind:     by_value
      - .offset:         1516
        .size:           4
        .value_kind:     by_value
      - .offset:         1520
        .size:           4
        .value_kind:     hidden_block_count_x
      - .offset:         1524
        .size:           4
        .value_kind:     hidden_block_count_y
      - .offset:         1528
        .size:           4
        .value_kind:     hidden_block_count_z
      - .offset:         1532
        .size:           2
        .value_kind:     hidden_group_size_x
      - .offset:         1534
        .size:           2
        .value_kind:     hidden_group_size_y
      - .offset:         1536
        .size:           2
        .value_kind:     hidden_group_size_z
      - .offset:         1538
        .size:           2
        .value_kind:     hidden_remainder_x
      - .offset:         1540
        .size:           2
        .value_kind:     hidden_remainder_y
      - .offset:         1542
        .size:           2
        .value_kind:     hidden_remainder_z
      - .offset:         1560
        .size:           8
        .value_kind:     hidden_global_offset_x
      - .offset:         1568
        .size:           8
        .value_kind:     hidden_global_offset_y
      - .offset:         1576
        .size:           8
        .value_kind:     hidden_global_offset_z
      - .offset:         1584
        .size:           2
        .value_kind:     hidden_grid_dims
    .group_segment_fixed_size: 0
    .kernarg_segment_align: 8
    .kernarg_segment_size: 1776
    .language:       OpenCL C
    .language_version:
      - 2
      - 0
    .max_flat_workgroup_size: 512
    .name:           _ZN2at6native12_GLOBAL__N_16kernel18lstm_cell_backwardIN3c108BFloat16EfiLi2EEEvNS_4cuda6detail10TensorInfoIT_T1_EESB_SB_SB_SB_SB_SB_SA_SA_
    .private_segment_fixed_size: 0
    .sgpr_count:     64
    .sgpr_spill_count: 0
    .symbol:         _ZN2at6native12_GLOBAL__N_16kernel18lstm_cell_backwardIN3c108BFloat16EfiLi2EEEvNS_4cuda6detail10TensorInfoIT_T1_EESB_SB_SB_SB_SB_SB_SA_SA_.kd
    .uniform_work_group_size: 1
    .uses_dynamic_stack: false
    .vgpr_count:     45
    .vgpr_spill_count: 0
    .wavefront_size: 32
    .workgroup_processor_mode: 1
  - .args:
      - .offset:         0
        .size:           416
        .value_kind:     by_value
      - .offset:         416
        .size:           416
        .value_kind:     by_value
      - .offset:         832
        .size:           416
        .value_kind:     by_value
      - .offset:         1248
        .size:           416
        .value_kind:     by_value
      - .offset:         1664
        .size:           416
        .value_kind:     by_value
      - .offset:         2080
        .size:           416
        .value_kind:     by_value
      - .offset:         2496
        .size:           416
        .value_kind:     by_value
      - .offset:         2912
        .size:           8
        .value_kind:     by_value
      - .offset:         2920
        .size:           8
        .value_kind:     by_value
      - .offset:         2928
        .size:           4
        .value_kind:     hidden_block_count_x
      - .offset:         2932
        .size:           4
        .value_kind:     hidden_block_count_y
      - .offset:         2936
        .size:           4
        .value_kind:     hidden_block_count_z
      - .offset:         2940
        .size:           2
        .value_kind:     hidden_group_size_x
      - .offset:         2942
        .size:           2
        .value_kind:     hidden_group_size_y
      - .offset:         2944
        .size:           2
        .value_kind:     hidden_group_size_z
      - .offset:         2946
        .size:           2
        .value_kind:     hidden_remainder_x
      - .offset:         2948
        .size:           2
        .value_kind:     hidden_remainder_y
      - .offset:         2950
        .size:           2
        .value_kind:     hidden_remainder_z
      - .offset:         2968
        .size:           8
        .value_kind:     hidden_global_offset_x
      - .offset:         2976
        .size:           8
        .value_kind:     hidden_global_offset_y
      - .offset:         2984
        .size:           8
        .value_kind:     hidden_global_offset_z
      - .offset:         2992
        .size:           2
        .value_kind:     hidden_grid_dims
    .group_segment_fixed_size: 0
    .kernarg_segment_align: 8
    .kernarg_segment_size: 3184
    .language:       OpenCL C
    .language_version:
      - 2
      - 0
    .max_flat_workgroup_size: 512
    .name:           _ZN2at6native12_GLOBAL__N_16kernel18lstm_cell_backwardIN3c108BFloat16EflLi1EEEvNS_4cuda6detail10TensorInfoIT_T1_EESB_SB_SB_SB_SB_SB_SA_SA_
    .private_segment_fixed_size: 0
    .sgpr_count:     47
    .sgpr_spill_count: 0
    .symbol:         _ZN2at6native12_GLOBAL__N_16kernel18lstm_cell_backwardIN3c108BFloat16EflLi1EEEvNS_4cuda6detail10TensorInfoIT_T1_EESB_SB_SB_SB_SB_SB_SA_SA_.kd
    .uniform_work_group_size: 1
    .uses_dynamic_stack: false
    .vgpr_count:     34
    .vgpr_spill_count: 0
    .wavefront_size: 32
    .workgroup_processor_mode: 1
  - .args:
      - .offset:         0
        .size:           416
        .value_kind:     by_value
      - .offset:         416
        .size:           416
        .value_kind:     by_value
      - .offset:         832
        .size:           416
        .value_kind:     by_value
      - .offset:         1248
        .size:           416
        .value_kind:     by_value
      - .offset:         1664
        .size:           416
        .value_kind:     by_value
      - .offset:         2080
        .size:           416
        .value_kind:     by_value
      - .offset:         2496
        .size:           416
        .value_kind:     by_value
      - .offset:         2912
        .size:           8
        .value_kind:     by_value
      - .offset:         2920
        .size:           8
        .value_kind:     by_value
      - .offset:         2928
        .size:           4
        .value_kind:     hidden_block_count_x
      - .offset:         2932
        .size:           4
        .value_kind:     hidden_block_count_y
      - .offset:         2936
        .size:           4
        .value_kind:     hidden_block_count_z
      - .offset:         2940
        .size:           2
        .value_kind:     hidden_group_size_x
      - .offset:         2942
        .size:           2
        .value_kind:     hidden_group_size_y
      - .offset:         2944
        .size:           2
        .value_kind:     hidden_group_size_z
      - .offset:         2946
        .size:           2
        .value_kind:     hidden_remainder_x
      - .offset:         2948
        .size:           2
        .value_kind:     hidden_remainder_y
      - .offset:         2950
        .size:           2
        .value_kind:     hidden_remainder_z
      - .offset:         2968
        .size:           8
        .value_kind:     hidden_global_offset_x
      - .offset:         2976
        .size:           8
        .value_kind:     hidden_global_offset_y
      - .offset:         2984
        .size:           8
        .value_kind:     hidden_global_offset_z
      - .offset:         2992
        .size:           2
        .value_kind:     hidden_grid_dims
    .group_segment_fixed_size: 0
    .kernarg_segment_align: 8
    .kernarg_segment_size: 3184
    .language:       OpenCL C
    .language_version:
      - 2
      - 0
    .max_flat_workgroup_size: 512
    .name:           _ZN2at6native12_GLOBAL__N_16kernel18lstm_cell_backwardIN3c108BFloat16EflLi2EEEvNS_4cuda6detail10TensorInfoIT_T1_EESB_SB_SB_SB_SB_SB_SA_SA_
    .private_segment_fixed_size: 0
    .sgpr_count:     95
    .sgpr_spill_count: 0
    .symbol:         _ZN2at6native12_GLOBAL__N_16kernel18lstm_cell_backwardIN3c108BFloat16EflLi2EEEvNS_4cuda6detail10TensorInfoIT_T1_EESB_SB_SB_SB_SB_SB_SA_SA_.kd
    .uniform_work_group_size: 1
    .uses_dynamic_stack: false
    .vgpr_count:     44
    .vgpr_spill_count: 0
    .wavefront_size: 32
    .workgroup_processor_mode: 1
  - .args:
      - .offset:         0
        .size:           216
        .value_kind:     by_value
      - .offset:         216
        .size:           216
        .value_kind:     by_value
      - .offset:         432
        .size:           216
        .value_kind:     by_value
      - .offset:         648
        .size:           216
        .value_kind:     by_value
      - .offset:         864
        .size:           216
        .value_kind:     by_value
      - .offset:         1080
        .size:           216
        .value_kind:     by_value
      - .offset:         1296
        .size:           216
        .value_kind:     by_value
      - .offset:         1512
        .size:           4
        .value_kind:     by_value
      - .offset:         1516
        .size:           4
        .value_kind:     by_value
      - .offset:         1520
        .size:           4
        .value_kind:     hidden_block_count_x
      - .offset:         1524
        .size:           4
        .value_kind:     hidden_block_count_y
      - .offset:         1528
        .size:           4
        .value_kind:     hidden_block_count_z
      - .offset:         1532
        .size:           2
        .value_kind:     hidden_group_size_x
      - .offset:         1534
        .size:           2
        .value_kind:     hidden_group_size_y
      - .offset:         1536
        .size:           2
        .value_kind:     hidden_group_size_z
      - .offset:         1538
        .size:           2
        .value_kind:     hidden_remainder_x
      - .offset:         1540
        .size:           2
        .value_kind:     hidden_remainder_y
      - .offset:         1542
        .size:           2
        .value_kind:     hidden_remainder_z
      - .offset:         1560
        .size:           8
        .value_kind:     hidden_global_offset_x
      - .offset:         1568
        .size:           8
        .value_kind:     hidden_global_offset_y
      - .offset:         1576
        .size:           8
        .value_kind:     hidden_global_offset_z
      - .offset:         1584
        .size:           2
        .value_kind:     hidden_grid_dims
    .group_segment_fixed_size: 0
    .kernarg_segment_align: 8
    .kernarg_segment_size: 1776
    .language:       OpenCL C
    .language_version:
      - 2
      - 0
    .max_flat_workgroup_size: 512
    .name:           _ZN2at6native12_GLOBAL__N_16kernel16gru_cell_forwardIddiLi1EEEvNS_4cuda6detail10TensorInfoIT_T1_EES9_S9_S9_S9_S9_S9_S8_S8_
    .private_segment_fixed_size: 0
    .sgpr_count:     70
    .sgpr_spill_count: 0
    .symbol:         _ZN2at6native12_GLOBAL__N_16kernel16gru_cell_forwardIddiLi1EEEvNS_4cuda6detail10TensorInfoIT_T1_EES9_S9_S9_S9_S9_S9_S8_S8_.kd
    .uniform_work_group_size: 1
    .uses_dynamic_stack: false
    .vgpr_count:     46
    .vgpr_spill_count: 0
    .wavefront_size: 32
    .workgroup_processor_mode: 1
  - .args:
      - .offset:         0
        .size:           216
        .value_kind:     by_value
      - .offset:         216
        .size:           216
        .value_kind:     by_value
      - .offset:         432
        .size:           216
        .value_kind:     by_value
      - .offset:         648
        .size:           216
        .value_kind:     by_value
      - .offset:         864
        .size:           216
        .value_kind:     by_value
      - .offset:         1080
        .size:           216
        .value_kind:     by_value
      - .offset:         1296
        .size:           216
        .value_kind:     by_value
      - .offset:         1512
        .size:           4
        .value_kind:     by_value
      - .offset:         1516
        .size:           4
        .value_kind:     by_value
      - .offset:         1520
        .size:           4
        .value_kind:     hidden_block_count_x
      - .offset:         1524
        .size:           4
        .value_kind:     hidden_block_count_y
      - .offset:         1528
        .size:           4
        .value_kind:     hidden_block_count_z
      - .offset:         1532
        .size:           2
        .value_kind:     hidden_group_size_x
      - .offset:         1534
        .size:           2
        .value_kind:     hidden_group_size_y
      - .offset:         1536
        .size:           2
        .value_kind:     hidden_group_size_z
      - .offset:         1538
        .size:           2
        .value_kind:     hidden_remainder_x
      - .offset:         1540
        .size:           2
        .value_kind:     hidden_remainder_y
      - .offset:         1542
        .size:           2
        .value_kind:     hidden_remainder_z
      - .offset:         1560
        .size:           8
        .value_kind:     hidden_global_offset_x
      - .offset:         1568
        .size:           8
        .value_kind:     hidden_global_offset_y
      - .offset:         1576
        .size:           8
        .value_kind:     hidden_global_offset_z
      - .offset:         1584
        .size:           2
        .value_kind:     hidden_grid_dims
    .group_segment_fixed_size: 0
    .kernarg_segment_align: 8
    .kernarg_segment_size: 1776
    .language:       OpenCL C
    .language_version:
      - 2
      - 0
    .max_flat_workgroup_size: 512
    .name:           _ZN2at6native12_GLOBAL__N_16kernel16gru_cell_forwardIddiLi2EEEvNS_4cuda6detail10TensorInfoIT_T1_EES9_S9_S9_S9_S9_S9_S8_S8_
    .private_segment_fixed_size: 0
    .sgpr_count:     92
    .sgpr_spill_count: 0
    .symbol:         _ZN2at6native12_GLOBAL__N_16kernel16gru_cell_forwardIddiLi2EEEvNS_4cuda6detail10TensorInfoIT_T1_EES9_S9_S9_S9_S9_S9_S8_S8_.kd
    .uniform_work_group_size: 1
    .uses_dynamic_stack: false
    .vgpr_count:     63
    .vgpr_spill_count: 0
    .wavefront_size: 32
    .workgroup_processor_mode: 1
  - .args:
      - .offset:         0
        .size:           416
        .value_kind:     by_value
      - .offset:         416
        .size:           416
        .value_kind:     by_value
      - .offset:         832
        .size:           416
        .value_kind:     by_value
      - .offset:         1248
        .size:           416
        .value_kind:     by_value
      - .offset:         1664
        .size:           416
        .value_kind:     by_value
      - .offset:         2080
        .size:           416
        .value_kind:     by_value
      - .offset:         2496
        .size:           416
        .value_kind:     by_value
      - .offset:         2912
        .size:           8
        .value_kind:     by_value
      - .offset:         2920
        .size:           8
        .value_kind:     by_value
      - .offset:         2928
        .size:           4
        .value_kind:     hidden_block_count_x
      - .offset:         2932
        .size:           4
        .value_kind:     hidden_block_count_y
      - .offset:         2936
        .size:           4
        .value_kind:     hidden_block_count_z
      - .offset:         2940
        .size:           2
        .value_kind:     hidden_group_size_x
      - .offset:         2942
        .size:           2
        .value_kind:     hidden_group_size_y
      - .offset:         2944
        .size:           2
        .value_kind:     hidden_group_size_z
      - .offset:         2946
        .size:           2
        .value_kind:     hidden_remainder_x
      - .offset:         2948
        .size:           2
        .value_kind:     hidden_remainder_y
      - .offset:         2950
        .size:           2
        .value_kind:     hidden_remainder_z
      - .offset:         2968
        .size:           8
        .value_kind:     hidden_global_offset_x
      - .offset:         2976
        .size:           8
        .value_kind:     hidden_global_offset_y
      - .offset:         2984
        .size:           8
        .value_kind:     hidden_global_offset_z
      - .offset:         2992
        .size:           2
        .value_kind:     hidden_grid_dims
    .group_segment_fixed_size: 0
    .kernarg_segment_align: 8
    .kernarg_segment_size: 3184
    .language:       OpenCL C
    .language_version:
      - 2
      - 0
    .max_flat_workgroup_size: 512
    .name:           _ZN2at6native12_GLOBAL__N_16kernel16gru_cell_forwardIddlLi1EEEvNS_4cuda6detail10TensorInfoIT_T1_EES9_S9_S9_S9_S9_S9_S8_S8_
    .private_segment_fixed_size: 0
    .sgpr_count:     87
    .sgpr_spill_count: 0
    .symbol:         _ZN2at6native12_GLOBAL__N_16kernel16gru_cell_forwardIddlLi1EEEvNS_4cuda6detail10TensorInfoIT_T1_EES9_S9_S9_S9_S9_S9_S8_S8_.kd
    .uniform_work_group_size: 1
    .uses_dynamic_stack: false
    .vgpr_count:     49
    .vgpr_spill_count: 0
    .wavefront_size: 32
    .workgroup_processor_mode: 1
  - .args:
      - .offset:         0
        .size:           416
        .value_kind:     by_value
      - .offset:         416
        .size:           416
        .value_kind:     by_value
      - .offset:         832
        .size:           416
        .value_kind:     by_value
      - .offset:         1248
        .size:           416
        .value_kind:     by_value
      - .offset:         1664
        .size:           416
        .value_kind:     by_value
      - .offset:         2080
        .size:           416
        .value_kind:     by_value
      - .offset:         2496
        .size:           416
        .value_kind:     by_value
      - .offset:         2912
        .size:           8
        .value_kind:     by_value
      - .offset:         2920
        .size:           8
        .value_kind:     by_value
      - .offset:         2928
        .size:           4
        .value_kind:     hidden_block_count_x
      - .offset:         2932
        .size:           4
        .value_kind:     hidden_block_count_y
      - .offset:         2936
        .size:           4
        .value_kind:     hidden_block_count_z
      - .offset:         2940
        .size:           2
        .value_kind:     hidden_group_size_x
      - .offset:         2942
        .size:           2
        .value_kind:     hidden_group_size_y
      - .offset:         2944
        .size:           2
        .value_kind:     hidden_group_size_z
      - .offset:         2946
        .size:           2
        .value_kind:     hidden_remainder_x
      - .offset:         2948
        .size:           2
        .value_kind:     hidden_remainder_y
      - .offset:         2950
        .size:           2
        .value_kind:     hidden_remainder_z
      - .offset:         2968
        .size:           8
        .value_kind:     hidden_global_offset_x
      - .offset:         2976
        .size:           8
        .value_kind:     hidden_global_offset_y
      - .offset:         2984
        .size:           8
        .value_kind:     hidden_global_offset_z
      - .offset:         2992
        .size:           2
        .value_kind:     hidden_grid_dims
    .group_segment_fixed_size: 0
    .kernarg_segment_align: 8
    .kernarg_segment_size: 3184
    .language:       OpenCL C
    .language_version:
      - 2
      - 0
    .max_flat_workgroup_size: 512
    .name:           _ZN2at6native12_GLOBAL__N_16kernel16gru_cell_forwardIddlLi2EEEvNS_4cuda6detail10TensorInfoIT_T1_EES9_S9_S9_S9_S9_S9_S8_S8_
    .private_segment_fixed_size: 0
    .sgpr_count:     107
    .sgpr_spill_count: 5
    .symbol:         _ZN2at6native12_GLOBAL__N_16kernel16gru_cell_forwardIddlLi2EEEvNS_4cuda6detail10TensorInfoIT_T1_EES9_S9_S9_S9_S9_S9_S8_S8_.kd
    .uniform_work_group_size: 1
    .uses_dynamic_stack: false
    .vgpr_count:     48
    .vgpr_spill_count: 0
    .wavefront_size: 32
    .workgroup_processor_mode: 1
  - .args:
      - .offset:         0
        .size:           216
        .value_kind:     by_value
      - .offset:         216
        .size:           216
        .value_kind:     by_value
      - .offset:         432
        .size:           216
        .value_kind:     by_value
      - .offset:         648
        .size:           216
        .value_kind:     by_value
      - .offset:         864
        .size:           216
        .value_kind:     by_value
      - .offset:         1080
        .size:           216
        .value_kind:     by_value
      - .offset:         1296
        .size:           216
        .value_kind:     by_value
      - .offset:         1512
        .size:           4
        .value_kind:     by_value
      - .offset:         1516
        .size:           4
        .value_kind:     by_value
      - .offset:         1520
        .size:           4
        .value_kind:     hidden_block_count_x
      - .offset:         1524
        .size:           4
        .value_kind:     hidden_block_count_y
      - .offset:         1528
        .size:           4
        .value_kind:     hidden_block_count_z
      - .offset:         1532
        .size:           2
        .value_kind:     hidden_group_size_x
      - .offset:         1534
        .size:           2
        .value_kind:     hidden_group_size_y
      - .offset:         1536
        .size:           2
        .value_kind:     hidden_group_size_z
      - .offset:         1538
        .size:           2
        .value_kind:     hidden_remainder_x
      - .offset:         1540
        .size:           2
        .value_kind:     hidden_remainder_y
      - .offset:         1542
        .size:           2
        .value_kind:     hidden_remainder_z
      - .offset:         1560
        .size:           8
        .value_kind:     hidden_global_offset_x
      - .offset:         1568
        .size:           8
        .value_kind:     hidden_global_offset_y
      - .offset:         1576
        .size:           8
        .value_kind:     hidden_global_offset_z
      - .offset:         1584
        .size:           2
        .value_kind:     hidden_grid_dims
    .group_segment_fixed_size: 0
    .kernarg_segment_align: 8
    .kernarg_segment_size: 1776
    .language:       OpenCL C
    .language_version:
      - 2
      - 0
    .max_flat_workgroup_size: 512
    .name:           _ZN2at6native12_GLOBAL__N_16kernel16gru_cell_forwardIffiLi1EEEvNS_4cuda6detail10TensorInfoIT_T1_EES9_S9_S9_S9_S9_S9_S8_S8_
    .private_segment_fixed_size: 0
    .sgpr_count:     37
    .sgpr_spill_count: 0
    .symbol:         _ZN2at6native12_GLOBAL__N_16kernel16gru_cell_forwardIffiLi1EEEvNS_4cuda6detail10TensorInfoIT_T1_EES9_S9_S9_S9_S9_S9_S8_S8_.kd
    .uniform_work_group_size: 1
    .uses_dynamic_stack: false
    .vgpr_count:     28
    .vgpr_spill_count: 0
    .wavefront_size: 32
    .workgroup_processor_mode: 1
  - .args:
      - .offset:         0
        .size:           216
        .value_kind:     by_value
      - .offset:         216
        .size:           216
        .value_kind:     by_value
      - .offset:         432
        .size:           216
        .value_kind:     by_value
      - .offset:         648
        .size:           216
        .value_kind:     by_value
      - .offset:         864
        .size:           216
        .value_kind:     by_value
      - .offset:         1080
        .size:           216
        .value_kind:     by_value
      - .offset:         1296
        .size:           216
        .value_kind:     by_value
      - .offset:         1512
        .size:           4
        .value_kind:     by_value
      - .offset:         1516
        .size:           4
        .value_kind:     by_value
      - .offset:         1520
        .size:           4
        .value_kind:     hidden_block_count_x
      - .offset:         1524
        .size:           4
        .value_kind:     hidden_block_count_y
      - .offset:         1528
        .size:           4
        .value_kind:     hidden_block_count_z
      - .offset:         1532
        .size:           2
        .value_kind:     hidden_group_size_x
      - .offset:         1534
        .size:           2
        .value_kind:     hidden_group_size_y
      - .offset:         1536
        .size:           2
        .value_kind:     hidden_group_size_z
      - .offset:         1538
        .size:           2
        .value_kind:     hidden_remainder_x
      - .offset:         1540
        .size:           2
        .value_kind:     hidden_remainder_y
      - .offset:         1542
        .size:           2
        .value_kind:     hidden_remainder_z
      - .offset:         1560
        .size:           8
        .value_kind:     hidden_global_offset_x
      - .offset:         1568
        .size:           8
        .value_kind:     hidden_global_offset_y
      - .offset:         1576
        .size:           8
        .value_kind:     hidden_global_offset_z
      - .offset:         1584
        .size:           2
        .value_kind:     hidden_grid_dims
    .group_segment_fixed_size: 0
    .kernarg_segment_align: 8
    .kernarg_segment_size: 1776
    .language:       OpenCL C
    .language_version:
      - 2
      - 0
    .max_flat_workgroup_size: 512
    .name:           _ZN2at6native12_GLOBAL__N_16kernel16gru_cell_forwardIffiLi2EEEvNS_4cuda6detail10TensorInfoIT_T1_EES9_S9_S9_S9_S9_S9_S8_S8_
    .private_segment_fixed_size: 0
    .sgpr_count:     58
    .sgpr_spill_count: 0
    .symbol:         _ZN2at6native12_GLOBAL__N_16kernel16gru_cell_forwardIffiLi2EEEvNS_4cuda6detail10TensorInfoIT_T1_EES9_S9_S9_S9_S9_S9_S8_S8_.kd
    .uniform_work_group_size: 1
    .uses_dynamic_stack: false
    .vgpr_count:     44
    .vgpr_spill_count: 0
    .wavefront_size: 32
    .workgroup_processor_mode: 1
  - .args:
      - .offset:         0
        .size:           416
        .value_kind:     by_value
      - .offset:         416
        .size:           416
        .value_kind:     by_value
      - .offset:         832
        .size:           416
        .value_kind:     by_value
      - .offset:         1248
        .size:           416
        .value_kind:     by_value
      - .offset:         1664
        .size:           416
        .value_kind:     by_value
      - .offset:         2080
        .size:           416
        .value_kind:     by_value
      - .offset:         2496
        .size:           416
        .value_kind:     by_value
      - .offset:         2912
        .size:           8
        .value_kind:     by_value
      - .offset:         2920
        .size:           8
        .value_kind:     by_value
      - .offset:         2928
        .size:           4
        .value_kind:     hidden_block_count_x
      - .offset:         2932
        .size:           4
        .value_kind:     hidden_block_count_y
      - .offset:         2936
        .size:           4
        .value_kind:     hidden_block_count_z
      - .offset:         2940
        .size:           2
        .value_kind:     hidden_group_size_x
      - .offset:         2942
        .size:           2
        .value_kind:     hidden_group_size_y
      - .offset:         2944
        .size:           2
        .value_kind:     hidden_group_size_z
      - .offset:         2946
        .size:           2
        .value_kind:     hidden_remainder_x
      - .offset:         2948
        .size:           2
        .value_kind:     hidden_remainder_y
      - .offset:         2950
        .size:           2
        .value_kind:     hidden_remainder_z
      - .offset:         2968
        .size:           8
        .value_kind:     hidden_global_offset_x
      - .offset:         2976
        .size:           8
        .value_kind:     hidden_global_offset_y
      - .offset:         2984
        .size:           8
        .value_kind:     hidden_global_offset_z
      - .offset:         2992
        .size:           2
        .value_kind:     hidden_grid_dims
    .group_segment_fixed_size: 0
    .kernarg_segment_align: 8
    .kernarg_segment_size: 3184
    .language:       OpenCL C
    .language_version:
      - 2
      - 0
    .max_flat_workgroup_size: 512
    .name:           _ZN2at6native12_GLOBAL__N_16kernel16gru_cell_forwardIfflLi1EEEvNS_4cuda6detail10TensorInfoIT_T1_EES9_S9_S9_S9_S9_S9_S8_S8_
    .private_segment_fixed_size: 0
    .sgpr_count:     56
    .sgpr_spill_count: 0
    .symbol:         _ZN2at6native12_GLOBAL__N_16kernel16gru_cell_forwardIfflLi1EEEvNS_4cuda6detail10TensorInfoIT_T1_EES9_S9_S9_S9_S9_S9_S8_S8_.kd
    .uniform_work_group_size: 1
    .uses_dynamic_stack: false
    .vgpr_count:     37
    .vgpr_spill_count: 0
    .wavefront_size: 32
    .workgroup_processor_mode: 1
  - .args:
      - .offset:         0
        .size:           416
        .value_kind:     by_value
      - .offset:         416
        .size:           416
        .value_kind:     by_value
      - .offset:         832
        .size:           416
        .value_kind:     by_value
      - .offset:         1248
        .size:           416
        .value_kind:     by_value
      - .offset:         1664
        .size:           416
        .value_kind:     by_value
      - .offset:         2080
        .size:           416
        .value_kind:     by_value
      - .offset:         2496
        .size:           416
        .value_kind:     by_value
      - .offset:         2912
        .size:           8
        .value_kind:     by_value
      - .offset:         2920
        .size:           8
        .value_kind:     by_value
      - .offset:         2928
        .size:           4
        .value_kind:     hidden_block_count_x
      - .offset:         2932
        .size:           4
        .value_kind:     hidden_block_count_y
      - .offset:         2936
        .size:           4
        .value_kind:     hidden_block_count_z
      - .offset:         2940
        .size:           2
        .value_kind:     hidden_group_size_x
      - .offset:         2942
        .size:           2
        .value_kind:     hidden_group_size_y
      - .offset:         2944
        .size:           2
        .value_kind:     hidden_group_size_z
      - .offset:         2946
        .size:           2
        .value_kind:     hidden_remainder_x
      - .offset:         2948
        .size:           2
        .value_kind:     hidden_remainder_y
      - .offset:         2950
        .size:           2
        .value_kind:     hidden_remainder_z
      - .offset:         2968
        .size:           8
        .value_kind:     hidden_global_offset_x
      - .offset:         2976
        .size:           8
        .value_kind:     hidden_global_offset_y
      - .offset:         2984
        .size:           8
        .value_kind:     hidden_global_offset_z
      - .offset:         2992
        .size:           2
        .value_kind:     hidden_grid_dims
    .group_segment_fixed_size: 0
    .kernarg_segment_align: 8
    .kernarg_segment_size: 3184
    .language:       OpenCL C
    .language_version:
      - 2
      - 0
    .max_flat_workgroup_size: 512
    .name:           _ZN2at6native12_GLOBAL__N_16kernel16gru_cell_forwardIfflLi2EEEvNS_4cuda6detail10TensorInfoIT_T1_EES9_S9_S9_S9_S9_S9_S8_S8_
    .private_segment_fixed_size: 0
    .sgpr_count:     85
    .sgpr_spill_count: 0
    .symbol:         _ZN2at6native12_GLOBAL__N_16kernel16gru_cell_forwardIfflLi2EEEvNS_4cuda6detail10TensorInfoIT_T1_EES9_S9_S9_S9_S9_S9_S8_S8_.kd
    .uniform_work_group_size: 1
    .uses_dynamic_stack: false
    .vgpr_count:     34
    .vgpr_spill_count: 0
    .wavefront_size: 32
    .workgroup_processor_mode: 1
  - .args:
      - .offset:         0
        .size:           216
        .value_kind:     by_value
      - .offset:         216
        .size:           216
        .value_kind:     by_value
      - .offset:         432
        .size:           216
        .value_kind:     by_value
      - .offset:         648
        .size:           216
        .value_kind:     by_value
      - .offset:         864
        .size:           216
        .value_kind:     by_value
      - .offset:         1080
        .size:           216
        .value_kind:     by_value
      - .offset:         1296
        .size:           216
        .value_kind:     by_value
      - .offset:         1512
        .size:           4
        .value_kind:     by_value
      - .offset:         1516
        .size:           4
        .value_kind:     by_value
      - .offset:         1520
        .size:           4
        .value_kind:     hidden_block_count_x
      - .offset:         1524
        .size:           4
        .value_kind:     hidden_block_count_y
      - .offset:         1528
        .size:           4
        .value_kind:     hidden_block_count_z
      - .offset:         1532
        .size:           2
        .value_kind:     hidden_group_size_x
      - .offset:         1534
        .size:           2
        .value_kind:     hidden_group_size_y
      - .offset:         1536
        .size:           2
        .value_kind:     hidden_group_size_z
      - .offset:         1538
        .size:           2
        .value_kind:     hidden_remainder_x
      - .offset:         1540
        .size:           2
        .value_kind:     hidden_remainder_y
      - .offset:         1542
        .size:           2
        .value_kind:     hidden_remainder_z
      - .offset:         1560
        .size:           8
        .value_kind:     hidden_global_offset_x
      - .offset:         1568
        .size:           8
        .value_kind:     hidden_global_offset_y
      - .offset:         1576
        .size:           8
        .value_kind:     hidden_global_offset_z
      - .offset:         1584
        .size:           2
        .value_kind:     hidden_grid_dims
    .group_segment_fixed_size: 0
    .kernarg_segment_align: 8
    .kernarg_segment_size: 1776
    .language:       OpenCL C
    .language_version:
      - 2
      - 0
    .max_flat_workgroup_size: 512
    .name:           _ZN2at6native12_GLOBAL__N_16kernel16gru_cell_forwardIN3c104HalfEfiLi1EEEvNS_4cuda6detail10TensorInfoIT_T1_EESB_SB_SB_SB_SB_SB_SA_SA_
    .private_segment_fixed_size: 0
    .sgpr_count:     37
    .sgpr_spill_count: 0
    .symbol:         _ZN2at6native12_GLOBAL__N_16kernel16gru_cell_forwardIN3c104HalfEfiLi1EEEvNS_4cuda6detail10TensorInfoIT_T1_EESB_SB_SB_SB_SB_SB_SA_SA_.kd
    .uniform_work_group_size: 1
    .uses_dynamic_stack: false
    .vgpr_count:     28
    .vgpr_spill_count: 0
    .wavefront_size: 32
    .workgroup_processor_mode: 1
  - .args:
      - .offset:         0
        .size:           216
        .value_kind:     by_value
      - .offset:         216
        .size:           216
        .value_kind:     by_value
      - .offset:         432
        .size:           216
        .value_kind:     by_value
      - .offset:         648
        .size:           216
        .value_kind:     by_value
      - .offset:         864
        .size:           216
        .value_kind:     by_value
      - .offset:         1080
        .size:           216
        .value_kind:     by_value
      - .offset:         1296
        .size:           216
        .value_kind:     by_value
      - .offset:         1512
        .size:           4
        .value_kind:     by_value
      - .offset:         1516
        .size:           4
        .value_kind:     by_value
      - .offset:         1520
        .size:           4
        .value_kind:     hidden_block_count_x
      - .offset:         1524
        .size:           4
        .value_kind:     hidden_block_count_y
      - .offset:         1528
        .size:           4
        .value_kind:     hidden_block_count_z
      - .offset:         1532
        .size:           2
        .value_kind:     hidden_group_size_x
      - .offset:         1534
        .size:           2
        .value_kind:     hidden_group_size_y
      - .offset:         1536
        .size:           2
        .value_kind:     hidden_group_size_z
      - .offset:         1538
        .size:           2
        .value_kind:     hidden_remainder_x
      - .offset:         1540
        .size:           2
        .value_kind:     hidden_remainder_y
      - .offset:         1542
        .size:           2
        .value_kind:     hidden_remainder_z
      - .offset:         1560
        .size:           8
        .value_kind:     hidden_global_offset_x
      - .offset:         1568
        .size:           8
        .value_kind:     hidden_global_offset_y
      - .offset:         1576
        .size:           8
        .value_kind:     hidden_global_offset_z
      - .offset:         1584
        .size:           2
        .value_kind:     hidden_grid_dims
    .group_segment_fixed_size: 0
    .kernarg_segment_align: 8
    .kernarg_segment_size: 1776
    .language:       OpenCL C
    .language_version:
      - 2
      - 0
    .max_flat_workgroup_size: 512
    .name:           _ZN2at6native12_GLOBAL__N_16kernel16gru_cell_forwardIN3c104HalfEfiLi2EEEvNS_4cuda6detail10TensorInfoIT_T1_EESB_SB_SB_SB_SB_SB_SA_SA_
    .private_segment_fixed_size: 0
    .sgpr_count:     58
    .sgpr_spill_count: 0
    .symbol:         _ZN2at6native12_GLOBAL__N_16kernel16gru_cell_forwardIN3c104HalfEfiLi2EEEvNS_4cuda6detail10TensorInfoIT_T1_EESB_SB_SB_SB_SB_SB_SA_SA_.kd
    .uniform_work_group_size: 1
    .uses_dynamic_stack: false
    .vgpr_count:     44
    .vgpr_spill_count: 0
    .wavefront_size: 32
    .workgroup_processor_mode: 1
  - .args:
      - .offset:         0
        .size:           416
        .value_kind:     by_value
      - .offset:         416
        .size:           416
        .value_kind:     by_value
      - .offset:         832
        .size:           416
        .value_kind:     by_value
      - .offset:         1248
        .size:           416
        .value_kind:     by_value
      - .offset:         1664
        .size:           416
        .value_kind:     by_value
      - .offset:         2080
        .size:           416
        .value_kind:     by_value
      - .offset:         2496
        .size:           416
        .value_kind:     by_value
      - .offset:         2912
        .size:           8
        .value_kind:     by_value
      - .offset:         2920
        .size:           8
        .value_kind:     by_value
      - .offset:         2928
        .size:           4
        .value_kind:     hidden_block_count_x
      - .offset:         2932
        .size:           4
        .value_kind:     hidden_block_count_y
      - .offset:         2936
        .size:           4
        .value_kind:     hidden_block_count_z
      - .offset:         2940
        .size:           2
        .value_kind:     hidden_group_size_x
      - .offset:         2942
        .size:           2
        .value_kind:     hidden_group_size_y
      - .offset:         2944
        .size:           2
        .value_kind:     hidden_group_size_z
      - .offset:         2946
        .size:           2
        .value_kind:     hidden_remainder_x
      - .offset:         2948
        .size:           2
        .value_kind:     hidden_remainder_y
      - .offset:         2950
        .size:           2
        .value_kind:     hidden_remainder_z
      - .offset:         2968
        .size:           8
        .value_kind:     hidden_global_offset_x
      - .offset:         2976
        .size:           8
        .value_kind:     hidden_global_offset_y
      - .offset:         2984
        .size:           8
        .value_kind:     hidden_global_offset_z
      - .offset:         2992
        .size:           2
        .value_kind:     hidden_grid_dims
    .group_segment_fixed_size: 0
    .kernarg_segment_align: 8
    .kernarg_segment_size: 3184
    .language:       OpenCL C
    .language_version:
      - 2
      - 0
    .max_flat_workgroup_size: 512
    .name:           _ZN2at6native12_GLOBAL__N_16kernel16gru_cell_forwardIN3c104HalfEflLi1EEEvNS_4cuda6detail10TensorInfoIT_T1_EESB_SB_SB_SB_SB_SB_SA_SA_
    .private_segment_fixed_size: 0
    .sgpr_count:     56
    .sgpr_spill_count: 0
    .symbol:         _ZN2at6native12_GLOBAL__N_16kernel16gru_cell_forwardIN3c104HalfEflLi1EEEvNS_4cuda6detail10TensorInfoIT_T1_EESB_SB_SB_SB_SB_SB_SA_SA_.kd
    .uniform_work_group_size: 1
    .uses_dynamic_stack: false
    .vgpr_count:     38
    .vgpr_spill_count: 0
    .wavefront_size: 32
    .workgroup_processor_mode: 1
  - .args:
      - .offset:         0
        .size:           416
        .value_kind:     by_value
      - .offset:         416
        .size:           416
        .value_kind:     by_value
      - .offset:         832
        .size:           416
        .value_kind:     by_value
      - .offset:         1248
        .size:           416
        .value_kind:     by_value
      - .offset:         1664
        .size:           416
        .value_kind:     by_value
      - .offset:         2080
        .size:           416
        .value_kind:     by_value
      - .offset:         2496
        .size:           416
        .value_kind:     by_value
      - .offset:         2912
        .size:           8
        .value_kind:     by_value
      - .offset:         2920
        .size:           8
        .value_kind:     by_value
      - .offset:         2928
        .size:           4
        .value_kind:     hidden_block_count_x
      - .offset:         2932
        .size:           4
        .value_kind:     hidden_block_count_y
      - .offset:         2936
        .size:           4
        .value_kind:     hidden_block_count_z
      - .offset:         2940
        .size:           2
        .value_kind:     hidden_group_size_x
      - .offset:         2942
        .size:           2
        .value_kind:     hidden_group_size_y
      - .offset:         2944
        .size:           2
        .value_kind:     hidden_group_size_z
      - .offset:         2946
        .size:           2
        .value_kind:     hidden_remainder_x
      - .offset:         2948
        .size:           2
        .value_kind:     hidden_remainder_y
      - .offset:         2950
        .size:           2
        .value_kind:     hidden_remainder_z
      - .offset:         2968
        .size:           8
        .value_kind:     hidden_global_offset_x
      - .offset:         2976
        .size:           8
        .value_kind:     hidden_global_offset_y
      - .offset:         2984
        .size:           8
        .value_kind:     hidden_global_offset_z
      - .offset:         2992
        .size:           2
        .value_kind:     hidden_grid_dims
    .group_segment_fixed_size: 0
    .kernarg_segment_align: 8
    .kernarg_segment_size: 3184
    .language:       OpenCL C
    .language_version:
      - 2
      - 0
    .max_flat_workgroup_size: 512
    .name:           _ZN2at6native12_GLOBAL__N_16kernel16gru_cell_forwardIN3c104HalfEflLi2EEEvNS_4cuda6detail10TensorInfoIT_T1_EESB_SB_SB_SB_SB_SB_SA_SA_
    .private_segment_fixed_size: 0
    .sgpr_count:     85
    .sgpr_spill_count: 0
    .symbol:         _ZN2at6native12_GLOBAL__N_16kernel16gru_cell_forwardIN3c104HalfEflLi2EEEvNS_4cuda6detail10TensorInfoIT_T1_EESB_SB_SB_SB_SB_SB_SA_SA_.kd
    .uniform_work_group_size: 1
    .uses_dynamic_stack: false
    .vgpr_count:     34
    .vgpr_spill_count: 0
    .wavefront_size: 32
    .workgroup_processor_mode: 1
  - .args:
      - .offset:         0
        .size:           216
        .value_kind:     by_value
      - .offset:         216
        .size:           216
        .value_kind:     by_value
      - .offset:         432
        .size:           216
        .value_kind:     by_value
      - .offset:         648
        .size:           216
        .value_kind:     by_value
      - .offset:         864
        .size:           216
        .value_kind:     by_value
      - .offset:         1080
        .size:           216
        .value_kind:     by_value
      - .offset:         1296
        .size:           216
        .value_kind:     by_value
      - .offset:         1512
        .size:           4
        .value_kind:     by_value
      - .offset:         1516
        .size:           4
        .value_kind:     by_value
      - .offset:         1520
        .size:           4
        .value_kind:     hidden_block_count_x
      - .offset:         1524
        .size:           4
        .value_kind:     hidden_block_count_y
      - .offset:         1528
        .size:           4
        .value_kind:     hidden_block_count_z
      - .offset:         1532
        .size:           2
        .value_kind:     hidden_group_size_x
      - .offset:         1534
        .size:           2
        .value_kind:     hidden_group_size_y
      - .offset:         1536
        .size:           2
        .value_kind:     hidden_group_size_z
      - .offset:         1538
        .size:           2
        .value_kind:     hidden_remainder_x
      - .offset:         1540
        .size:           2
        .value_kind:     hidden_remainder_y
      - .offset:         1542
        .size:           2
        .value_kind:     hidden_remainder_z
      - .offset:         1560
        .size:           8
        .value_kind:     hidden_global_offset_x
      - .offset:         1568
        .size:           8
        .value_kind:     hidden_global_offset_y
      - .offset:         1576
        .size:           8
        .value_kind:     hidden_global_offset_z
      - .offset:         1584
        .size:           2
        .value_kind:     hidden_grid_dims
    .group_segment_fixed_size: 0
    .kernarg_segment_align: 8
    .kernarg_segment_size: 1776
    .language:       OpenCL C
    .language_version:
      - 2
      - 0
    .max_flat_workgroup_size: 512
    .name:           _ZN2at6native12_GLOBAL__N_16kernel16gru_cell_forwardIN3c108BFloat16EfiLi1EEEvNS_4cuda6detail10TensorInfoIT_T1_EESB_SB_SB_SB_SB_SB_SA_SA_
    .private_segment_fixed_size: 0
    .sgpr_count:     37
    .sgpr_spill_count: 0
    .symbol:         _ZN2at6native12_GLOBAL__N_16kernel16gru_cell_forwardIN3c108BFloat16EfiLi1EEEvNS_4cuda6detail10TensorInfoIT_T1_EESB_SB_SB_SB_SB_SB_SA_SA_.kd
    .uniform_work_group_size: 1
    .uses_dynamic_stack: false
    .vgpr_count:     28
    .vgpr_spill_count: 0
    .wavefront_size: 32
    .workgroup_processor_mode: 1
  - .args:
      - .offset:         0
        .size:           216
        .value_kind:     by_value
      - .offset:         216
        .size:           216
        .value_kind:     by_value
      - .offset:         432
        .size:           216
        .value_kind:     by_value
      - .offset:         648
        .size:           216
        .value_kind:     by_value
      - .offset:         864
        .size:           216
        .value_kind:     by_value
      - .offset:         1080
        .size:           216
        .value_kind:     by_value
      - .offset:         1296
        .size:           216
        .value_kind:     by_value
      - .offset:         1512
        .size:           4
        .value_kind:     by_value
      - .offset:         1516
        .size:           4
        .value_kind:     by_value
      - .offset:         1520
        .size:           4
        .value_kind:     hidden_block_count_x
      - .offset:         1524
        .size:           4
        .value_kind:     hidden_block_count_y
      - .offset:         1528
        .size:           4
        .value_kind:     hidden_block_count_z
      - .offset:         1532
        .size:           2
        .value_kind:     hidden_group_size_x
      - .offset:         1534
        .size:           2
        .value_kind:     hidden_group_size_y
      - .offset:         1536
        .size:           2
        .value_kind:     hidden_group_size_z
      - .offset:         1538
        .size:           2
        .value_kind:     hidden_remainder_x
      - .offset:         1540
        .size:           2
        .value_kind:     hidden_remainder_y
      - .offset:         1542
        .size:           2
        .value_kind:     hidden_remainder_z
      - .offset:         1560
        .size:           8
        .value_kind:     hidden_global_offset_x
      - .offset:         1568
        .size:           8
        .value_kind:     hidden_global_offset_y
      - .offset:         1576
        .size:           8
        .value_kind:     hidden_global_offset_z
      - .offset:         1584
        .size:           2
        .value_kind:     hidden_grid_dims
    .group_segment_fixed_size: 0
    .kernarg_segment_align: 8
    .kernarg_segment_size: 1776
    .language:       OpenCL C
    .language_version:
      - 2
      - 0
    .max_flat_workgroup_size: 512
    .name:           _ZN2at6native12_GLOBAL__N_16kernel16gru_cell_forwardIN3c108BFloat16EfiLi2EEEvNS_4cuda6detail10TensorInfoIT_T1_EESB_SB_SB_SB_SB_SB_SA_SA_
    .private_segment_fixed_size: 0
    .sgpr_count:     58
    .sgpr_spill_count: 0
    .symbol:         _ZN2at6native12_GLOBAL__N_16kernel16gru_cell_forwardIN3c108BFloat16EfiLi2EEEvNS_4cuda6detail10TensorInfoIT_T1_EESB_SB_SB_SB_SB_SB_SA_SA_.kd
    .uniform_work_group_size: 1
    .uses_dynamic_stack: false
    .vgpr_count:     44
    .vgpr_spill_count: 0
    .wavefront_size: 32
    .workgroup_processor_mode: 1
  - .args:
      - .offset:         0
        .size:           416
        .value_kind:     by_value
      - .offset:         416
        .size:           416
        .value_kind:     by_value
      - .offset:         832
        .size:           416
        .value_kind:     by_value
      - .offset:         1248
        .size:           416
        .value_kind:     by_value
      - .offset:         1664
        .size:           416
        .value_kind:     by_value
      - .offset:         2080
        .size:           416
        .value_kind:     by_value
      - .offset:         2496
        .size:           416
        .value_kind:     by_value
      - .offset:         2912
        .size:           8
        .value_kind:     by_value
      - .offset:         2920
        .size:           8
        .value_kind:     by_value
      - .offset:         2928
        .size:           4
        .value_kind:     hidden_block_count_x
      - .offset:         2932
        .size:           4
        .value_kind:     hidden_block_count_y
      - .offset:         2936
        .size:           4
        .value_kind:     hidden_block_count_z
      - .offset:         2940
        .size:           2
        .value_kind:     hidden_group_size_x
      - .offset:         2942
        .size:           2
        .value_kind:     hidden_group_size_y
      - .offset:         2944
        .size:           2
        .value_kind:     hidden_group_size_z
      - .offset:         2946
        .size:           2
        .value_kind:     hidden_remainder_x
      - .offset:         2948
        .size:           2
        .value_kind:     hidden_remainder_y
      - .offset:         2950
        .size:           2
        .value_kind:     hidden_remainder_z
      - .offset:         2968
        .size:           8
        .value_kind:     hidden_global_offset_x
      - .offset:         2976
        .size:           8
        .value_kind:     hidden_global_offset_y
      - .offset:         2984
        .size:           8
        .value_kind:     hidden_global_offset_z
      - .offset:         2992
        .size:           2
        .value_kind:     hidden_grid_dims
    .group_segment_fixed_size: 0
    .kernarg_segment_align: 8
    .kernarg_segment_size: 3184
    .language:       OpenCL C
    .language_version:
      - 2
      - 0
    .max_flat_workgroup_size: 512
    .name:           _ZN2at6native12_GLOBAL__N_16kernel16gru_cell_forwardIN3c108BFloat16EflLi1EEEvNS_4cuda6detail10TensorInfoIT_T1_EESB_SB_SB_SB_SB_SB_SA_SA_
    .private_segment_fixed_size: 0
    .sgpr_count:     56
    .sgpr_spill_count: 0
    .symbol:         _ZN2at6native12_GLOBAL__N_16kernel16gru_cell_forwardIN3c108BFloat16EflLi1EEEvNS_4cuda6detail10TensorInfoIT_T1_EESB_SB_SB_SB_SB_SB_SA_SA_.kd
    .uniform_work_group_size: 1
    .uses_dynamic_stack: false
    .vgpr_count:     41
    .vgpr_spill_count: 0
    .wavefront_size: 32
    .workgroup_processor_mode: 1
  - .args:
      - .offset:         0
        .size:           416
        .value_kind:     by_value
      - .offset:         416
        .size:           416
        .value_kind:     by_value
      - .offset:         832
        .size:           416
        .value_kind:     by_value
      - .offset:         1248
        .size:           416
        .value_kind:     by_value
      - .offset:         1664
        .size:           416
        .value_kind:     by_value
      - .offset:         2080
        .size:           416
        .value_kind:     by_value
      - .offset:         2496
        .size:           416
        .value_kind:     by_value
      - .offset:         2912
        .size:           8
        .value_kind:     by_value
      - .offset:         2920
        .size:           8
        .value_kind:     by_value
      - .offset:         2928
        .size:           4
        .value_kind:     hidden_block_count_x
      - .offset:         2932
        .size:           4
        .value_kind:     hidden_block_count_y
      - .offset:         2936
        .size:           4
        .value_kind:     hidden_block_count_z
      - .offset:         2940
        .size:           2
        .value_kind:     hidden_group_size_x
      - .offset:         2942
        .size:           2
        .value_kind:     hidden_group_size_y
      - .offset:         2944
        .size:           2
        .value_kind:     hidden_group_size_z
      - .offset:         2946
        .size:           2
        .value_kind:     hidden_remainder_x
      - .offset:         2948
        .size:           2
        .value_kind:     hidden_remainder_y
      - .offset:         2950
        .size:           2
        .value_kind:     hidden_remainder_z
      - .offset:         2968
        .size:           8
        .value_kind:     hidden_global_offset_x
      - .offset:         2976
        .size:           8
        .value_kind:     hidden_global_offset_y
      - .offset:         2984
        .size:           8
        .value_kind:     hidden_global_offset_z
      - .offset:         2992
        .size:           2
        .value_kind:     hidden_grid_dims
    .group_segment_fixed_size: 0
    .kernarg_segment_align: 8
    .kernarg_segment_size: 3184
    .language:       OpenCL C
    .language_version:
      - 2
      - 0
    .max_flat_workgroup_size: 512
    .name:           _ZN2at6native12_GLOBAL__N_16kernel16gru_cell_forwardIN3c108BFloat16EflLi2EEEvNS_4cuda6detail10TensorInfoIT_T1_EESB_SB_SB_SB_SB_SB_SA_SA_
    .private_segment_fixed_size: 0
    .sgpr_count:     85
    .sgpr_spill_count: 0
    .symbol:         _ZN2at6native12_GLOBAL__N_16kernel16gru_cell_forwardIN3c108BFloat16EflLi2EEEvNS_4cuda6detail10TensorInfoIT_T1_EESB_SB_SB_SB_SB_SB_SA_SA_.kd
    .uniform_work_group_size: 1
    .uses_dynamic_stack: false
    .vgpr_count:     35
    .vgpr_spill_count: 0
    .wavefront_size: 32
    .workgroup_processor_mode: 1
  - .args:
      - .offset:         0
        .size:           216
        .value_kind:     by_value
      - .offset:         216
        .size:           216
        .value_kind:     by_value
      - .offset:         432
        .size:           216
        .value_kind:     by_value
      - .offset:         648
        .size:           216
        .value_kind:     by_value
      - .offset:         864
        .size:           216
        .value_kind:     by_value
      - .offset:         1080
        .size:           4
        .value_kind:     by_value
      - .offset:         1084
        .size:           4
        .value_kind:     by_value
      - .offset:         1088
        .size:           4
        .value_kind:     hidden_block_count_x
      - .offset:         1092
        .size:           4
        .value_kind:     hidden_block_count_y
      - .offset:         1096
        .size:           4
        .value_kind:     hidden_block_count_z
      - .offset:         1100
        .size:           2
        .value_kind:     hidden_group_size_x
      - .offset:         1102
        .size:           2
        .value_kind:     hidden_group_size_y
      - .offset:         1104
        .size:           2
        .value_kind:     hidden_group_size_z
      - .offset:         1106
        .size:           2
        .value_kind:     hidden_remainder_x
      - .offset:         1108
        .size:           2
        .value_kind:     hidden_remainder_y
      - .offset:         1110
        .size:           2
        .value_kind:     hidden_remainder_z
      - .offset:         1128
        .size:           8
        .value_kind:     hidden_global_offset_x
      - .offset:         1136
        .size:           8
        .value_kind:     hidden_global_offset_y
      - .offset:         1144
        .size:           8
        .value_kind:     hidden_global_offset_z
      - .offset:         1152
        .size:           2
        .value_kind:     hidden_grid_dims
    .group_segment_fixed_size: 0
    .kernarg_segment_align: 8
    .kernarg_segment_size: 1344
    .language:       OpenCL C
    .language_version:
      - 2
      - 0
    .max_flat_workgroup_size: 512
    .name:           _ZN2at6native12_GLOBAL__N_16kernel17gru_cell_backwardIddiLi1EEEvNS_4cuda6detail10TensorInfoIT_T1_EES9_S9_S9_S9_S8_S8_
    .private_segment_fixed_size: 0
    .sgpr_count:     25
    .sgpr_spill_count: 0
    .symbol:         _ZN2at6native12_GLOBAL__N_16kernel17gru_cell_backwardIddiLi1EEEvNS_4cuda6detail10TensorInfoIT_T1_EES9_S9_S9_S9_S8_S8_.kd
    .uniform_work_group_size: 1
    .uses_dynamic_stack: false
    .vgpr_count:     37
    .vgpr_spill_count: 0
    .wavefront_size: 32
    .workgroup_processor_mode: 1
  - .args:
      - .offset:         0
        .size:           216
        .value_kind:     by_value
      - .offset:         216
        .size:           216
        .value_kind:     by_value
      - .offset:         432
        .size:           216
        .value_kind:     by_value
      - .offset:         648
        .size:           216
        .value_kind:     by_value
      - .offset:         864
        .size:           216
        .value_kind:     by_value
      - .offset:         1080
        .size:           4
        .value_kind:     by_value
      - .offset:         1084
        .size:           4
        .value_kind:     by_value
      - .offset:         1088
        .size:           4
        .value_kind:     hidden_block_count_x
      - .offset:         1092
        .size:           4
        .value_kind:     hidden_block_count_y
      - .offset:         1096
        .size:           4
        .value_kind:     hidden_block_count_z
      - .offset:         1100
        .size:           2
        .value_kind:     hidden_group_size_x
      - .offset:         1102
        .size:           2
        .value_kind:     hidden_group_size_y
      - .offset:         1104
        .size:           2
        .value_kind:     hidden_group_size_z
      - .offset:         1106
        .size:           2
        .value_kind:     hidden_remainder_x
      - .offset:         1108
        .size:           2
        .value_kind:     hidden_remainder_y
      - .offset:         1110
        .size:           2
        .value_kind:     hidden_remainder_z
      - .offset:         1128
        .size:           8
        .value_kind:     hidden_global_offset_x
      - .offset:         1136
        .size:           8
        .value_kind:     hidden_global_offset_y
      - .offset:         1144
        .size:           8
        .value_kind:     hidden_global_offset_z
      - .offset:         1152
        .size:           2
        .value_kind:     hidden_grid_dims
    .group_segment_fixed_size: 0
    .kernarg_segment_align: 8
    .kernarg_segment_size: 1344
    .language:       OpenCL C
    .language_version:
      - 2
      - 0
    .max_flat_workgroup_size: 512
    .name:           _ZN2at6native12_GLOBAL__N_16kernel17gru_cell_backwardIddiLi2EEEvNS_4cuda6detail10TensorInfoIT_T1_EES9_S9_S9_S9_S8_S8_
    .private_segment_fixed_size: 0
    .sgpr_count:     49
    .sgpr_spill_count: 0
    .symbol:         _ZN2at6native12_GLOBAL__N_16kernel17gru_cell_backwardIddiLi2EEEvNS_4cuda6detail10TensorInfoIT_T1_EES9_S9_S9_S9_S8_S8_.kd
    .uniform_work_group_size: 1
    .uses_dynamic_stack: false
    .vgpr_count:     51
    .vgpr_spill_count: 0
    .wavefront_size: 32
    .workgroup_processor_mode: 1
  - .args:
      - .offset:         0
        .size:           416
        .value_kind:     by_value
      - .offset:         416
        .size:           416
        .value_kind:     by_value
      - .offset:         832
        .size:           416
        .value_kind:     by_value
      - .offset:         1248
        .size:           416
        .value_kind:     by_value
      - .offset:         1664
        .size:           416
        .value_kind:     by_value
      - .offset:         2080
        .size:           8
        .value_kind:     by_value
      - .offset:         2088
        .size:           8
        .value_kind:     by_value
      - .offset:         2096
        .size:           4
        .value_kind:     hidden_block_count_x
      - .offset:         2100
        .size:           4
        .value_kind:     hidden_block_count_y
      - .offset:         2104
        .size:           4
        .value_kind:     hidden_block_count_z
      - .offset:         2108
        .size:           2
        .value_kind:     hidden_group_size_x
      - .offset:         2110
        .size:           2
        .value_kind:     hidden_group_size_y
      - .offset:         2112
        .size:           2
        .value_kind:     hidden_group_size_z
      - .offset:         2114
        .size:           2
        .value_kind:     hidden_remainder_x
      - .offset:         2116
        .size:           2
        .value_kind:     hidden_remainder_y
      - .offset:         2118
        .size:           2
        .value_kind:     hidden_remainder_z
      - .offset:         2136
        .size:           8
        .value_kind:     hidden_global_offset_x
      - .offset:         2144
        .size:           8
        .value_kind:     hidden_global_offset_y
      - .offset:         2152
        .size:           8
        .value_kind:     hidden_global_offset_z
      - .offset:         2160
        .size:           2
        .value_kind:     hidden_grid_dims
    .group_segment_fixed_size: 0
    .kernarg_segment_align: 8
    .kernarg_segment_size: 2352
    .language:       OpenCL C
    .language_version:
      - 2
      - 0
    .max_flat_workgroup_size: 512
    .name:           _ZN2at6native12_GLOBAL__N_16kernel17gru_cell_backwardIddlLi1EEEvNS_4cuda6detail10TensorInfoIT_T1_EES9_S9_S9_S9_S8_S8_
    .private_segment_fixed_size: 0
    .sgpr_count:     44
    .sgpr_spill_count: 0
    .symbol:         _ZN2at6native12_GLOBAL__N_16kernel17gru_cell_backwardIddlLi1EEEvNS_4cuda6detail10TensorInfoIT_T1_EES9_S9_S9_S9_S8_S8_.kd
    .uniform_work_group_size: 1
    .uses_dynamic_stack: false
    .vgpr_count:     46
    .vgpr_spill_count: 0
    .wavefront_size: 32
    .workgroup_processor_mode: 1
  - .args:
      - .offset:         0
        .size:           416
        .value_kind:     by_value
      - .offset:         416
        .size:           416
        .value_kind:     by_value
      - .offset:         832
        .size:           416
        .value_kind:     by_value
      - .offset:         1248
        .size:           416
        .value_kind:     by_value
      - .offset:         1664
        .size:           416
        .value_kind:     by_value
      - .offset:         2080
        .size:           8
        .value_kind:     by_value
      - .offset:         2088
        .size:           8
        .value_kind:     by_value
      - .offset:         2096
        .size:           4
        .value_kind:     hidden_block_count_x
      - .offset:         2100
        .size:           4
        .value_kind:     hidden_block_count_y
      - .offset:         2104
        .size:           4
        .value_kind:     hidden_block_count_z
      - .offset:         2108
        .size:           2
        .value_kind:     hidden_group_size_x
      - .offset:         2110
        .size:           2
        .value_kind:     hidden_group_size_y
      - .offset:         2112
        .size:           2
        .value_kind:     hidden_group_size_z
      - .offset:         2114
        .size:           2
        .value_kind:     hidden_remainder_x
      - .offset:         2116
        .size:           2
        .value_kind:     hidden_remainder_y
      - .offset:         2118
        .size:           2
        .value_kind:     hidden_remainder_z
      - .offset:         2136
        .size:           8
        .value_kind:     hidden_global_offset_x
      - .offset:         2144
        .size:           8
        .value_kind:     hidden_global_offset_y
      - .offset:         2152
        .size:           8
        .value_kind:     hidden_global_offset_z
      - .offset:         2160
        .size:           2
        .value_kind:     hidden_grid_dims
    .group_segment_fixed_size: 0
    .kernarg_segment_align: 8
    .kernarg_segment_size: 2352
    .language:       OpenCL C
    .language_version:
      - 2
      - 0
    .max_flat_workgroup_size: 512
    .name:           _ZN2at6native12_GLOBAL__N_16kernel17gru_cell_backwardIddlLi2EEEvNS_4cuda6detail10TensorInfoIT_T1_EES9_S9_S9_S9_S8_S8_
    .private_segment_fixed_size: 0
    .sgpr_count:     73
    .sgpr_spill_count: 0
    .symbol:         _ZN2at6native12_GLOBAL__N_16kernel17gru_cell_backwardIddlLi2EEEvNS_4cuda6detail10TensorInfoIT_T1_EES9_S9_S9_S9_S8_S8_.kd
    .uniform_work_group_size: 1
    .uses_dynamic_stack: false
    .vgpr_count:     44
    .vgpr_spill_count: 0
    .wavefront_size: 32
    .workgroup_processor_mode: 1
  - .args:
      - .offset:         0
        .size:           216
        .value_kind:     by_value
      - .offset:         216
        .size:           216
        .value_kind:     by_value
      - .offset:         432
        .size:           216
        .value_kind:     by_value
      - .offset:         648
        .size:           216
        .value_kind:     by_value
      - .offset:         864
        .size:           216
        .value_kind:     by_value
      - .offset:         1080
        .size:           4
        .value_kind:     by_value
      - .offset:         1084
        .size:           4
        .value_kind:     by_value
      - .offset:         1088
        .size:           4
        .value_kind:     hidden_block_count_x
      - .offset:         1092
        .size:           4
        .value_kind:     hidden_block_count_y
      - .offset:         1096
        .size:           4
        .value_kind:     hidden_block_count_z
      - .offset:         1100
        .size:           2
        .value_kind:     hidden_group_size_x
      - .offset:         1102
        .size:           2
        .value_kind:     hidden_group_size_y
      - .offset:         1104
        .size:           2
        .value_kind:     hidden_group_size_z
      - .offset:         1106
        .size:           2
        .value_kind:     hidden_remainder_x
      - .offset:         1108
        .size:           2
        .value_kind:     hidden_remainder_y
      - .offset:         1110
        .size:           2
        .value_kind:     hidden_remainder_z
      - .offset:         1128
        .size:           8
        .value_kind:     hidden_global_offset_x
      - .offset:         1136
        .size:           8
        .value_kind:     hidden_global_offset_y
      - .offset:         1144
        .size:           8
        .value_kind:     hidden_global_offset_z
      - .offset:         1152
        .size:           2
        .value_kind:     hidden_grid_dims
    .group_segment_fixed_size: 0
    .kernarg_segment_align: 8
    .kernarg_segment_size: 1344
    .language:       OpenCL C
    .language_version:
      - 2
      - 0
    .max_flat_workgroup_size: 512
    .name:           _ZN2at6native12_GLOBAL__N_16kernel17gru_cell_backwardIffiLi1EEEvNS_4cuda6detail10TensorInfoIT_T1_EES9_S9_S9_S9_S8_S8_
    .private_segment_fixed_size: 0
    .sgpr_count:     25
    .sgpr_spill_count: 0
    .symbol:         _ZN2at6native12_GLOBAL__N_16kernel17gru_cell_backwardIffiLi1EEEvNS_4cuda6detail10TensorInfoIT_T1_EES9_S9_S9_S9_S8_S8_.kd
    .uniform_work_group_size: 1
    .uses_dynamic_stack: false
    .vgpr_count:     28
    .vgpr_spill_count: 0
    .wavefront_size: 32
    .workgroup_processor_mode: 1
  - .args:
      - .offset:         0
        .size:           216
        .value_kind:     by_value
      - .offset:         216
        .size:           216
        .value_kind:     by_value
      - .offset:         432
        .size:           216
        .value_kind:     by_value
      - .offset:         648
        .size:           216
        .value_kind:     by_value
      - .offset:         864
        .size:           216
        .value_kind:     by_value
      - .offset:         1080
        .size:           4
        .value_kind:     by_value
      - .offset:         1084
        .size:           4
        .value_kind:     by_value
      - .offset:         1088
        .size:           4
        .value_kind:     hidden_block_count_x
      - .offset:         1092
        .size:           4
        .value_kind:     hidden_block_count_y
      - .offset:         1096
        .size:           4
        .value_kind:     hidden_block_count_z
      - .offset:         1100
        .size:           2
        .value_kind:     hidden_group_size_x
      - .offset:         1102
        .size:           2
        .value_kind:     hidden_group_size_y
      - .offset:         1104
        .size:           2
        .value_kind:     hidden_group_size_z
      - .offset:         1106
        .size:           2
        .value_kind:     hidden_remainder_x
      - .offset:         1108
        .size:           2
        .value_kind:     hidden_remainder_y
      - .offset:         1110
        .size:           2
        .value_kind:     hidden_remainder_z
      - .offset:         1128
        .size:           8
        .value_kind:     hidden_global_offset_x
      - .offset:         1136
        .size:           8
        .value_kind:     hidden_global_offset_y
      - .offset:         1144
        .size:           8
        .value_kind:     hidden_global_offset_z
      - .offset:         1152
        .size:           2
        .value_kind:     hidden_grid_dims
    .group_segment_fixed_size: 0
    .kernarg_segment_align: 8
    .kernarg_segment_size: 1344
    .language:       OpenCL C
    .language_version:
      - 2
      - 0
    .max_flat_workgroup_size: 512
    .name:           _ZN2at6native12_GLOBAL__N_16kernel17gru_cell_backwardIffiLi2EEEvNS_4cuda6detail10TensorInfoIT_T1_EES9_S9_S9_S9_S8_S8_
    .private_segment_fixed_size: 0
    .sgpr_count:     49
    .sgpr_spill_count: 0
    .symbol:         _ZN2at6native12_GLOBAL__N_16kernel17gru_cell_backwardIffiLi2EEEvNS_4cuda6detail10TensorInfoIT_T1_EES9_S9_S9_S9_S8_S8_.kd
    .uniform_work_group_size: 1
    .uses_dynamic_stack: false
    .vgpr_count:     45
    .vgpr_spill_count: 0
    .wavefront_size: 32
    .workgroup_processor_mode: 1
  - .args:
      - .offset:         0
        .size:           416
        .value_kind:     by_value
      - .offset:         416
        .size:           416
        .value_kind:     by_value
      - .offset:         832
        .size:           416
        .value_kind:     by_value
      - .offset:         1248
        .size:           416
        .value_kind:     by_value
      - .offset:         1664
        .size:           416
        .value_kind:     by_value
      - .offset:         2080
        .size:           8
        .value_kind:     by_value
      - .offset:         2088
        .size:           8
        .value_kind:     by_value
      - .offset:         2096
        .size:           4
        .value_kind:     hidden_block_count_x
      - .offset:         2100
        .size:           4
        .value_kind:     hidden_block_count_y
      - .offset:         2104
        .size:           4
        .value_kind:     hidden_block_count_z
      - .offset:         2108
        .size:           2
        .value_kind:     hidden_group_size_x
      - .offset:         2110
        .size:           2
        .value_kind:     hidden_group_size_y
      - .offset:         2112
        .size:           2
        .value_kind:     hidden_group_size_z
      - .offset:         2114
        .size:           2
        .value_kind:     hidden_remainder_x
      - .offset:         2116
        .size:           2
        .value_kind:     hidden_remainder_y
      - .offset:         2118
        .size:           2
        .value_kind:     hidden_remainder_z
      - .offset:         2136
        .size:           8
        .value_kind:     hidden_global_offset_x
      - .offset:         2144
        .size:           8
        .value_kind:     hidden_global_offset_y
      - .offset:         2152
        .size:           8
        .value_kind:     hidden_global_offset_z
      - .offset:         2160
        .size:           2
        .value_kind:     hidden_grid_dims
    .group_segment_fixed_size: 0
    .kernarg_segment_align: 8
    .kernarg_segment_size: 2352
    .language:       OpenCL C
    .language_version:
      - 2
      - 0
    .max_flat_workgroup_size: 512
    .name:           _ZN2at6native12_GLOBAL__N_16kernel17gru_cell_backwardIfflLi1EEEvNS_4cuda6detail10TensorInfoIT_T1_EES9_S9_S9_S9_S8_S8_
    .private_segment_fixed_size: 0
    .sgpr_count:     44
    .sgpr_spill_count: 0
    .symbol:         _ZN2at6native12_GLOBAL__N_16kernel17gru_cell_backwardIfflLi1EEEvNS_4cuda6detail10TensorInfoIT_T1_EES9_S9_S9_S9_S8_S8_.kd
    .uniform_work_group_size: 1
    .uses_dynamic_stack: false
    .vgpr_count:     36
    .vgpr_spill_count: 0
    .wavefront_size: 32
    .workgroup_processor_mode: 1
  - .args:
      - .offset:         0
        .size:           416
        .value_kind:     by_value
      - .offset:         416
        .size:           416
        .value_kind:     by_value
      - .offset:         832
        .size:           416
        .value_kind:     by_value
      - .offset:         1248
        .size:           416
        .value_kind:     by_value
      - .offset:         1664
        .size:           416
        .value_kind:     by_value
      - .offset:         2080
        .size:           8
        .value_kind:     by_value
      - .offset:         2088
        .size:           8
        .value_kind:     by_value
      - .offset:         2096
        .size:           4
        .value_kind:     hidden_block_count_x
      - .offset:         2100
        .size:           4
        .value_kind:     hidden_block_count_y
      - .offset:         2104
        .size:           4
        .value_kind:     hidden_block_count_z
      - .offset:         2108
        .size:           2
        .value_kind:     hidden_group_size_x
      - .offset:         2110
        .size:           2
        .value_kind:     hidden_group_size_y
      - .offset:         2112
        .size:           2
        .value_kind:     hidden_group_size_z
      - .offset:         2114
        .size:           2
        .value_kind:     hidden_remainder_x
      - .offset:         2116
        .size:           2
        .value_kind:     hidden_remainder_y
      - .offset:         2118
        .size:           2
        .value_kind:     hidden_remainder_z
      - .offset:         2136
        .size:           8
        .value_kind:     hidden_global_offset_x
      - .offset:         2144
        .size:           8
        .value_kind:     hidden_global_offset_y
      - .offset:         2152
        .size:           8
        .value_kind:     hidden_global_offset_z
      - .offset:         2160
        .size:           2
        .value_kind:     hidden_grid_dims
    .group_segment_fixed_size: 0
    .kernarg_segment_align: 8
    .kernarg_segment_size: 2352
    .language:       OpenCL C
    .language_version:
      - 2
      - 0
    .max_flat_workgroup_size: 512
    .name:           _ZN2at6native12_GLOBAL__N_16kernel17gru_cell_backwardIfflLi2EEEvNS_4cuda6detail10TensorInfoIT_T1_EES9_S9_S9_S9_S8_S8_
    .private_segment_fixed_size: 0
    .sgpr_count:     73
    .sgpr_spill_count: 0
    .symbol:         _ZN2at6native12_GLOBAL__N_16kernel17gru_cell_backwardIfflLi2EEEvNS_4cuda6detail10TensorInfoIT_T1_EES9_S9_S9_S9_S8_S8_.kd
    .uniform_work_group_size: 1
    .uses_dynamic_stack: false
    .vgpr_count:     36
    .vgpr_spill_count: 0
    .wavefront_size: 32
    .workgroup_processor_mode: 1
  - .args:
      - .offset:         0
        .size:           216
        .value_kind:     by_value
      - .offset:         216
        .size:           216
        .value_kind:     by_value
      - .offset:         432
        .size:           216
        .value_kind:     by_value
      - .offset:         648
        .size:           216
        .value_kind:     by_value
      - .offset:         864
        .size:           216
        .value_kind:     by_value
      - .offset:         1080
        .size:           4
        .value_kind:     by_value
      - .offset:         1084
        .size:           4
        .value_kind:     by_value
      - .offset:         1088
        .size:           4
        .value_kind:     hidden_block_count_x
      - .offset:         1092
        .size:           4
        .value_kind:     hidden_block_count_y
      - .offset:         1096
        .size:           4
        .value_kind:     hidden_block_count_z
      - .offset:         1100
        .size:           2
        .value_kind:     hidden_group_size_x
      - .offset:         1102
        .size:           2
        .value_kind:     hidden_group_size_y
      - .offset:         1104
        .size:           2
        .value_kind:     hidden_group_size_z
      - .offset:         1106
        .size:           2
        .value_kind:     hidden_remainder_x
      - .offset:         1108
        .size:           2
        .value_kind:     hidden_remainder_y
      - .offset:         1110
        .size:           2
        .value_kind:     hidden_remainder_z
      - .offset:         1128
        .size:           8
        .value_kind:     hidden_global_offset_x
      - .offset:         1136
        .size:           8
        .value_kind:     hidden_global_offset_y
      - .offset:         1144
        .size:           8
        .value_kind:     hidden_global_offset_z
      - .offset:         1152
        .size:           2
        .value_kind:     hidden_grid_dims
    .group_segment_fixed_size: 0
    .kernarg_segment_align: 8
    .kernarg_segment_size: 1344
    .language:       OpenCL C
    .language_version:
      - 2
      - 0
    .max_flat_workgroup_size: 512
    .name:           _ZN2at6native12_GLOBAL__N_16kernel17gru_cell_backwardIN3c104HalfEfiLi1EEEvNS_4cuda6detail10TensorInfoIT_T1_EESB_SB_SB_SB_SA_SA_
    .private_segment_fixed_size: 0
    .sgpr_count:     26
    .sgpr_spill_count: 0
    .symbol:         _ZN2at6native12_GLOBAL__N_16kernel17gru_cell_backwardIN3c104HalfEfiLi1EEEvNS_4cuda6detail10TensorInfoIT_T1_EESB_SB_SB_SB_SA_SA_.kd
    .uniform_work_group_size: 1
    .uses_dynamic_stack: false
    .vgpr_count:     28
    .vgpr_spill_count: 0
    .wavefront_size: 32
    .workgroup_processor_mode: 1
  - .args:
      - .offset:         0
        .size:           216
        .value_kind:     by_value
      - .offset:         216
        .size:           216
        .value_kind:     by_value
      - .offset:         432
        .size:           216
        .value_kind:     by_value
      - .offset:         648
        .size:           216
        .value_kind:     by_value
      - .offset:         864
        .size:           216
        .value_kind:     by_value
      - .offset:         1080
        .size:           4
        .value_kind:     by_value
      - .offset:         1084
        .size:           4
        .value_kind:     by_value
      - .offset:         1088
        .size:           4
        .value_kind:     hidden_block_count_x
      - .offset:         1092
        .size:           4
        .value_kind:     hidden_block_count_y
      - .offset:         1096
        .size:           4
        .value_kind:     hidden_block_count_z
      - .offset:         1100
        .size:           2
        .value_kind:     hidden_group_size_x
      - .offset:         1102
        .size:           2
        .value_kind:     hidden_group_size_y
      - .offset:         1104
        .size:           2
        .value_kind:     hidden_group_size_z
      - .offset:         1106
        .size:           2
        .value_kind:     hidden_remainder_x
      - .offset:         1108
        .size:           2
        .value_kind:     hidden_remainder_y
      - .offset:         1110
        .size:           2
        .value_kind:     hidden_remainder_z
      - .offset:         1128
        .size:           8
        .value_kind:     hidden_global_offset_x
      - .offset:         1136
        .size:           8
        .value_kind:     hidden_global_offset_y
      - .offset:         1144
        .size:           8
        .value_kind:     hidden_global_offset_z
      - .offset:         1152
        .size:           2
        .value_kind:     hidden_grid_dims
    .group_segment_fixed_size: 0
    .kernarg_segment_align: 8
    .kernarg_segment_size: 1344
    .language:       OpenCL C
    .language_version:
      - 2
      - 0
    .max_flat_workgroup_size: 512
    .name:           _ZN2at6native12_GLOBAL__N_16kernel17gru_cell_backwardIN3c104HalfEfiLi2EEEvNS_4cuda6detail10TensorInfoIT_T1_EESB_SB_SB_SB_SA_SA_
    .private_segment_fixed_size: 0
    .sgpr_count:     50
    .sgpr_spill_count: 0
    .symbol:         _ZN2at6native12_GLOBAL__N_16kernel17gru_cell_backwardIN3c104HalfEfiLi2EEEvNS_4cuda6detail10TensorInfoIT_T1_EESB_SB_SB_SB_SA_SA_.kd
    .uniform_work_group_size: 1
    .uses_dynamic_stack: false
    .vgpr_count:     45
    .vgpr_spill_count: 0
    .wavefront_size: 32
    .workgroup_processor_mode: 1
  - .args:
      - .offset:         0
        .size:           416
        .value_kind:     by_value
      - .offset:         416
        .size:           416
        .value_kind:     by_value
      - .offset:         832
        .size:           416
        .value_kind:     by_value
      - .offset:         1248
        .size:           416
        .value_kind:     by_value
      - .offset:         1664
        .size:           416
        .value_kind:     by_value
      - .offset:         2080
        .size:           8
        .value_kind:     by_value
      - .offset:         2088
        .size:           8
        .value_kind:     by_value
      - .offset:         2096
        .size:           4
        .value_kind:     hidden_block_count_x
      - .offset:         2100
        .size:           4
        .value_kind:     hidden_block_count_y
      - .offset:         2104
        .size:           4
        .value_kind:     hidden_block_count_z
      - .offset:         2108
        .size:           2
        .value_kind:     hidden_group_size_x
      - .offset:         2110
        .size:           2
        .value_kind:     hidden_group_size_y
      - .offset:         2112
        .size:           2
        .value_kind:     hidden_group_size_z
      - .offset:         2114
        .size:           2
        .value_kind:     hidden_remainder_x
      - .offset:         2116
        .size:           2
        .value_kind:     hidden_remainder_y
      - .offset:         2118
        .size:           2
        .value_kind:     hidden_remainder_z
      - .offset:         2136
        .size:           8
        .value_kind:     hidden_global_offset_x
      - .offset:         2144
        .size:           8
        .value_kind:     hidden_global_offset_y
      - .offset:         2152
        .size:           8
        .value_kind:     hidden_global_offset_z
      - .offset:         2160
        .size:           2
        .value_kind:     hidden_grid_dims
    .group_segment_fixed_size: 0
    .kernarg_segment_align: 8
    .kernarg_segment_size: 2352
    .language:       OpenCL C
    .language_version:
      - 2
      - 0
    .max_flat_workgroup_size: 512
    .name:           _ZN2at6native12_GLOBAL__N_16kernel17gru_cell_backwardIN3c104HalfEflLi1EEEvNS_4cuda6detail10TensorInfoIT_T1_EESB_SB_SB_SB_SA_SA_
    .private_segment_fixed_size: 0
    .sgpr_count:     45
    .sgpr_spill_count: 0
    .symbol:         _ZN2at6native12_GLOBAL__N_16kernel17gru_cell_backwardIN3c104HalfEflLi1EEEvNS_4cuda6detail10TensorInfoIT_T1_EESB_SB_SB_SB_SA_SA_.kd
    .uniform_work_group_size: 1
    .uses_dynamic_stack: false
    .vgpr_count:     36
    .vgpr_spill_count: 0
    .wavefront_size: 32
    .workgroup_processor_mode: 1
  - .args:
      - .offset:         0
        .size:           416
        .value_kind:     by_value
      - .offset:         416
        .size:           416
        .value_kind:     by_value
      - .offset:         832
        .size:           416
        .value_kind:     by_value
      - .offset:         1248
        .size:           416
        .value_kind:     by_value
      - .offset:         1664
        .size:           416
        .value_kind:     by_value
      - .offset:         2080
        .size:           8
        .value_kind:     by_value
      - .offset:         2088
        .size:           8
        .value_kind:     by_value
      - .offset:         2096
        .size:           4
        .value_kind:     hidden_block_count_x
      - .offset:         2100
        .size:           4
        .value_kind:     hidden_block_count_y
      - .offset:         2104
        .size:           4
        .value_kind:     hidden_block_count_z
      - .offset:         2108
        .size:           2
        .value_kind:     hidden_group_size_x
      - .offset:         2110
        .size:           2
        .value_kind:     hidden_group_size_y
      - .offset:         2112
        .size:           2
        .value_kind:     hidden_group_size_z
      - .offset:         2114
        .size:           2
        .value_kind:     hidden_remainder_x
      - .offset:         2116
        .size:           2
        .value_kind:     hidden_remainder_y
      - .offset:         2118
        .size:           2
        .value_kind:     hidden_remainder_z
      - .offset:         2136
        .size:           8
        .value_kind:     hidden_global_offset_x
      - .offset:         2144
        .size:           8
        .value_kind:     hidden_global_offset_y
      - .offset:         2152
        .size:           8
        .value_kind:     hidden_global_offset_z
      - .offset:         2160
        .size:           2
        .value_kind:     hidden_grid_dims
    .group_segment_fixed_size: 0
    .kernarg_segment_align: 8
    .kernarg_segment_size: 2352
    .language:       OpenCL C
    .language_version:
      - 2
      - 0
    .max_flat_workgroup_size: 512
    .name:           _ZN2at6native12_GLOBAL__N_16kernel17gru_cell_backwardIN3c104HalfEflLi2EEEvNS_4cuda6detail10TensorInfoIT_T1_EESB_SB_SB_SB_SA_SA_
    .private_segment_fixed_size: 0
    .sgpr_count:     74
    .sgpr_spill_count: 0
    .symbol:         _ZN2at6native12_GLOBAL__N_16kernel17gru_cell_backwardIN3c104HalfEflLi2EEEvNS_4cuda6detail10TensorInfoIT_T1_EESB_SB_SB_SB_SA_SA_.kd
    .uniform_work_group_size: 1
    .uses_dynamic_stack: false
    .vgpr_count:     38
    .vgpr_spill_count: 0
    .wavefront_size: 32
    .workgroup_processor_mode: 1
  - .args:
      - .offset:         0
        .size:           216
        .value_kind:     by_value
      - .offset:         216
        .size:           216
        .value_kind:     by_value
      - .offset:         432
        .size:           216
        .value_kind:     by_value
      - .offset:         648
        .size:           216
        .value_kind:     by_value
      - .offset:         864
        .size:           216
        .value_kind:     by_value
      - .offset:         1080
        .size:           4
        .value_kind:     by_value
      - .offset:         1084
        .size:           4
        .value_kind:     by_value
      - .offset:         1088
        .size:           4
        .value_kind:     hidden_block_count_x
      - .offset:         1092
        .size:           4
        .value_kind:     hidden_block_count_y
      - .offset:         1096
        .size:           4
        .value_kind:     hidden_block_count_z
      - .offset:         1100
        .size:           2
        .value_kind:     hidden_group_size_x
      - .offset:         1102
        .size:           2
        .value_kind:     hidden_group_size_y
      - .offset:         1104
        .size:           2
        .value_kind:     hidden_group_size_z
      - .offset:         1106
        .size:           2
        .value_kind:     hidden_remainder_x
      - .offset:         1108
        .size:           2
        .value_kind:     hidden_remainder_y
      - .offset:         1110
        .size:           2
        .value_kind:     hidden_remainder_z
      - .offset:         1128
        .size:           8
        .value_kind:     hidden_global_offset_x
      - .offset:         1136
        .size:           8
        .value_kind:     hidden_global_offset_y
      - .offset:         1144
        .size:           8
        .value_kind:     hidden_global_offset_z
      - .offset:         1152
        .size:           2
        .value_kind:     hidden_grid_dims
    .group_segment_fixed_size: 0
    .kernarg_segment_align: 8
    .kernarg_segment_size: 1344
    .language:       OpenCL C
    .language_version:
      - 2
      - 0
    .max_flat_workgroup_size: 512
    .name:           _ZN2at6native12_GLOBAL__N_16kernel17gru_cell_backwardIN3c108BFloat16EfiLi1EEEvNS_4cuda6detail10TensorInfoIT_T1_EESB_SB_SB_SB_SA_SA_
    .private_segment_fixed_size: 0
    .sgpr_count:     26
    .sgpr_spill_count: 0
    .symbol:         _ZN2at6native12_GLOBAL__N_16kernel17gru_cell_backwardIN3c108BFloat16EfiLi1EEEvNS_4cuda6detail10TensorInfoIT_T1_EESB_SB_SB_SB_SA_SA_.kd
    .uniform_work_group_size: 1
    .uses_dynamic_stack: false
    .vgpr_count:     28
    .vgpr_spill_count: 0
    .wavefront_size: 32
    .workgroup_processor_mode: 1
  - .args:
      - .offset:         0
        .size:           216
        .value_kind:     by_value
      - .offset:         216
        .size:           216
        .value_kind:     by_value
      - .offset:         432
        .size:           216
        .value_kind:     by_value
      - .offset:         648
        .size:           216
        .value_kind:     by_value
      - .offset:         864
        .size:           216
        .value_kind:     by_value
      - .offset:         1080
        .size:           4
        .value_kind:     by_value
      - .offset:         1084
        .size:           4
        .value_kind:     by_value
      - .offset:         1088
        .size:           4
        .value_kind:     hidden_block_count_x
      - .offset:         1092
        .size:           4
        .value_kind:     hidden_block_count_y
      - .offset:         1096
        .size:           4
        .value_kind:     hidden_block_count_z
      - .offset:         1100
        .size:           2
        .value_kind:     hidden_group_size_x
      - .offset:         1102
        .size:           2
        .value_kind:     hidden_group_size_y
      - .offset:         1104
        .size:           2
        .value_kind:     hidden_group_size_z
      - .offset:         1106
        .size:           2
        .value_kind:     hidden_remainder_x
      - .offset:         1108
        .size:           2
        .value_kind:     hidden_remainder_y
      - .offset:         1110
        .size:           2
        .value_kind:     hidden_remainder_z
      - .offset:         1128
        .size:           8
        .value_kind:     hidden_global_offset_x
      - .offset:         1136
        .size:           8
        .value_kind:     hidden_global_offset_y
      - .offset:         1144
        .size:           8
        .value_kind:     hidden_global_offset_z
      - .offset:         1152
        .size:           2
        .value_kind:     hidden_grid_dims
    .group_segment_fixed_size: 0
    .kernarg_segment_align: 8
    .kernarg_segment_size: 1344
    .language:       OpenCL C
    .language_version:
      - 2
      - 0
    .max_flat_workgroup_size: 512
    .name:           _ZN2at6native12_GLOBAL__N_16kernel17gru_cell_backwardIN3c108BFloat16EfiLi2EEEvNS_4cuda6detail10TensorInfoIT_T1_EESB_SB_SB_SB_SA_SA_
    .private_segment_fixed_size: 0
    .sgpr_count:     49
    .sgpr_spill_count: 0
    .symbol:         _ZN2at6native12_GLOBAL__N_16kernel17gru_cell_backwardIN3c108BFloat16EfiLi2EEEvNS_4cuda6detail10TensorInfoIT_T1_EESB_SB_SB_SB_SA_SA_.kd
    .uniform_work_group_size: 1
    .uses_dynamic_stack: false
    .vgpr_count:     45
    .vgpr_spill_count: 0
    .wavefront_size: 32
    .workgroup_processor_mode: 1
  - .args:
      - .offset:         0
        .size:           416
        .value_kind:     by_value
      - .offset:         416
        .size:           416
        .value_kind:     by_value
      - .offset:         832
        .size:           416
        .value_kind:     by_value
      - .offset:         1248
        .size:           416
        .value_kind:     by_value
      - .offset:         1664
        .size:           416
        .value_kind:     by_value
      - .offset:         2080
        .size:           8
        .value_kind:     by_value
      - .offset:         2088
        .size:           8
        .value_kind:     by_value
      - .offset:         2096
        .size:           4
        .value_kind:     hidden_block_count_x
      - .offset:         2100
        .size:           4
        .value_kind:     hidden_block_count_y
      - .offset:         2104
        .size:           4
        .value_kind:     hidden_block_count_z
      - .offset:         2108
        .size:           2
        .value_kind:     hidden_group_size_x
      - .offset:         2110
        .size:           2
        .value_kind:     hidden_group_size_y
      - .offset:         2112
        .size:           2
        .value_kind:     hidden_group_size_z
      - .offset:         2114
        .size:           2
        .value_kind:     hidden_remainder_x
      - .offset:         2116
        .size:           2
        .value_kind:     hidden_remainder_y
      - .offset:         2118
        .size:           2
        .value_kind:     hidden_remainder_z
      - .offset:         2136
        .size:           8
        .value_kind:     hidden_global_offset_x
      - .offset:         2144
        .size:           8
        .value_kind:     hidden_global_offset_y
      - .offset:         2152
        .size:           8
        .value_kind:     hidden_global_offset_z
      - .offset:         2160
        .size:           2
        .value_kind:     hidden_grid_dims
    .group_segment_fixed_size: 0
    .kernarg_segment_align: 8
    .kernarg_segment_size: 2352
    .language:       OpenCL C
    .language_version:
      - 2
      - 0
    .max_flat_workgroup_size: 512
    .name:           _ZN2at6native12_GLOBAL__N_16kernel17gru_cell_backwardIN3c108BFloat16EflLi1EEEvNS_4cuda6detail10TensorInfoIT_T1_EESB_SB_SB_SB_SA_SA_
    .private_segment_fixed_size: 0
    .sgpr_count:     44
    .sgpr_spill_count: 0
    .symbol:         _ZN2at6native12_GLOBAL__N_16kernel17gru_cell_backwardIN3c108BFloat16EflLi1EEEvNS_4cuda6detail10TensorInfoIT_T1_EESB_SB_SB_SB_SA_SA_.kd
    .uniform_work_group_size: 1
    .uses_dynamic_stack: false
    .vgpr_count:     36
    .vgpr_spill_count: 0
    .wavefront_size: 32
    .workgroup_processor_mode: 1
  - .args:
      - .offset:         0
        .size:           416
        .value_kind:     by_value
      - .offset:         416
        .size:           416
        .value_kind:     by_value
      - .offset:         832
        .size:           416
        .value_kind:     by_value
      - .offset:         1248
        .size:           416
        .value_kind:     by_value
      - .offset:         1664
        .size:           416
        .value_kind:     by_value
      - .offset:         2080
        .size:           8
        .value_kind:     by_value
      - .offset:         2088
        .size:           8
        .value_kind:     by_value
      - .offset:         2096
        .size:           4
        .value_kind:     hidden_block_count_x
      - .offset:         2100
        .size:           4
        .value_kind:     hidden_block_count_y
      - .offset:         2104
        .size:           4
        .value_kind:     hidden_block_count_z
      - .offset:         2108
        .size:           2
        .value_kind:     hidden_group_size_x
      - .offset:         2110
        .size:           2
        .value_kind:     hidden_group_size_y
      - .offset:         2112
        .size:           2
        .value_kind:     hidden_group_size_z
      - .offset:         2114
        .size:           2
        .value_kind:     hidden_remainder_x
      - .offset:         2116
        .size:           2
        .value_kind:     hidden_remainder_y
      - .offset:         2118
        .size:           2
        .value_kind:     hidden_remainder_z
      - .offset:         2136
        .size:           8
        .value_kind:     hidden_global_offset_x
      - .offset:         2144
        .size:           8
        .value_kind:     hidden_global_offset_y
      - .offset:         2152
        .size:           8
        .value_kind:     hidden_global_offset_z
      - .offset:         2160
        .size:           2
        .value_kind:     hidden_grid_dims
    .group_segment_fixed_size: 0
    .kernarg_segment_align: 8
    .kernarg_segment_size: 2352
    .language:       OpenCL C
    .language_version:
      - 2
      - 0
    .max_flat_workgroup_size: 512
    .name:           _ZN2at6native12_GLOBAL__N_16kernel17gru_cell_backwardIN3c108BFloat16EflLi2EEEvNS_4cuda6detail10TensorInfoIT_T1_EESB_SB_SB_SB_SA_SA_
    .private_segment_fixed_size: 0
    .sgpr_count:     73
    .sgpr_spill_count: 0
    .symbol:         _ZN2at6native12_GLOBAL__N_16kernel17gru_cell_backwardIN3c108BFloat16EflLi2EEEvNS_4cuda6detail10TensorInfoIT_T1_EESB_SB_SB_SB_SA_SA_.kd
    .uniform_work_group_size: 1
    .uses_dynamic_stack: false
    .vgpr_count:     37
    .vgpr_spill_count: 0
    .wavefront_size: 32
    .workgroup_processor_mode: 1
amdhsa.target:   amdgcn-amd-amdhsa--gfx1030
amdhsa.version:
  - 1
  - 2
...

	.end_amdgpu_metadata
